;; amdgpu-corpus repo=ROCm/rocSPARSE kind=compiled arch=gfx950 opt=O3
	.amdgcn_target "amdgcn-amd-amdhsa--gfx950"
	.amdhsa_code_object_version 6
	.section	.text._ZN9rocsparseL19gebsrmvn_4xn_kernelILj128ELj1ELj4EfEEvi20rocsparse_direction_NS_24const_host_device_scalarIT2_EEPKiS6_PKS3_S8_S4_PS3_21rocsparse_index_base_b,"axG",@progbits,_ZN9rocsparseL19gebsrmvn_4xn_kernelILj128ELj1ELj4EfEEvi20rocsparse_direction_NS_24const_host_device_scalarIT2_EEPKiS6_PKS3_S8_S4_PS3_21rocsparse_index_base_b,comdat
	.globl	_ZN9rocsparseL19gebsrmvn_4xn_kernelILj128ELj1ELj4EfEEvi20rocsparse_direction_NS_24const_host_device_scalarIT2_EEPKiS6_PKS3_S8_S4_PS3_21rocsparse_index_base_b ; -- Begin function _ZN9rocsparseL19gebsrmvn_4xn_kernelILj128ELj1ELj4EfEEvi20rocsparse_direction_NS_24const_host_device_scalarIT2_EEPKiS6_PKS3_S8_S4_PS3_21rocsparse_index_base_b
	.p2align	8
	.type	_ZN9rocsparseL19gebsrmvn_4xn_kernelILj128ELj1ELj4EfEEvi20rocsparse_direction_NS_24const_host_device_scalarIT2_EEPKiS6_PKS3_S8_S4_PS3_21rocsparse_index_base_b,@function
_ZN9rocsparseL19gebsrmvn_4xn_kernelILj128ELj1ELj4EfEEvi20rocsparse_direction_NS_24const_host_device_scalarIT2_EEPKiS6_PKS3_S8_S4_PS3_21rocsparse_index_base_b: ; @_ZN9rocsparseL19gebsrmvn_4xn_kernelILj128ELj1ELj4EfEEvi20rocsparse_direction_NS_24const_host_device_scalarIT2_EEPKiS6_PKS3_S8_S4_PS3_21rocsparse_index_base_b
; %bb.0:
	s_load_dwordx2 s[16:17], s[0:1], 0x40
	s_load_dwordx2 s[14:15], s[0:1], 0x8
	;; [unrolled: 1-line block ×3, first 2 shown]
	s_waitcnt lgkmcnt(0)
	s_bitcmp1_b32 s17, 0
	s_cselect_b64 s[6:7], -1, 0
	s_xor_b64 s[4:5], s[6:7], -1
	s_and_b64 vcc, exec, s[6:7]
	s_cbranch_vccnz .LBB0_2
; %bb.1:
	s_load_dword s14, s[14:15], 0x0
.LBB0_2:
	s_andn2_b64 vcc, exec, s[4:5]
	s_cbranch_vccnz .LBB0_4
; %bb.3:
	s_load_dword s12, s[12:13], 0x0
.LBB0_4:
	s_waitcnt lgkmcnt(0)
	v_cmp_eq_f32_e64 s[4:5], s14, 0
	v_cmp_eq_f32_e64 s[6:7], s12, 1.0
	s_and_b64 s[4:5], s[4:5], s[6:7]
	s_and_b64 vcc, exec, s[4:5]
	s_cbranch_vccnz .LBB0_22
; %bb.5:
	s_load_dwordx2 s[18:19], s[0:1], 0x0
	v_lshrrev_b32_e32 v1, 2, v0
	v_lshl_or_b32 v2, s2, 5, v1
	s_waitcnt lgkmcnt(0)
	v_cmp_gt_i32_e32 vcc, s18, v2
	s_and_saveexec_b64 s[2:3], vcc
	s_cbranch_execz .LBB0_22
; %bb.6:
	s_load_dwordx8 s[4:11], s[0:1], 0x10
	v_ashrrev_i32_e32 v3, 31, v2
	s_cmp_lg_u32 s19, 0
	s_waitcnt lgkmcnt(0)
	v_lshl_add_u64 v[4:5], v[2:3], 2, s[4:5]
	global_load_dwordx2 v[4:5], v[4:5], off
	v_and_b32_e32 v3, 3, v0
	s_waitcnt vmcnt(0)
	v_subrev_u32_e32 v0, s16, v4
	v_subrev_u32_e32 v12, s16, v5
	v_add_u32_e32 v6, v0, v3
	v_cmp_lt_i32_e64 s[2:3], v6, v12
	s_cbranch_scc0 .LBB0_12
; %bb.7:
	v_mov_b32_e32 v1, 0
	v_mov_b32_e32 v0, v1
	;; [unrolled: 1-line block ×4, first 2 shown]
	s_and_saveexec_b64 s[4:5], s[2:3]
	s_cbranch_execz .LBB0_11
; %bb.8:
	v_mov_b32_e32 v9, 0
	v_lshlrev_b32_e32 v8, 2, v6
	s_mov_b64 s[18:19], 0
	v_mov_b32_e32 v10, v6
	v_mov_b32_e32 v4, v9
	;; [unrolled: 1-line block ×5, first 2 shown]
.LBB0_9:                                ; =>This Inner Loop Header: Depth=1
	v_ashrrev_i32_e32 v11, 31, v10
	v_lshl_add_u64 v[14:15], v[10:11], 2, s[6:7]
	global_load_dword v7, v[14:15], off
	v_mov_b32_e32 v19, v9
	v_lshl_add_u64 v[14:15], v[8:9], 2, s[8:9]
	global_load_dwordx4 v[14:17], v[14:15], off
	v_add_u32_e32 v10, 4, v10
	v_cmp_ge_i32_e32 vcc, v10, v12
	v_add_u32_e32 v8, 16, v8
	s_or_b64 s[18:19], vcc, s[18:19]
	s_waitcnt vmcnt(1)
	v_subrev_u32_e32 v18, s16, v7
	v_lshl_add_u64 v[18:19], v[18:19], 2, s[10:11]
	global_load_dword v18, v[18:19], off
	s_waitcnt vmcnt(0)
	v_pk_fma_f32 v[4:5], v[14:15], v[18:19], v[4:5] op_sel_hi:[1,0,1]
	v_pk_fma_f32 v[0:1], v[16:17], v[18:19], v[0:1] op_sel_hi:[1,0,1]
	s_andn2_b64 exec, exec, s[18:19]
	s_cbranch_execnz .LBB0_9
; %bb.10:
	s_or_b64 exec, exec, s[18:19]
.LBB0_11:
	s_or_b64 exec, exec, s[4:5]
	s_cbranch_execz .LBB0_13
	s_branch .LBB0_18
.LBB0_12:
                                        ; implicit-def: $vgpr1
                                        ; implicit-def: $vgpr5
.LBB0_13:
	v_mov_b32_e32 v1, 0
	v_mov_b32_e32 v0, v1
	;; [unrolled: 1-line block ×4, first 2 shown]
	s_and_saveexec_b64 s[4:5], s[2:3]
	s_cbranch_execz .LBB0_17
; %bb.14:
	v_mov_b32_e32 v9, 0
	v_lshlrev_b32_e32 v8, 2, v6
	s_mov_b64 s[2:3], 0
	v_mov_b32_e32 v4, v9
	v_mov_b32_e32 v5, v9
	;; [unrolled: 1-line block ×4, first 2 shown]
.LBB0_15:                               ; =>This Inner Loop Header: Depth=1
	v_ashrrev_i32_e32 v7, 31, v6
	v_lshl_add_u64 v[10:11], v[6:7], 2, s[6:7]
	global_load_dword v7, v[10:11], off
	v_lshl_add_u64 v[10:11], v[8:9], 2, s[8:9]
	v_mov_b32_e32 v19, v9
	global_load_dwordx4 v[14:17], v[10:11], off
	v_add_u32_e32 v6, 4, v6
	v_cmp_ge_i32_e32 vcc, v6, v12
	v_add_u32_e32 v8, 16, v8
	s_or_b64 s[2:3], vcc, s[2:3]
	s_waitcnt vmcnt(1)
	v_subrev_u32_e32 v18, s16, v7
	v_lshl_add_u64 v[10:11], v[18:19], 2, s[10:11]
	global_load_dword v10, v[10:11], off
	s_waitcnt vmcnt(0)
	v_pk_fma_f32 v[4:5], v[14:15], v[10:11], v[4:5] op_sel_hi:[1,0,1]
	v_pk_fma_f32 v[0:1], v[16:17], v[10:11], v[0:1] op_sel_hi:[1,0,1]
	s_andn2_b64 exec, exec, s[2:3]
	s_cbranch_execnz .LBB0_15
; %bb.16:
	s_or_b64 exec, exec, s[2:3]
.LBB0_17:
	s_or_b64 exec, exec, s[4:5]
.LBB0_18:
	v_mov_b32_dpp v6, v4 row_shr:1 row_mask:0xf bank_mask:0xf
	v_mov_b32_dpp v7, v5 row_shr:1 row_mask:0xf bank_mask:0xf
	v_mov_b32_dpp v8, v0 row_shr:1 row_mask:0xf bank_mask:0xf
	v_mov_b32_dpp v9, v1 row_shr:1 row_mask:0xf bank_mask:0xf
	v_pk_add_f32 v[4:5], v[4:5], v[6:7]
	v_pk_add_f32 v[0:1], v[0:1], v[8:9]
	v_cmp_eq_u32_e32 vcc, 3, v3
	v_mov_b32_dpp v6, v4 row_shr:2 row_mask:0xf bank_mask:0xf
	v_mov_b32_dpp v7, v5 row_shr:2 row_mask:0xf bank_mask:0xf
	;; [unrolled: 1-line block ×4, first 2 shown]
	s_and_b64 exec, exec, vcc
	s_cbranch_execz .LBB0_22
; %bb.19:
	s_load_dwordx2 s[0:1], s[0:1], 0x38
	v_cmp_eq_f32_e64 s[2:3], s12, 0
	v_pk_add_f32 v[4:5], v[4:5], v[6:7]
	v_pk_add_f32 v[0:1], v[0:1], v[8:9]
	s_and_b64 vcc, exec, s[2:3]
	v_lshlrev_b32_e32 v2, 2, v2
	s_cbranch_vccz .LBB0_23
; %bb.20:
	v_ashrrev_i32_e32 v3, 31, v2
	s_waitcnt lgkmcnt(0)
	v_lshl_add_u64 v[10:11], v[2:3], 2, s[0:1]
	v_pk_mul_f32 v[6:7], s[14:15], v[4:5] op_sel_hi:[0,1]
	v_pk_mul_f32 v[8:9], s[14:15], v[0:1] op_sel_hi:[0,1]
	global_store_dwordx4 v[10:11], v[6:9], off
	s_cbranch_execnz .LBB0_22
.LBB0_21:
	v_ashrrev_i32_e32 v3, 31, v2
	s_waitcnt lgkmcnt(0)
	v_lshl_add_u64 v[10:11], v[2:3], 2, s[0:1]
	global_load_dwordx4 v[6:9], v[10:11], off
	v_pk_mul_f32 v[2:3], s[14:15], v[4:5] op_sel_hi:[0,1]
	v_pk_mul_f32 v[4:5], s[14:15], v[0:1] op_sel_hi:[0,1]
	s_waitcnt vmcnt(0)
	v_pk_fma_f32 v[0:1], s[12:13], v[6:7], v[2:3] op_sel_hi:[0,1,1]
	v_pk_fma_f32 v[2:3], s[12:13], v[8:9], v[4:5] op_sel_hi:[0,1,1]
	global_store_dwordx4 v[10:11], v[0:3], off
.LBB0_22:
	s_endpgm
.LBB0_23:
	s_branch .LBB0_21
	.section	.rodata,"a",@progbits
	.p2align	6, 0x0
	.amdhsa_kernel _ZN9rocsparseL19gebsrmvn_4xn_kernelILj128ELj1ELj4EfEEvi20rocsparse_direction_NS_24const_host_device_scalarIT2_EEPKiS6_PKS3_S8_S4_PS3_21rocsparse_index_base_b
		.amdhsa_group_segment_fixed_size 0
		.amdhsa_private_segment_fixed_size 0
		.amdhsa_kernarg_size 72
		.amdhsa_user_sgpr_count 2
		.amdhsa_user_sgpr_dispatch_ptr 0
		.amdhsa_user_sgpr_queue_ptr 0
		.amdhsa_user_sgpr_kernarg_segment_ptr 1
		.amdhsa_user_sgpr_dispatch_id 0
		.amdhsa_user_sgpr_kernarg_preload_length 0
		.amdhsa_user_sgpr_kernarg_preload_offset 0
		.amdhsa_user_sgpr_private_segment_size 0
		.amdhsa_uses_dynamic_stack 0
		.amdhsa_enable_private_segment 0
		.amdhsa_system_sgpr_workgroup_id_x 1
		.amdhsa_system_sgpr_workgroup_id_y 0
		.amdhsa_system_sgpr_workgroup_id_z 0
		.amdhsa_system_sgpr_workgroup_info 0
		.amdhsa_system_vgpr_workitem_id 0
		.amdhsa_next_free_vgpr 20
		.amdhsa_next_free_sgpr 20
		.amdhsa_accum_offset 20
		.amdhsa_reserve_vcc 1
		.amdhsa_float_round_mode_32 0
		.amdhsa_float_round_mode_16_64 0
		.amdhsa_float_denorm_mode_32 3
		.amdhsa_float_denorm_mode_16_64 3
		.amdhsa_dx10_clamp 1
		.amdhsa_ieee_mode 1
		.amdhsa_fp16_overflow 0
		.amdhsa_tg_split 0
		.amdhsa_exception_fp_ieee_invalid_op 0
		.amdhsa_exception_fp_denorm_src 0
		.amdhsa_exception_fp_ieee_div_zero 0
		.amdhsa_exception_fp_ieee_overflow 0
		.amdhsa_exception_fp_ieee_underflow 0
		.amdhsa_exception_fp_ieee_inexact 0
		.amdhsa_exception_int_div_zero 0
	.end_amdhsa_kernel
	.section	.text._ZN9rocsparseL19gebsrmvn_4xn_kernelILj128ELj1ELj4EfEEvi20rocsparse_direction_NS_24const_host_device_scalarIT2_EEPKiS6_PKS3_S8_S4_PS3_21rocsparse_index_base_b,"axG",@progbits,_ZN9rocsparseL19gebsrmvn_4xn_kernelILj128ELj1ELj4EfEEvi20rocsparse_direction_NS_24const_host_device_scalarIT2_EEPKiS6_PKS3_S8_S4_PS3_21rocsparse_index_base_b,comdat
.Lfunc_end0:
	.size	_ZN9rocsparseL19gebsrmvn_4xn_kernelILj128ELj1ELj4EfEEvi20rocsparse_direction_NS_24const_host_device_scalarIT2_EEPKiS6_PKS3_S8_S4_PS3_21rocsparse_index_base_b, .Lfunc_end0-_ZN9rocsparseL19gebsrmvn_4xn_kernelILj128ELj1ELj4EfEEvi20rocsparse_direction_NS_24const_host_device_scalarIT2_EEPKiS6_PKS3_S8_S4_PS3_21rocsparse_index_base_b
                                        ; -- End function
	.set _ZN9rocsparseL19gebsrmvn_4xn_kernelILj128ELj1ELj4EfEEvi20rocsparse_direction_NS_24const_host_device_scalarIT2_EEPKiS6_PKS3_S8_S4_PS3_21rocsparse_index_base_b.num_vgpr, 20
	.set _ZN9rocsparseL19gebsrmvn_4xn_kernelILj128ELj1ELj4EfEEvi20rocsparse_direction_NS_24const_host_device_scalarIT2_EEPKiS6_PKS3_S8_S4_PS3_21rocsparse_index_base_b.num_agpr, 0
	.set _ZN9rocsparseL19gebsrmvn_4xn_kernelILj128ELj1ELj4EfEEvi20rocsparse_direction_NS_24const_host_device_scalarIT2_EEPKiS6_PKS3_S8_S4_PS3_21rocsparse_index_base_b.numbered_sgpr, 20
	.set _ZN9rocsparseL19gebsrmvn_4xn_kernelILj128ELj1ELj4EfEEvi20rocsparse_direction_NS_24const_host_device_scalarIT2_EEPKiS6_PKS3_S8_S4_PS3_21rocsparse_index_base_b.num_named_barrier, 0
	.set _ZN9rocsparseL19gebsrmvn_4xn_kernelILj128ELj1ELj4EfEEvi20rocsparse_direction_NS_24const_host_device_scalarIT2_EEPKiS6_PKS3_S8_S4_PS3_21rocsparse_index_base_b.private_seg_size, 0
	.set _ZN9rocsparseL19gebsrmvn_4xn_kernelILj128ELj1ELj4EfEEvi20rocsparse_direction_NS_24const_host_device_scalarIT2_EEPKiS6_PKS3_S8_S4_PS3_21rocsparse_index_base_b.uses_vcc, 1
	.set _ZN9rocsparseL19gebsrmvn_4xn_kernelILj128ELj1ELj4EfEEvi20rocsparse_direction_NS_24const_host_device_scalarIT2_EEPKiS6_PKS3_S8_S4_PS3_21rocsparse_index_base_b.uses_flat_scratch, 0
	.set _ZN9rocsparseL19gebsrmvn_4xn_kernelILj128ELj1ELj4EfEEvi20rocsparse_direction_NS_24const_host_device_scalarIT2_EEPKiS6_PKS3_S8_S4_PS3_21rocsparse_index_base_b.has_dyn_sized_stack, 0
	.set _ZN9rocsparseL19gebsrmvn_4xn_kernelILj128ELj1ELj4EfEEvi20rocsparse_direction_NS_24const_host_device_scalarIT2_EEPKiS6_PKS3_S8_S4_PS3_21rocsparse_index_base_b.has_recursion, 0
	.set _ZN9rocsparseL19gebsrmvn_4xn_kernelILj128ELj1ELj4EfEEvi20rocsparse_direction_NS_24const_host_device_scalarIT2_EEPKiS6_PKS3_S8_S4_PS3_21rocsparse_index_base_b.has_indirect_call, 0
	.section	.AMDGPU.csdata,"",@progbits
; Kernel info:
; codeLenInByte = 812
; TotalNumSgprs: 26
; NumVgprs: 20
; NumAgprs: 0
; TotalNumVgprs: 20
; ScratchSize: 0
; MemoryBound: 0
; FloatMode: 240
; IeeeMode: 1
; LDSByteSize: 0 bytes/workgroup (compile time only)
; SGPRBlocks: 3
; VGPRBlocks: 2
; NumSGPRsForWavesPerEU: 26
; NumVGPRsForWavesPerEU: 20
; AccumOffset: 20
; Occupancy: 8
; WaveLimiterHint : 1
; COMPUTE_PGM_RSRC2:SCRATCH_EN: 0
; COMPUTE_PGM_RSRC2:USER_SGPR: 2
; COMPUTE_PGM_RSRC2:TRAP_HANDLER: 0
; COMPUTE_PGM_RSRC2:TGID_X_EN: 1
; COMPUTE_PGM_RSRC2:TGID_Y_EN: 0
; COMPUTE_PGM_RSRC2:TGID_Z_EN: 0
; COMPUTE_PGM_RSRC2:TIDIG_COMP_CNT: 0
; COMPUTE_PGM_RSRC3_GFX90A:ACCUM_OFFSET: 4
; COMPUTE_PGM_RSRC3_GFX90A:TG_SPLIT: 0
	.section	.text._ZN9rocsparseL19gebsrmvn_4xn_kernelILj128ELj1ELj8EfEEvi20rocsparse_direction_NS_24const_host_device_scalarIT2_EEPKiS6_PKS3_S8_S4_PS3_21rocsparse_index_base_b,"axG",@progbits,_ZN9rocsparseL19gebsrmvn_4xn_kernelILj128ELj1ELj8EfEEvi20rocsparse_direction_NS_24const_host_device_scalarIT2_EEPKiS6_PKS3_S8_S4_PS3_21rocsparse_index_base_b,comdat
	.globl	_ZN9rocsparseL19gebsrmvn_4xn_kernelILj128ELj1ELj8EfEEvi20rocsparse_direction_NS_24const_host_device_scalarIT2_EEPKiS6_PKS3_S8_S4_PS3_21rocsparse_index_base_b ; -- Begin function _ZN9rocsparseL19gebsrmvn_4xn_kernelILj128ELj1ELj8EfEEvi20rocsparse_direction_NS_24const_host_device_scalarIT2_EEPKiS6_PKS3_S8_S4_PS3_21rocsparse_index_base_b
	.p2align	8
	.type	_ZN9rocsparseL19gebsrmvn_4xn_kernelILj128ELj1ELj8EfEEvi20rocsparse_direction_NS_24const_host_device_scalarIT2_EEPKiS6_PKS3_S8_S4_PS3_21rocsparse_index_base_b,@function
_ZN9rocsparseL19gebsrmvn_4xn_kernelILj128ELj1ELj8EfEEvi20rocsparse_direction_NS_24const_host_device_scalarIT2_EEPKiS6_PKS3_S8_S4_PS3_21rocsparse_index_base_b: ; @_ZN9rocsparseL19gebsrmvn_4xn_kernelILj128ELj1ELj8EfEEvi20rocsparse_direction_NS_24const_host_device_scalarIT2_EEPKiS6_PKS3_S8_S4_PS3_21rocsparse_index_base_b
; %bb.0:
	s_load_dwordx2 s[16:17], s[0:1], 0x40
	s_load_dwordx2 s[14:15], s[0:1], 0x8
	;; [unrolled: 1-line block ×3, first 2 shown]
	s_waitcnt lgkmcnt(0)
	s_bitcmp1_b32 s17, 0
	s_cselect_b64 s[6:7], -1, 0
	s_xor_b64 s[4:5], s[6:7], -1
	s_and_b64 vcc, exec, s[6:7]
	s_cbranch_vccnz .LBB1_2
; %bb.1:
	s_load_dword s14, s[14:15], 0x0
.LBB1_2:
	s_andn2_b64 vcc, exec, s[4:5]
	s_cbranch_vccnz .LBB1_4
; %bb.3:
	s_load_dword s12, s[12:13], 0x0
.LBB1_4:
	s_waitcnt lgkmcnt(0)
	v_cmp_eq_f32_e64 s[4:5], s14, 0
	v_cmp_eq_f32_e64 s[6:7], s12, 1.0
	s_and_b64 s[4:5], s[4:5], s[6:7]
	s_and_b64 vcc, exec, s[4:5]
	s_cbranch_vccnz .LBB1_22
; %bb.5:
	s_load_dwordx2 s[18:19], s[0:1], 0x0
	v_lshrrev_b32_e32 v1, 3, v0
	v_lshl_or_b32 v2, s2, 4, v1
	s_waitcnt lgkmcnt(0)
	v_cmp_gt_i32_e32 vcc, s18, v2
	s_and_saveexec_b64 s[2:3], vcc
	s_cbranch_execz .LBB1_22
; %bb.6:
	s_load_dwordx8 s[4:11], s[0:1], 0x10
	v_ashrrev_i32_e32 v3, 31, v2
	s_cmp_lg_u32 s19, 0
	s_waitcnt lgkmcnt(0)
	v_lshl_add_u64 v[4:5], v[2:3], 2, s[4:5]
	global_load_dwordx2 v[4:5], v[4:5], off
	v_and_b32_e32 v3, 7, v0
	s_waitcnt vmcnt(0)
	v_subrev_u32_e32 v0, s16, v4
	v_subrev_u32_e32 v12, s16, v5
	v_add_u32_e32 v6, v0, v3
	v_cmp_lt_i32_e64 s[2:3], v6, v12
	s_cbranch_scc0 .LBB1_12
; %bb.7:
	v_mov_b32_e32 v1, 0
	v_mov_b32_e32 v0, v1
	v_mov_b32_e32 v5, v1
	v_mov_b32_e32 v4, v1
	s_and_saveexec_b64 s[4:5], s[2:3]
	s_cbranch_execz .LBB1_11
; %bb.8:
	v_mov_b32_e32 v9, 0
	v_lshlrev_b32_e32 v8, 2, v6
	s_mov_b64 s[18:19], 0
	v_mov_b32_e32 v10, v6
	v_mov_b32_e32 v4, v9
	;; [unrolled: 1-line block ×5, first 2 shown]
.LBB1_9:                                ; =>This Inner Loop Header: Depth=1
	v_ashrrev_i32_e32 v11, 31, v10
	v_lshl_add_u64 v[14:15], v[10:11], 2, s[6:7]
	global_load_dword v7, v[14:15], off
	v_mov_b32_e32 v19, v9
	v_lshl_add_u64 v[14:15], v[8:9], 2, s[8:9]
	global_load_dwordx4 v[14:17], v[14:15], off
	v_add_u32_e32 v10, 8, v10
	v_cmp_ge_i32_e32 vcc, v10, v12
	v_add_u32_e32 v8, 32, v8
	s_or_b64 s[18:19], vcc, s[18:19]
	s_waitcnt vmcnt(1)
	v_subrev_u32_e32 v18, s16, v7
	v_lshl_add_u64 v[18:19], v[18:19], 2, s[10:11]
	global_load_dword v18, v[18:19], off
	s_waitcnt vmcnt(0)
	v_pk_fma_f32 v[4:5], v[14:15], v[18:19], v[4:5] op_sel_hi:[1,0,1]
	v_pk_fma_f32 v[0:1], v[16:17], v[18:19], v[0:1] op_sel_hi:[1,0,1]
	s_andn2_b64 exec, exec, s[18:19]
	s_cbranch_execnz .LBB1_9
; %bb.10:
	s_or_b64 exec, exec, s[18:19]
.LBB1_11:
	s_or_b64 exec, exec, s[4:5]
	s_cbranch_execz .LBB1_13
	s_branch .LBB1_18
.LBB1_12:
                                        ; implicit-def: $vgpr1
                                        ; implicit-def: $vgpr5
.LBB1_13:
	v_mov_b32_e32 v1, 0
	v_mov_b32_e32 v0, v1
	;; [unrolled: 1-line block ×4, first 2 shown]
	s_and_saveexec_b64 s[4:5], s[2:3]
	s_cbranch_execz .LBB1_17
; %bb.14:
	v_mov_b32_e32 v9, 0
	v_lshlrev_b32_e32 v8, 2, v6
	s_mov_b64 s[2:3], 0
	v_mov_b32_e32 v4, v9
	v_mov_b32_e32 v5, v9
	;; [unrolled: 1-line block ×4, first 2 shown]
.LBB1_15:                               ; =>This Inner Loop Header: Depth=1
	v_ashrrev_i32_e32 v7, 31, v6
	v_lshl_add_u64 v[10:11], v[6:7], 2, s[6:7]
	global_load_dword v7, v[10:11], off
	v_lshl_add_u64 v[10:11], v[8:9], 2, s[8:9]
	v_mov_b32_e32 v19, v9
	global_load_dwordx4 v[14:17], v[10:11], off
	v_add_u32_e32 v6, 8, v6
	v_cmp_ge_i32_e32 vcc, v6, v12
	v_add_u32_e32 v8, 32, v8
	s_or_b64 s[2:3], vcc, s[2:3]
	s_waitcnt vmcnt(1)
	v_subrev_u32_e32 v18, s16, v7
	v_lshl_add_u64 v[10:11], v[18:19], 2, s[10:11]
	global_load_dword v10, v[10:11], off
	s_waitcnt vmcnt(0)
	v_pk_fma_f32 v[4:5], v[14:15], v[10:11], v[4:5] op_sel_hi:[1,0,1]
	v_pk_fma_f32 v[0:1], v[16:17], v[10:11], v[0:1] op_sel_hi:[1,0,1]
	s_andn2_b64 exec, exec, s[2:3]
	s_cbranch_execnz .LBB1_15
; %bb.16:
	s_or_b64 exec, exec, s[2:3]
.LBB1_17:
	s_or_b64 exec, exec, s[4:5]
.LBB1_18:
	v_mov_b32_dpp v6, v4 row_shr:1 row_mask:0xf bank_mask:0xf
	v_mov_b32_dpp v7, v5 row_shr:1 row_mask:0xf bank_mask:0xf
	;; [unrolled: 1-line block ×4, first 2 shown]
	v_pk_add_f32 v[4:5], v[4:5], v[6:7]
	v_pk_add_f32 v[0:1], v[0:1], v[8:9]
	v_cmp_eq_u32_e32 vcc, 7, v3
	v_mov_b32_dpp v6, v4 row_shr:2 row_mask:0xf bank_mask:0xf
	v_mov_b32_dpp v7, v5 row_shr:2 row_mask:0xf bank_mask:0xf
	;; [unrolled: 1-line block ×4, first 2 shown]
	v_pk_add_f32 v[4:5], v[4:5], v[6:7]
	v_pk_add_f32 v[0:1], v[0:1], v[8:9]
	s_nop 0
	v_mov_b32_dpp v6, v4 row_shr:4 row_mask:0xf bank_mask:0xe
	v_mov_b32_dpp v7, v5 row_shr:4 row_mask:0xf bank_mask:0xe
	v_mov_b32_dpp v8, v0 row_shr:4 row_mask:0xf bank_mask:0xe
	v_mov_b32_dpp v9, v1 row_shr:4 row_mask:0xf bank_mask:0xe
	s_and_b64 exec, exec, vcc
	s_cbranch_execz .LBB1_22
; %bb.19:
	s_load_dwordx2 s[0:1], s[0:1], 0x38
	v_cmp_eq_f32_e64 s[2:3], s12, 0
	v_pk_add_f32 v[4:5], v[4:5], v[6:7]
	v_pk_add_f32 v[0:1], v[0:1], v[8:9]
	s_and_b64 vcc, exec, s[2:3]
	v_lshlrev_b32_e32 v2, 2, v2
	s_cbranch_vccz .LBB1_23
; %bb.20:
	v_ashrrev_i32_e32 v3, 31, v2
	s_waitcnt lgkmcnt(0)
	v_lshl_add_u64 v[10:11], v[2:3], 2, s[0:1]
	v_pk_mul_f32 v[6:7], s[14:15], v[4:5] op_sel_hi:[0,1]
	v_pk_mul_f32 v[8:9], s[14:15], v[0:1] op_sel_hi:[0,1]
	global_store_dwordx4 v[10:11], v[6:9], off
	s_cbranch_execnz .LBB1_22
.LBB1_21:
	v_ashrrev_i32_e32 v3, 31, v2
	s_waitcnt lgkmcnt(0)
	v_lshl_add_u64 v[10:11], v[2:3], 2, s[0:1]
	global_load_dwordx4 v[6:9], v[10:11], off
	v_pk_mul_f32 v[2:3], s[14:15], v[4:5] op_sel_hi:[0,1]
	v_pk_mul_f32 v[4:5], s[14:15], v[0:1] op_sel_hi:[0,1]
	s_waitcnt vmcnt(0)
	v_pk_fma_f32 v[0:1], s[12:13], v[6:7], v[2:3] op_sel_hi:[0,1,1]
	v_pk_fma_f32 v[2:3], s[12:13], v[8:9], v[4:5] op_sel_hi:[0,1,1]
	global_store_dwordx4 v[10:11], v[0:3], off
.LBB1_22:
	s_endpgm
.LBB1_23:
	s_branch .LBB1_21
	.section	.rodata,"a",@progbits
	.p2align	6, 0x0
	.amdhsa_kernel _ZN9rocsparseL19gebsrmvn_4xn_kernelILj128ELj1ELj8EfEEvi20rocsparse_direction_NS_24const_host_device_scalarIT2_EEPKiS6_PKS3_S8_S4_PS3_21rocsparse_index_base_b
		.amdhsa_group_segment_fixed_size 0
		.amdhsa_private_segment_fixed_size 0
		.amdhsa_kernarg_size 72
		.amdhsa_user_sgpr_count 2
		.amdhsa_user_sgpr_dispatch_ptr 0
		.amdhsa_user_sgpr_queue_ptr 0
		.amdhsa_user_sgpr_kernarg_segment_ptr 1
		.amdhsa_user_sgpr_dispatch_id 0
		.amdhsa_user_sgpr_kernarg_preload_length 0
		.amdhsa_user_sgpr_kernarg_preload_offset 0
		.amdhsa_user_sgpr_private_segment_size 0
		.amdhsa_uses_dynamic_stack 0
		.amdhsa_enable_private_segment 0
		.amdhsa_system_sgpr_workgroup_id_x 1
		.amdhsa_system_sgpr_workgroup_id_y 0
		.amdhsa_system_sgpr_workgroup_id_z 0
		.amdhsa_system_sgpr_workgroup_info 0
		.amdhsa_system_vgpr_workitem_id 0
		.amdhsa_next_free_vgpr 20
		.amdhsa_next_free_sgpr 20
		.amdhsa_accum_offset 20
		.amdhsa_reserve_vcc 1
		.amdhsa_float_round_mode_32 0
		.amdhsa_float_round_mode_16_64 0
		.amdhsa_float_denorm_mode_32 3
		.amdhsa_float_denorm_mode_16_64 3
		.amdhsa_dx10_clamp 1
		.amdhsa_ieee_mode 1
		.amdhsa_fp16_overflow 0
		.amdhsa_tg_split 0
		.amdhsa_exception_fp_ieee_invalid_op 0
		.amdhsa_exception_fp_denorm_src 0
		.amdhsa_exception_fp_ieee_div_zero 0
		.amdhsa_exception_fp_ieee_overflow 0
		.amdhsa_exception_fp_ieee_underflow 0
		.amdhsa_exception_fp_ieee_inexact 0
		.amdhsa_exception_int_div_zero 0
	.end_amdhsa_kernel
	.section	.text._ZN9rocsparseL19gebsrmvn_4xn_kernelILj128ELj1ELj8EfEEvi20rocsparse_direction_NS_24const_host_device_scalarIT2_EEPKiS6_PKS3_S8_S4_PS3_21rocsparse_index_base_b,"axG",@progbits,_ZN9rocsparseL19gebsrmvn_4xn_kernelILj128ELj1ELj8EfEEvi20rocsparse_direction_NS_24const_host_device_scalarIT2_EEPKiS6_PKS3_S8_S4_PS3_21rocsparse_index_base_b,comdat
.Lfunc_end1:
	.size	_ZN9rocsparseL19gebsrmvn_4xn_kernelILj128ELj1ELj8EfEEvi20rocsparse_direction_NS_24const_host_device_scalarIT2_EEPKiS6_PKS3_S8_S4_PS3_21rocsparse_index_base_b, .Lfunc_end1-_ZN9rocsparseL19gebsrmvn_4xn_kernelILj128ELj1ELj8EfEEvi20rocsparse_direction_NS_24const_host_device_scalarIT2_EEPKiS6_PKS3_S8_S4_PS3_21rocsparse_index_base_b
                                        ; -- End function
	.set _ZN9rocsparseL19gebsrmvn_4xn_kernelILj128ELj1ELj8EfEEvi20rocsparse_direction_NS_24const_host_device_scalarIT2_EEPKiS6_PKS3_S8_S4_PS3_21rocsparse_index_base_b.num_vgpr, 20
	.set _ZN9rocsparseL19gebsrmvn_4xn_kernelILj128ELj1ELj8EfEEvi20rocsparse_direction_NS_24const_host_device_scalarIT2_EEPKiS6_PKS3_S8_S4_PS3_21rocsparse_index_base_b.num_agpr, 0
	.set _ZN9rocsparseL19gebsrmvn_4xn_kernelILj128ELj1ELj8EfEEvi20rocsparse_direction_NS_24const_host_device_scalarIT2_EEPKiS6_PKS3_S8_S4_PS3_21rocsparse_index_base_b.numbered_sgpr, 20
	.set _ZN9rocsparseL19gebsrmvn_4xn_kernelILj128ELj1ELj8EfEEvi20rocsparse_direction_NS_24const_host_device_scalarIT2_EEPKiS6_PKS3_S8_S4_PS3_21rocsparse_index_base_b.num_named_barrier, 0
	.set _ZN9rocsparseL19gebsrmvn_4xn_kernelILj128ELj1ELj8EfEEvi20rocsparse_direction_NS_24const_host_device_scalarIT2_EEPKiS6_PKS3_S8_S4_PS3_21rocsparse_index_base_b.private_seg_size, 0
	.set _ZN9rocsparseL19gebsrmvn_4xn_kernelILj128ELj1ELj8EfEEvi20rocsparse_direction_NS_24const_host_device_scalarIT2_EEPKiS6_PKS3_S8_S4_PS3_21rocsparse_index_base_b.uses_vcc, 1
	.set _ZN9rocsparseL19gebsrmvn_4xn_kernelILj128ELj1ELj8EfEEvi20rocsparse_direction_NS_24const_host_device_scalarIT2_EEPKiS6_PKS3_S8_S4_PS3_21rocsparse_index_base_b.uses_flat_scratch, 0
	.set _ZN9rocsparseL19gebsrmvn_4xn_kernelILj128ELj1ELj8EfEEvi20rocsparse_direction_NS_24const_host_device_scalarIT2_EEPKiS6_PKS3_S8_S4_PS3_21rocsparse_index_base_b.has_dyn_sized_stack, 0
	.set _ZN9rocsparseL19gebsrmvn_4xn_kernelILj128ELj1ELj8EfEEvi20rocsparse_direction_NS_24const_host_device_scalarIT2_EEPKiS6_PKS3_S8_S4_PS3_21rocsparse_index_base_b.has_recursion, 0
	.set _ZN9rocsparseL19gebsrmvn_4xn_kernelILj128ELj1ELj8EfEEvi20rocsparse_direction_NS_24const_host_device_scalarIT2_EEPKiS6_PKS3_S8_S4_PS3_21rocsparse_index_base_b.has_indirect_call, 0
	.section	.AMDGPU.csdata,"",@progbits
; Kernel info:
; codeLenInByte = 864
; TotalNumSgprs: 26
; NumVgprs: 20
; NumAgprs: 0
; TotalNumVgprs: 20
; ScratchSize: 0
; MemoryBound: 0
; FloatMode: 240
; IeeeMode: 1
; LDSByteSize: 0 bytes/workgroup (compile time only)
; SGPRBlocks: 3
; VGPRBlocks: 2
; NumSGPRsForWavesPerEU: 26
; NumVGPRsForWavesPerEU: 20
; AccumOffset: 20
; Occupancy: 8
; WaveLimiterHint : 1
; COMPUTE_PGM_RSRC2:SCRATCH_EN: 0
; COMPUTE_PGM_RSRC2:USER_SGPR: 2
; COMPUTE_PGM_RSRC2:TRAP_HANDLER: 0
; COMPUTE_PGM_RSRC2:TGID_X_EN: 1
; COMPUTE_PGM_RSRC2:TGID_Y_EN: 0
; COMPUTE_PGM_RSRC2:TGID_Z_EN: 0
; COMPUTE_PGM_RSRC2:TIDIG_COMP_CNT: 0
; COMPUTE_PGM_RSRC3_GFX90A:ACCUM_OFFSET: 4
; COMPUTE_PGM_RSRC3_GFX90A:TG_SPLIT: 0
	.section	.text._ZN9rocsparseL19gebsrmvn_4xn_kernelILj128ELj1ELj16EfEEvi20rocsparse_direction_NS_24const_host_device_scalarIT2_EEPKiS6_PKS3_S8_S4_PS3_21rocsparse_index_base_b,"axG",@progbits,_ZN9rocsparseL19gebsrmvn_4xn_kernelILj128ELj1ELj16EfEEvi20rocsparse_direction_NS_24const_host_device_scalarIT2_EEPKiS6_PKS3_S8_S4_PS3_21rocsparse_index_base_b,comdat
	.globl	_ZN9rocsparseL19gebsrmvn_4xn_kernelILj128ELj1ELj16EfEEvi20rocsparse_direction_NS_24const_host_device_scalarIT2_EEPKiS6_PKS3_S8_S4_PS3_21rocsparse_index_base_b ; -- Begin function _ZN9rocsparseL19gebsrmvn_4xn_kernelILj128ELj1ELj16EfEEvi20rocsparse_direction_NS_24const_host_device_scalarIT2_EEPKiS6_PKS3_S8_S4_PS3_21rocsparse_index_base_b
	.p2align	8
	.type	_ZN9rocsparseL19gebsrmvn_4xn_kernelILj128ELj1ELj16EfEEvi20rocsparse_direction_NS_24const_host_device_scalarIT2_EEPKiS6_PKS3_S8_S4_PS3_21rocsparse_index_base_b,@function
_ZN9rocsparseL19gebsrmvn_4xn_kernelILj128ELj1ELj16EfEEvi20rocsparse_direction_NS_24const_host_device_scalarIT2_EEPKiS6_PKS3_S8_S4_PS3_21rocsparse_index_base_b: ; @_ZN9rocsparseL19gebsrmvn_4xn_kernelILj128ELj1ELj16EfEEvi20rocsparse_direction_NS_24const_host_device_scalarIT2_EEPKiS6_PKS3_S8_S4_PS3_21rocsparse_index_base_b
; %bb.0:
	s_load_dwordx2 s[16:17], s[0:1], 0x40
	s_load_dwordx2 s[14:15], s[0:1], 0x8
	;; [unrolled: 1-line block ×3, first 2 shown]
	s_waitcnt lgkmcnt(0)
	s_bitcmp1_b32 s17, 0
	s_cselect_b64 s[6:7], -1, 0
	s_xor_b64 s[4:5], s[6:7], -1
	s_and_b64 vcc, exec, s[6:7]
	s_cbranch_vccnz .LBB2_2
; %bb.1:
	s_load_dword s14, s[14:15], 0x0
.LBB2_2:
	s_andn2_b64 vcc, exec, s[4:5]
	s_cbranch_vccnz .LBB2_4
; %bb.3:
	s_load_dword s12, s[12:13], 0x0
.LBB2_4:
	s_waitcnt lgkmcnt(0)
	v_cmp_eq_f32_e64 s[4:5], s14, 0
	v_cmp_eq_f32_e64 s[6:7], s12, 1.0
	s_and_b64 s[4:5], s[4:5], s[6:7]
	s_and_b64 vcc, exec, s[4:5]
	s_cbranch_vccnz .LBB2_22
; %bb.5:
	s_load_dwordx2 s[18:19], s[0:1], 0x0
	v_lshrrev_b32_e32 v1, 4, v0
	v_lshl_or_b32 v2, s2, 3, v1
	s_waitcnt lgkmcnt(0)
	v_cmp_gt_i32_e32 vcc, s18, v2
	s_and_saveexec_b64 s[2:3], vcc
	s_cbranch_execz .LBB2_22
; %bb.6:
	s_load_dwordx8 s[4:11], s[0:1], 0x10
	v_ashrrev_i32_e32 v3, 31, v2
	s_cmp_lg_u32 s19, 0
	s_waitcnt lgkmcnt(0)
	v_lshl_add_u64 v[4:5], v[2:3], 2, s[4:5]
	global_load_dwordx2 v[4:5], v[4:5], off
	v_and_b32_e32 v3, 15, v0
	s_waitcnt vmcnt(0)
	v_subrev_u32_e32 v0, s16, v4
	v_subrev_u32_e32 v12, s16, v5
	v_add_u32_e32 v6, v0, v3
	v_cmp_lt_i32_e64 s[2:3], v6, v12
	s_cbranch_scc0 .LBB2_12
; %bb.7:
	v_mov_b32_e32 v1, 0
	v_mov_b32_e32 v0, v1
	;; [unrolled: 1-line block ×4, first 2 shown]
	s_and_saveexec_b64 s[4:5], s[2:3]
	s_cbranch_execz .LBB2_11
; %bb.8:
	v_mov_b32_e32 v9, 0
	v_lshlrev_b32_e32 v8, 2, v6
	s_mov_b64 s[18:19], 0
	v_mov_b32_e32 v10, v6
	v_mov_b32_e32 v4, v9
	;; [unrolled: 1-line block ×5, first 2 shown]
.LBB2_9:                                ; =>This Inner Loop Header: Depth=1
	v_ashrrev_i32_e32 v11, 31, v10
	v_lshl_add_u64 v[14:15], v[10:11], 2, s[6:7]
	global_load_dword v7, v[14:15], off
	v_mov_b32_e32 v19, v9
	v_lshl_add_u64 v[14:15], v[8:9], 2, s[8:9]
	global_load_dwordx4 v[14:17], v[14:15], off
	v_add_u32_e32 v10, 16, v10
	v_cmp_ge_i32_e32 vcc, v10, v12
	v_add_u32_e32 v8, 64, v8
	s_or_b64 s[18:19], vcc, s[18:19]
	s_waitcnt vmcnt(1)
	v_subrev_u32_e32 v18, s16, v7
	v_lshl_add_u64 v[18:19], v[18:19], 2, s[10:11]
	global_load_dword v18, v[18:19], off
	s_waitcnt vmcnt(0)
	v_pk_fma_f32 v[4:5], v[14:15], v[18:19], v[4:5] op_sel_hi:[1,0,1]
	v_pk_fma_f32 v[0:1], v[16:17], v[18:19], v[0:1] op_sel_hi:[1,0,1]
	s_andn2_b64 exec, exec, s[18:19]
	s_cbranch_execnz .LBB2_9
; %bb.10:
	s_or_b64 exec, exec, s[18:19]
.LBB2_11:
	s_or_b64 exec, exec, s[4:5]
	s_cbranch_execz .LBB2_13
	s_branch .LBB2_18
.LBB2_12:
                                        ; implicit-def: $vgpr1
                                        ; implicit-def: $vgpr5
.LBB2_13:
	v_mov_b32_e32 v1, 0
	v_mov_b32_e32 v0, v1
	v_mov_b32_e32 v5, v1
	v_mov_b32_e32 v4, v1
	s_and_saveexec_b64 s[4:5], s[2:3]
	s_cbranch_execz .LBB2_17
; %bb.14:
	v_mov_b32_e32 v9, 0
	v_lshlrev_b32_e32 v8, 2, v6
	s_mov_b64 s[2:3], 0
	v_mov_b32_e32 v4, v9
	v_mov_b32_e32 v5, v9
	;; [unrolled: 1-line block ×4, first 2 shown]
.LBB2_15:                               ; =>This Inner Loop Header: Depth=1
	v_ashrrev_i32_e32 v7, 31, v6
	v_lshl_add_u64 v[10:11], v[6:7], 2, s[6:7]
	global_load_dword v7, v[10:11], off
	v_lshl_add_u64 v[10:11], v[8:9], 2, s[8:9]
	v_mov_b32_e32 v19, v9
	global_load_dwordx4 v[14:17], v[10:11], off
	v_add_u32_e32 v6, 16, v6
	v_cmp_ge_i32_e32 vcc, v6, v12
	v_add_u32_e32 v8, 64, v8
	s_or_b64 s[2:3], vcc, s[2:3]
	s_waitcnt vmcnt(1)
	v_subrev_u32_e32 v18, s16, v7
	v_lshl_add_u64 v[10:11], v[18:19], 2, s[10:11]
	global_load_dword v10, v[10:11], off
	s_waitcnt vmcnt(0)
	v_pk_fma_f32 v[4:5], v[14:15], v[10:11], v[4:5] op_sel_hi:[1,0,1]
	v_pk_fma_f32 v[0:1], v[16:17], v[10:11], v[0:1] op_sel_hi:[1,0,1]
	s_andn2_b64 exec, exec, s[2:3]
	s_cbranch_execnz .LBB2_15
; %bb.16:
	s_or_b64 exec, exec, s[2:3]
.LBB2_17:
	s_or_b64 exec, exec, s[4:5]
.LBB2_18:
	v_mov_b32_dpp v6, v4 row_shr:1 row_mask:0xf bank_mask:0xf
	v_mov_b32_dpp v7, v5 row_shr:1 row_mask:0xf bank_mask:0xf
	;; [unrolled: 1-line block ×4, first 2 shown]
	v_pk_add_f32 v[4:5], v[4:5], v[6:7]
	v_pk_add_f32 v[0:1], v[0:1], v[8:9]
	v_cmp_eq_u32_e32 vcc, 15, v3
	v_mov_b32_dpp v6, v4 row_shr:2 row_mask:0xf bank_mask:0xf
	v_mov_b32_dpp v7, v5 row_shr:2 row_mask:0xf bank_mask:0xf
	;; [unrolled: 1-line block ×4, first 2 shown]
	v_pk_add_f32 v[4:5], v[4:5], v[6:7]
	v_pk_add_f32 v[0:1], v[0:1], v[8:9]
	s_nop 0
	v_mov_b32_dpp v6, v4 row_shr:4 row_mask:0xf bank_mask:0xe
	v_mov_b32_dpp v7, v5 row_shr:4 row_mask:0xf bank_mask:0xe
	;; [unrolled: 1-line block ×4, first 2 shown]
	v_pk_add_f32 v[4:5], v[4:5], v[6:7]
	v_pk_add_f32 v[0:1], v[0:1], v[8:9]
	s_nop 0
	v_mov_b32_dpp v6, v4 row_shr:8 row_mask:0xf bank_mask:0xc
	v_mov_b32_dpp v7, v5 row_shr:8 row_mask:0xf bank_mask:0xc
	;; [unrolled: 1-line block ×4, first 2 shown]
	s_and_b64 exec, exec, vcc
	s_cbranch_execz .LBB2_22
; %bb.19:
	s_load_dwordx2 s[0:1], s[0:1], 0x38
	v_cmp_eq_f32_e64 s[2:3], s12, 0
	v_pk_add_f32 v[4:5], v[4:5], v[6:7]
	v_pk_add_f32 v[0:1], v[0:1], v[8:9]
	s_and_b64 vcc, exec, s[2:3]
	v_lshlrev_b32_e32 v2, 2, v2
	s_cbranch_vccz .LBB2_23
; %bb.20:
	v_ashrrev_i32_e32 v3, 31, v2
	s_waitcnt lgkmcnt(0)
	v_lshl_add_u64 v[10:11], v[2:3], 2, s[0:1]
	v_pk_mul_f32 v[6:7], s[14:15], v[4:5] op_sel_hi:[0,1]
	v_pk_mul_f32 v[8:9], s[14:15], v[0:1] op_sel_hi:[0,1]
	global_store_dwordx4 v[10:11], v[6:9], off
	s_cbranch_execnz .LBB2_22
.LBB2_21:
	v_ashrrev_i32_e32 v3, 31, v2
	s_waitcnt lgkmcnt(0)
	v_lshl_add_u64 v[10:11], v[2:3], 2, s[0:1]
	global_load_dwordx4 v[6:9], v[10:11], off
	v_pk_mul_f32 v[2:3], s[14:15], v[4:5] op_sel_hi:[0,1]
	v_pk_mul_f32 v[4:5], s[14:15], v[0:1] op_sel_hi:[0,1]
	s_waitcnt vmcnt(0)
	v_pk_fma_f32 v[0:1], s[12:13], v[6:7], v[2:3] op_sel_hi:[0,1,1]
	v_pk_fma_f32 v[2:3], s[12:13], v[8:9], v[4:5] op_sel_hi:[0,1,1]
	global_store_dwordx4 v[10:11], v[0:3], off
.LBB2_22:
	s_endpgm
.LBB2_23:
	s_branch .LBB2_21
	.section	.rodata,"a",@progbits
	.p2align	6, 0x0
	.amdhsa_kernel _ZN9rocsparseL19gebsrmvn_4xn_kernelILj128ELj1ELj16EfEEvi20rocsparse_direction_NS_24const_host_device_scalarIT2_EEPKiS6_PKS3_S8_S4_PS3_21rocsparse_index_base_b
		.amdhsa_group_segment_fixed_size 0
		.amdhsa_private_segment_fixed_size 0
		.amdhsa_kernarg_size 72
		.amdhsa_user_sgpr_count 2
		.amdhsa_user_sgpr_dispatch_ptr 0
		.amdhsa_user_sgpr_queue_ptr 0
		.amdhsa_user_sgpr_kernarg_segment_ptr 1
		.amdhsa_user_sgpr_dispatch_id 0
		.amdhsa_user_sgpr_kernarg_preload_length 0
		.amdhsa_user_sgpr_kernarg_preload_offset 0
		.amdhsa_user_sgpr_private_segment_size 0
		.amdhsa_uses_dynamic_stack 0
		.amdhsa_enable_private_segment 0
		.amdhsa_system_sgpr_workgroup_id_x 1
		.amdhsa_system_sgpr_workgroup_id_y 0
		.amdhsa_system_sgpr_workgroup_id_z 0
		.amdhsa_system_sgpr_workgroup_info 0
		.amdhsa_system_vgpr_workitem_id 0
		.amdhsa_next_free_vgpr 20
		.amdhsa_next_free_sgpr 20
		.amdhsa_accum_offset 20
		.amdhsa_reserve_vcc 1
		.amdhsa_float_round_mode_32 0
		.amdhsa_float_round_mode_16_64 0
		.amdhsa_float_denorm_mode_32 3
		.amdhsa_float_denorm_mode_16_64 3
		.amdhsa_dx10_clamp 1
		.amdhsa_ieee_mode 1
		.amdhsa_fp16_overflow 0
		.amdhsa_tg_split 0
		.amdhsa_exception_fp_ieee_invalid_op 0
		.amdhsa_exception_fp_denorm_src 0
		.amdhsa_exception_fp_ieee_div_zero 0
		.amdhsa_exception_fp_ieee_overflow 0
		.amdhsa_exception_fp_ieee_underflow 0
		.amdhsa_exception_fp_ieee_inexact 0
		.amdhsa_exception_int_div_zero 0
	.end_amdhsa_kernel
	.section	.text._ZN9rocsparseL19gebsrmvn_4xn_kernelILj128ELj1ELj16EfEEvi20rocsparse_direction_NS_24const_host_device_scalarIT2_EEPKiS6_PKS3_S8_S4_PS3_21rocsparse_index_base_b,"axG",@progbits,_ZN9rocsparseL19gebsrmvn_4xn_kernelILj128ELj1ELj16EfEEvi20rocsparse_direction_NS_24const_host_device_scalarIT2_EEPKiS6_PKS3_S8_S4_PS3_21rocsparse_index_base_b,comdat
.Lfunc_end2:
	.size	_ZN9rocsparseL19gebsrmvn_4xn_kernelILj128ELj1ELj16EfEEvi20rocsparse_direction_NS_24const_host_device_scalarIT2_EEPKiS6_PKS3_S8_S4_PS3_21rocsparse_index_base_b, .Lfunc_end2-_ZN9rocsparseL19gebsrmvn_4xn_kernelILj128ELj1ELj16EfEEvi20rocsparse_direction_NS_24const_host_device_scalarIT2_EEPKiS6_PKS3_S8_S4_PS3_21rocsparse_index_base_b
                                        ; -- End function
	.set _ZN9rocsparseL19gebsrmvn_4xn_kernelILj128ELj1ELj16EfEEvi20rocsparse_direction_NS_24const_host_device_scalarIT2_EEPKiS6_PKS3_S8_S4_PS3_21rocsparse_index_base_b.num_vgpr, 20
	.set _ZN9rocsparseL19gebsrmvn_4xn_kernelILj128ELj1ELj16EfEEvi20rocsparse_direction_NS_24const_host_device_scalarIT2_EEPKiS6_PKS3_S8_S4_PS3_21rocsparse_index_base_b.num_agpr, 0
	.set _ZN9rocsparseL19gebsrmvn_4xn_kernelILj128ELj1ELj16EfEEvi20rocsparse_direction_NS_24const_host_device_scalarIT2_EEPKiS6_PKS3_S8_S4_PS3_21rocsparse_index_base_b.numbered_sgpr, 20
	.set _ZN9rocsparseL19gebsrmvn_4xn_kernelILj128ELj1ELj16EfEEvi20rocsparse_direction_NS_24const_host_device_scalarIT2_EEPKiS6_PKS3_S8_S4_PS3_21rocsparse_index_base_b.num_named_barrier, 0
	.set _ZN9rocsparseL19gebsrmvn_4xn_kernelILj128ELj1ELj16EfEEvi20rocsparse_direction_NS_24const_host_device_scalarIT2_EEPKiS6_PKS3_S8_S4_PS3_21rocsparse_index_base_b.private_seg_size, 0
	.set _ZN9rocsparseL19gebsrmvn_4xn_kernelILj128ELj1ELj16EfEEvi20rocsparse_direction_NS_24const_host_device_scalarIT2_EEPKiS6_PKS3_S8_S4_PS3_21rocsparse_index_base_b.uses_vcc, 1
	.set _ZN9rocsparseL19gebsrmvn_4xn_kernelILj128ELj1ELj16EfEEvi20rocsparse_direction_NS_24const_host_device_scalarIT2_EEPKiS6_PKS3_S8_S4_PS3_21rocsparse_index_base_b.uses_flat_scratch, 0
	.set _ZN9rocsparseL19gebsrmvn_4xn_kernelILj128ELj1ELj16EfEEvi20rocsparse_direction_NS_24const_host_device_scalarIT2_EEPKiS6_PKS3_S8_S4_PS3_21rocsparse_index_base_b.has_dyn_sized_stack, 0
	.set _ZN9rocsparseL19gebsrmvn_4xn_kernelILj128ELj1ELj16EfEEvi20rocsparse_direction_NS_24const_host_device_scalarIT2_EEPKiS6_PKS3_S8_S4_PS3_21rocsparse_index_base_b.has_recursion, 0
	.set _ZN9rocsparseL19gebsrmvn_4xn_kernelILj128ELj1ELj16EfEEvi20rocsparse_direction_NS_24const_host_device_scalarIT2_EEPKiS6_PKS3_S8_S4_PS3_21rocsparse_index_base_b.has_indirect_call, 0
	.section	.AMDGPU.csdata,"",@progbits
; Kernel info:
; codeLenInByte = 916
; TotalNumSgprs: 26
; NumVgprs: 20
; NumAgprs: 0
; TotalNumVgprs: 20
; ScratchSize: 0
; MemoryBound: 0
; FloatMode: 240
; IeeeMode: 1
; LDSByteSize: 0 bytes/workgroup (compile time only)
; SGPRBlocks: 3
; VGPRBlocks: 2
; NumSGPRsForWavesPerEU: 26
; NumVGPRsForWavesPerEU: 20
; AccumOffset: 20
; Occupancy: 8
; WaveLimiterHint : 1
; COMPUTE_PGM_RSRC2:SCRATCH_EN: 0
; COMPUTE_PGM_RSRC2:USER_SGPR: 2
; COMPUTE_PGM_RSRC2:TRAP_HANDLER: 0
; COMPUTE_PGM_RSRC2:TGID_X_EN: 1
; COMPUTE_PGM_RSRC2:TGID_Y_EN: 0
; COMPUTE_PGM_RSRC2:TGID_Z_EN: 0
; COMPUTE_PGM_RSRC2:TIDIG_COMP_CNT: 0
; COMPUTE_PGM_RSRC3_GFX90A:ACCUM_OFFSET: 4
; COMPUTE_PGM_RSRC3_GFX90A:TG_SPLIT: 0
	.section	.text._ZN9rocsparseL19gebsrmvn_4xn_kernelILj128ELj1ELj32EfEEvi20rocsparse_direction_NS_24const_host_device_scalarIT2_EEPKiS6_PKS3_S8_S4_PS3_21rocsparse_index_base_b,"axG",@progbits,_ZN9rocsparseL19gebsrmvn_4xn_kernelILj128ELj1ELj32EfEEvi20rocsparse_direction_NS_24const_host_device_scalarIT2_EEPKiS6_PKS3_S8_S4_PS3_21rocsparse_index_base_b,comdat
	.globl	_ZN9rocsparseL19gebsrmvn_4xn_kernelILj128ELj1ELj32EfEEvi20rocsparse_direction_NS_24const_host_device_scalarIT2_EEPKiS6_PKS3_S8_S4_PS3_21rocsparse_index_base_b ; -- Begin function _ZN9rocsparseL19gebsrmvn_4xn_kernelILj128ELj1ELj32EfEEvi20rocsparse_direction_NS_24const_host_device_scalarIT2_EEPKiS6_PKS3_S8_S4_PS3_21rocsparse_index_base_b
	.p2align	8
	.type	_ZN9rocsparseL19gebsrmvn_4xn_kernelILj128ELj1ELj32EfEEvi20rocsparse_direction_NS_24const_host_device_scalarIT2_EEPKiS6_PKS3_S8_S4_PS3_21rocsparse_index_base_b,@function
_ZN9rocsparseL19gebsrmvn_4xn_kernelILj128ELj1ELj32EfEEvi20rocsparse_direction_NS_24const_host_device_scalarIT2_EEPKiS6_PKS3_S8_S4_PS3_21rocsparse_index_base_b: ; @_ZN9rocsparseL19gebsrmvn_4xn_kernelILj128ELj1ELj32EfEEvi20rocsparse_direction_NS_24const_host_device_scalarIT2_EEPKiS6_PKS3_S8_S4_PS3_21rocsparse_index_base_b
; %bb.0:
	s_load_dwordx2 s[16:17], s[0:1], 0x40
	s_load_dwordx2 s[14:15], s[0:1], 0x8
	;; [unrolled: 1-line block ×3, first 2 shown]
	s_waitcnt lgkmcnt(0)
	s_bitcmp1_b32 s17, 0
	s_cselect_b64 s[6:7], -1, 0
	s_xor_b64 s[4:5], s[6:7], -1
	s_and_b64 vcc, exec, s[6:7]
	s_cbranch_vccnz .LBB3_2
; %bb.1:
	s_load_dword s14, s[14:15], 0x0
.LBB3_2:
	s_andn2_b64 vcc, exec, s[4:5]
	s_cbranch_vccnz .LBB3_4
; %bb.3:
	s_load_dword s12, s[12:13], 0x0
.LBB3_4:
	s_waitcnt lgkmcnt(0)
	v_cmp_eq_f32_e64 s[4:5], s14, 0
	v_cmp_eq_f32_e64 s[6:7], s12, 1.0
	s_and_b64 s[4:5], s[4:5], s[6:7]
	s_and_b64 vcc, exec, s[4:5]
	s_cbranch_vccnz .LBB3_22
; %bb.5:
	s_load_dwordx2 s[18:19], s[0:1], 0x0
	v_lshrrev_b32_e32 v1, 5, v0
	v_lshl_or_b32 v2, s2, 2, v1
	s_waitcnt lgkmcnt(0)
	v_cmp_gt_i32_e32 vcc, s18, v2
	s_and_saveexec_b64 s[2:3], vcc
	s_cbranch_execz .LBB3_22
; %bb.6:
	s_load_dwordx8 s[4:11], s[0:1], 0x10
	v_ashrrev_i32_e32 v3, 31, v2
	s_cmp_lg_u32 s19, 0
	s_waitcnt lgkmcnt(0)
	v_lshl_add_u64 v[4:5], v[2:3], 2, s[4:5]
	global_load_dwordx2 v[4:5], v[4:5], off
	v_and_b32_e32 v3, 31, v0
	s_waitcnt vmcnt(0)
	v_subrev_u32_e32 v0, s16, v4
	v_subrev_u32_e32 v12, s16, v5
	v_add_u32_e32 v6, v0, v3
	v_cmp_lt_i32_e64 s[2:3], v6, v12
	s_cbranch_scc0 .LBB3_12
; %bb.7:
	v_mov_b32_e32 v1, 0
	v_mov_b32_e32 v0, v1
	;; [unrolled: 1-line block ×4, first 2 shown]
	s_and_saveexec_b64 s[4:5], s[2:3]
	s_cbranch_execz .LBB3_11
; %bb.8:
	v_mov_b32_e32 v9, 0
	v_lshlrev_b32_e32 v8, 2, v6
	s_mov_b64 s[18:19], 0
	v_mov_b32_e32 v10, v6
	v_mov_b32_e32 v4, v9
	v_mov_b32_e32 v5, v9
	v_mov_b32_e32 v0, v9
	v_mov_b32_e32 v1, v9
.LBB3_9:                                ; =>This Inner Loop Header: Depth=1
	v_ashrrev_i32_e32 v11, 31, v10
	v_lshl_add_u64 v[14:15], v[10:11], 2, s[6:7]
	global_load_dword v7, v[14:15], off
	v_mov_b32_e32 v19, v9
	v_lshl_add_u64 v[14:15], v[8:9], 2, s[8:9]
	global_load_dwordx4 v[14:17], v[14:15], off
	v_add_u32_e32 v10, 32, v10
	v_cmp_ge_i32_e32 vcc, v10, v12
	v_add_u32_e32 v8, 0x80, v8
	s_or_b64 s[18:19], vcc, s[18:19]
	s_waitcnt vmcnt(1)
	v_subrev_u32_e32 v18, s16, v7
	v_lshl_add_u64 v[18:19], v[18:19], 2, s[10:11]
	global_load_dword v18, v[18:19], off
	s_waitcnt vmcnt(0)
	v_pk_fma_f32 v[4:5], v[14:15], v[18:19], v[4:5] op_sel_hi:[1,0,1]
	v_pk_fma_f32 v[0:1], v[16:17], v[18:19], v[0:1] op_sel_hi:[1,0,1]
	s_andn2_b64 exec, exec, s[18:19]
	s_cbranch_execnz .LBB3_9
; %bb.10:
	s_or_b64 exec, exec, s[18:19]
.LBB3_11:
	s_or_b64 exec, exec, s[4:5]
	s_cbranch_execz .LBB3_13
	s_branch .LBB3_18
.LBB3_12:
                                        ; implicit-def: $vgpr1
                                        ; implicit-def: $vgpr5
.LBB3_13:
	v_mov_b32_e32 v1, 0
	v_mov_b32_e32 v0, v1
	v_mov_b32_e32 v5, v1
	v_mov_b32_e32 v4, v1
	s_and_saveexec_b64 s[4:5], s[2:3]
	s_cbranch_execz .LBB3_17
; %bb.14:
	v_mov_b32_e32 v9, 0
	v_lshlrev_b32_e32 v8, 2, v6
	s_mov_b64 s[2:3], 0
	v_mov_b32_e32 v4, v9
	v_mov_b32_e32 v5, v9
	v_mov_b32_e32 v0, v9
	v_mov_b32_e32 v1, v9
.LBB3_15:                               ; =>This Inner Loop Header: Depth=1
	v_ashrrev_i32_e32 v7, 31, v6
	v_lshl_add_u64 v[10:11], v[6:7], 2, s[6:7]
	global_load_dword v7, v[10:11], off
	v_lshl_add_u64 v[10:11], v[8:9], 2, s[8:9]
	v_mov_b32_e32 v19, v9
	global_load_dwordx4 v[14:17], v[10:11], off
	v_add_u32_e32 v6, 32, v6
	v_cmp_ge_i32_e32 vcc, v6, v12
	v_add_u32_e32 v8, 0x80, v8
	s_or_b64 s[2:3], vcc, s[2:3]
	s_waitcnt vmcnt(1)
	v_subrev_u32_e32 v18, s16, v7
	v_lshl_add_u64 v[10:11], v[18:19], 2, s[10:11]
	global_load_dword v10, v[10:11], off
	s_waitcnt vmcnt(0)
	v_pk_fma_f32 v[4:5], v[14:15], v[10:11], v[4:5] op_sel_hi:[1,0,1]
	v_pk_fma_f32 v[0:1], v[16:17], v[10:11], v[0:1] op_sel_hi:[1,0,1]
	s_andn2_b64 exec, exec, s[2:3]
	s_cbranch_execnz .LBB3_15
; %bb.16:
	s_or_b64 exec, exec, s[2:3]
.LBB3_17:
	s_or_b64 exec, exec, s[4:5]
.LBB3_18:
	v_mov_b32_dpp v6, v4 row_shr:1 row_mask:0xf bank_mask:0xf
	v_mov_b32_dpp v7, v5 row_shr:1 row_mask:0xf bank_mask:0xf
	;; [unrolled: 1-line block ×4, first 2 shown]
	v_pk_add_f32 v[4:5], v[4:5], v[6:7]
	v_pk_add_f32 v[0:1], v[0:1], v[8:9]
	v_cmp_eq_u32_e32 vcc, 31, v3
	v_mov_b32_dpp v6, v4 row_shr:2 row_mask:0xf bank_mask:0xf
	v_mov_b32_dpp v7, v5 row_shr:2 row_mask:0xf bank_mask:0xf
	v_mov_b32_dpp v8, v0 row_shr:2 row_mask:0xf bank_mask:0xf
	v_mov_b32_dpp v9, v1 row_shr:2 row_mask:0xf bank_mask:0xf
	v_pk_add_f32 v[4:5], v[4:5], v[6:7]
	v_pk_add_f32 v[0:1], v[0:1], v[8:9]
	s_nop 0
	v_mov_b32_dpp v6, v4 row_shr:4 row_mask:0xf bank_mask:0xe
	v_mov_b32_dpp v7, v5 row_shr:4 row_mask:0xf bank_mask:0xe
	v_mov_b32_dpp v8, v0 row_shr:4 row_mask:0xf bank_mask:0xe
	v_mov_b32_dpp v9, v1 row_shr:4 row_mask:0xf bank_mask:0xe
	v_pk_add_f32 v[4:5], v[4:5], v[6:7]
	v_pk_add_f32 v[0:1], v[0:1], v[8:9]
	s_nop 0
	;; [unrolled: 7-line block ×3, first 2 shown]
	v_mov_b32_dpp v6, v4 row_bcast:15 row_mask:0xa bank_mask:0xf
	v_mov_b32_dpp v7, v5 row_bcast:15 row_mask:0xa bank_mask:0xf
	;; [unrolled: 1-line block ×4, first 2 shown]
	s_and_b64 exec, exec, vcc
	s_cbranch_execz .LBB3_22
; %bb.19:
	s_load_dwordx2 s[0:1], s[0:1], 0x38
	v_cmp_eq_f32_e64 s[2:3], s12, 0
	v_pk_add_f32 v[4:5], v[4:5], v[6:7]
	v_pk_add_f32 v[0:1], v[0:1], v[8:9]
	s_and_b64 vcc, exec, s[2:3]
	v_lshlrev_b32_e32 v2, 2, v2
	s_cbranch_vccz .LBB3_23
; %bb.20:
	v_ashrrev_i32_e32 v3, 31, v2
	s_waitcnt lgkmcnt(0)
	v_lshl_add_u64 v[10:11], v[2:3], 2, s[0:1]
	v_pk_mul_f32 v[6:7], s[14:15], v[4:5] op_sel_hi:[0,1]
	v_pk_mul_f32 v[8:9], s[14:15], v[0:1] op_sel_hi:[0,1]
	global_store_dwordx4 v[10:11], v[6:9], off
	s_cbranch_execnz .LBB3_22
.LBB3_21:
	v_ashrrev_i32_e32 v3, 31, v2
	s_waitcnt lgkmcnt(0)
	v_lshl_add_u64 v[10:11], v[2:3], 2, s[0:1]
	global_load_dwordx4 v[6:9], v[10:11], off
	v_pk_mul_f32 v[2:3], s[14:15], v[4:5] op_sel_hi:[0,1]
	v_pk_mul_f32 v[4:5], s[14:15], v[0:1] op_sel_hi:[0,1]
	s_waitcnt vmcnt(0)
	v_pk_fma_f32 v[0:1], s[12:13], v[6:7], v[2:3] op_sel_hi:[0,1,1]
	v_pk_fma_f32 v[2:3], s[12:13], v[8:9], v[4:5] op_sel_hi:[0,1,1]
	global_store_dwordx4 v[10:11], v[0:3], off
.LBB3_22:
	s_endpgm
.LBB3_23:
	s_branch .LBB3_21
	.section	.rodata,"a",@progbits
	.p2align	6, 0x0
	.amdhsa_kernel _ZN9rocsparseL19gebsrmvn_4xn_kernelILj128ELj1ELj32EfEEvi20rocsparse_direction_NS_24const_host_device_scalarIT2_EEPKiS6_PKS3_S8_S4_PS3_21rocsparse_index_base_b
		.amdhsa_group_segment_fixed_size 0
		.amdhsa_private_segment_fixed_size 0
		.amdhsa_kernarg_size 72
		.amdhsa_user_sgpr_count 2
		.amdhsa_user_sgpr_dispatch_ptr 0
		.amdhsa_user_sgpr_queue_ptr 0
		.amdhsa_user_sgpr_kernarg_segment_ptr 1
		.amdhsa_user_sgpr_dispatch_id 0
		.amdhsa_user_sgpr_kernarg_preload_length 0
		.amdhsa_user_sgpr_kernarg_preload_offset 0
		.amdhsa_user_sgpr_private_segment_size 0
		.amdhsa_uses_dynamic_stack 0
		.amdhsa_enable_private_segment 0
		.amdhsa_system_sgpr_workgroup_id_x 1
		.amdhsa_system_sgpr_workgroup_id_y 0
		.amdhsa_system_sgpr_workgroup_id_z 0
		.amdhsa_system_sgpr_workgroup_info 0
		.amdhsa_system_vgpr_workitem_id 0
		.amdhsa_next_free_vgpr 20
		.amdhsa_next_free_sgpr 20
		.amdhsa_accum_offset 20
		.amdhsa_reserve_vcc 1
		.amdhsa_float_round_mode_32 0
		.amdhsa_float_round_mode_16_64 0
		.amdhsa_float_denorm_mode_32 3
		.amdhsa_float_denorm_mode_16_64 3
		.amdhsa_dx10_clamp 1
		.amdhsa_ieee_mode 1
		.amdhsa_fp16_overflow 0
		.amdhsa_tg_split 0
		.amdhsa_exception_fp_ieee_invalid_op 0
		.amdhsa_exception_fp_denorm_src 0
		.amdhsa_exception_fp_ieee_div_zero 0
		.amdhsa_exception_fp_ieee_overflow 0
		.amdhsa_exception_fp_ieee_underflow 0
		.amdhsa_exception_fp_ieee_inexact 0
		.amdhsa_exception_int_div_zero 0
	.end_amdhsa_kernel
	.section	.text._ZN9rocsparseL19gebsrmvn_4xn_kernelILj128ELj1ELj32EfEEvi20rocsparse_direction_NS_24const_host_device_scalarIT2_EEPKiS6_PKS3_S8_S4_PS3_21rocsparse_index_base_b,"axG",@progbits,_ZN9rocsparseL19gebsrmvn_4xn_kernelILj128ELj1ELj32EfEEvi20rocsparse_direction_NS_24const_host_device_scalarIT2_EEPKiS6_PKS3_S8_S4_PS3_21rocsparse_index_base_b,comdat
.Lfunc_end3:
	.size	_ZN9rocsparseL19gebsrmvn_4xn_kernelILj128ELj1ELj32EfEEvi20rocsparse_direction_NS_24const_host_device_scalarIT2_EEPKiS6_PKS3_S8_S4_PS3_21rocsparse_index_base_b, .Lfunc_end3-_ZN9rocsparseL19gebsrmvn_4xn_kernelILj128ELj1ELj32EfEEvi20rocsparse_direction_NS_24const_host_device_scalarIT2_EEPKiS6_PKS3_S8_S4_PS3_21rocsparse_index_base_b
                                        ; -- End function
	.set _ZN9rocsparseL19gebsrmvn_4xn_kernelILj128ELj1ELj32EfEEvi20rocsparse_direction_NS_24const_host_device_scalarIT2_EEPKiS6_PKS3_S8_S4_PS3_21rocsparse_index_base_b.num_vgpr, 20
	.set _ZN9rocsparseL19gebsrmvn_4xn_kernelILj128ELj1ELj32EfEEvi20rocsparse_direction_NS_24const_host_device_scalarIT2_EEPKiS6_PKS3_S8_S4_PS3_21rocsparse_index_base_b.num_agpr, 0
	.set _ZN9rocsparseL19gebsrmvn_4xn_kernelILj128ELj1ELj32EfEEvi20rocsparse_direction_NS_24const_host_device_scalarIT2_EEPKiS6_PKS3_S8_S4_PS3_21rocsparse_index_base_b.numbered_sgpr, 20
	.set _ZN9rocsparseL19gebsrmvn_4xn_kernelILj128ELj1ELj32EfEEvi20rocsparse_direction_NS_24const_host_device_scalarIT2_EEPKiS6_PKS3_S8_S4_PS3_21rocsparse_index_base_b.num_named_barrier, 0
	.set _ZN9rocsparseL19gebsrmvn_4xn_kernelILj128ELj1ELj32EfEEvi20rocsparse_direction_NS_24const_host_device_scalarIT2_EEPKiS6_PKS3_S8_S4_PS3_21rocsparse_index_base_b.private_seg_size, 0
	.set _ZN9rocsparseL19gebsrmvn_4xn_kernelILj128ELj1ELj32EfEEvi20rocsparse_direction_NS_24const_host_device_scalarIT2_EEPKiS6_PKS3_S8_S4_PS3_21rocsparse_index_base_b.uses_vcc, 1
	.set _ZN9rocsparseL19gebsrmvn_4xn_kernelILj128ELj1ELj32EfEEvi20rocsparse_direction_NS_24const_host_device_scalarIT2_EEPKiS6_PKS3_S8_S4_PS3_21rocsparse_index_base_b.uses_flat_scratch, 0
	.set _ZN9rocsparseL19gebsrmvn_4xn_kernelILj128ELj1ELj32EfEEvi20rocsparse_direction_NS_24const_host_device_scalarIT2_EEPKiS6_PKS3_S8_S4_PS3_21rocsparse_index_base_b.has_dyn_sized_stack, 0
	.set _ZN9rocsparseL19gebsrmvn_4xn_kernelILj128ELj1ELj32EfEEvi20rocsparse_direction_NS_24const_host_device_scalarIT2_EEPKiS6_PKS3_S8_S4_PS3_21rocsparse_index_base_b.has_recursion, 0
	.set _ZN9rocsparseL19gebsrmvn_4xn_kernelILj128ELj1ELj32EfEEvi20rocsparse_direction_NS_24const_host_device_scalarIT2_EEPKiS6_PKS3_S8_S4_PS3_21rocsparse_index_base_b.has_indirect_call, 0
	.section	.AMDGPU.csdata,"",@progbits
; Kernel info:
; codeLenInByte = 976
; TotalNumSgprs: 26
; NumVgprs: 20
; NumAgprs: 0
; TotalNumVgprs: 20
; ScratchSize: 0
; MemoryBound: 0
; FloatMode: 240
; IeeeMode: 1
; LDSByteSize: 0 bytes/workgroup (compile time only)
; SGPRBlocks: 3
; VGPRBlocks: 2
; NumSGPRsForWavesPerEU: 26
; NumVGPRsForWavesPerEU: 20
; AccumOffset: 20
; Occupancy: 8
; WaveLimiterHint : 1
; COMPUTE_PGM_RSRC2:SCRATCH_EN: 0
; COMPUTE_PGM_RSRC2:USER_SGPR: 2
; COMPUTE_PGM_RSRC2:TRAP_HANDLER: 0
; COMPUTE_PGM_RSRC2:TGID_X_EN: 1
; COMPUTE_PGM_RSRC2:TGID_Y_EN: 0
; COMPUTE_PGM_RSRC2:TGID_Z_EN: 0
; COMPUTE_PGM_RSRC2:TIDIG_COMP_CNT: 0
; COMPUTE_PGM_RSRC3_GFX90A:ACCUM_OFFSET: 4
; COMPUTE_PGM_RSRC3_GFX90A:TG_SPLIT: 0
	.section	.text._ZN9rocsparseL19gebsrmvn_4xn_kernelILj128ELj1ELj64EfEEvi20rocsparse_direction_NS_24const_host_device_scalarIT2_EEPKiS6_PKS3_S8_S4_PS3_21rocsparse_index_base_b,"axG",@progbits,_ZN9rocsparseL19gebsrmvn_4xn_kernelILj128ELj1ELj64EfEEvi20rocsparse_direction_NS_24const_host_device_scalarIT2_EEPKiS6_PKS3_S8_S4_PS3_21rocsparse_index_base_b,comdat
	.globl	_ZN9rocsparseL19gebsrmvn_4xn_kernelILj128ELj1ELj64EfEEvi20rocsparse_direction_NS_24const_host_device_scalarIT2_EEPKiS6_PKS3_S8_S4_PS3_21rocsparse_index_base_b ; -- Begin function _ZN9rocsparseL19gebsrmvn_4xn_kernelILj128ELj1ELj64EfEEvi20rocsparse_direction_NS_24const_host_device_scalarIT2_EEPKiS6_PKS3_S8_S4_PS3_21rocsparse_index_base_b
	.p2align	8
	.type	_ZN9rocsparseL19gebsrmvn_4xn_kernelILj128ELj1ELj64EfEEvi20rocsparse_direction_NS_24const_host_device_scalarIT2_EEPKiS6_PKS3_S8_S4_PS3_21rocsparse_index_base_b,@function
_ZN9rocsparseL19gebsrmvn_4xn_kernelILj128ELj1ELj64EfEEvi20rocsparse_direction_NS_24const_host_device_scalarIT2_EEPKiS6_PKS3_S8_S4_PS3_21rocsparse_index_base_b: ; @_ZN9rocsparseL19gebsrmvn_4xn_kernelILj128ELj1ELj64EfEEvi20rocsparse_direction_NS_24const_host_device_scalarIT2_EEPKiS6_PKS3_S8_S4_PS3_21rocsparse_index_base_b
; %bb.0:
	s_load_dwordx2 s[16:17], s[0:1], 0x40
	s_load_dwordx2 s[14:15], s[0:1], 0x8
	;; [unrolled: 1-line block ×3, first 2 shown]
	s_waitcnt lgkmcnt(0)
	s_bitcmp1_b32 s17, 0
	s_cselect_b64 s[6:7], -1, 0
	s_xor_b64 s[4:5], s[6:7], -1
	s_and_b64 vcc, exec, s[6:7]
	s_cbranch_vccnz .LBB4_2
; %bb.1:
	s_load_dword s14, s[14:15], 0x0
.LBB4_2:
	s_andn2_b64 vcc, exec, s[4:5]
	s_cbranch_vccnz .LBB4_4
; %bb.3:
	s_load_dword s12, s[12:13], 0x0
.LBB4_4:
	s_waitcnt lgkmcnt(0)
	v_cmp_eq_f32_e64 s[4:5], s14, 0
	v_cmp_eq_f32_e64 s[6:7], s12, 1.0
	s_and_b64 s[4:5], s[4:5], s[6:7]
	s_and_b64 vcc, exec, s[4:5]
	s_cbranch_vccnz .LBB4_22
; %bb.5:
	s_load_dwordx2 s[18:19], s[0:1], 0x0
	v_lshrrev_b32_e32 v1, 6, v0
	v_lshl_or_b32 v2, s2, 1, v1
	s_waitcnt lgkmcnt(0)
	v_cmp_gt_i32_e32 vcc, s18, v2
	s_and_saveexec_b64 s[2:3], vcc
	s_cbranch_execz .LBB4_22
; %bb.6:
	s_load_dwordx8 s[4:11], s[0:1], 0x10
	v_ashrrev_i32_e32 v3, 31, v2
	s_cmp_lg_u32 s19, 0
	s_waitcnt lgkmcnt(0)
	v_lshl_add_u64 v[4:5], v[2:3], 2, s[4:5]
	global_load_dwordx2 v[4:5], v[4:5], off
	v_and_b32_e32 v3, 63, v0
	s_waitcnt vmcnt(0)
	v_subrev_u32_e32 v0, s16, v4
	v_subrev_u32_e32 v12, s16, v5
	v_add_u32_e32 v6, v0, v3
	v_cmp_lt_i32_e64 s[2:3], v6, v12
	s_cbranch_scc0 .LBB4_12
; %bb.7:
	v_mov_b32_e32 v1, 0
	v_mov_b32_e32 v0, v1
	;; [unrolled: 1-line block ×4, first 2 shown]
	s_and_saveexec_b64 s[4:5], s[2:3]
	s_cbranch_execz .LBB4_11
; %bb.8:
	v_mov_b32_e32 v9, 0
	v_lshlrev_b32_e32 v8, 2, v6
	s_mov_b64 s[18:19], 0
	v_mov_b32_e32 v10, v6
	v_mov_b32_e32 v4, v9
	;; [unrolled: 1-line block ×5, first 2 shown]
.LBB4_9:                                ; =>This Inner Loop Header: Depth=1
	v_ashrrev_i32_e32 v11, 31, v10
	v_lshl_add_u64 v[14:15], v[10:11], 2, s[6:7]
	global_load_dword v7, v[14:15], off
	v_mov_b32_e32 v19, v9
	v_lshl_add_u64 v[14:15], v[8:9], 2, s[8:9]
	global_load_dwordx4 v[14:17], v[14:15], off
	v_add_u32_e32 v10, 64, v10
	v_cmp_ge_i32_e32 vcc, v10, v12
	v_add_u32_e32 v8, 0x100, v8
	s_or_b64 s[18:19], vcc, s[18:19]
	s_waitcnt vmcnt(1)
	v_subrev_u32_e32 v18, s16, v7
	v_lshl_add_u64 v[18:19], v[18:19], 2, s[10:11]
	global_load_dword v18, v[18:19], off
	s_waitcnt vmcnt(0)
	v_pk_fma_f32 v[4:5], v[14:15], v[18:19], v[4:5] op_sel_hi:[1,0,1]
	v_pk_fma_f32 v[0:1], v[16:17], v[18:19], v[0:1] op_sel_hi:[1,0,1]
	s_andn2_b64 exec, exec, s[18:19]
	s_cbranch_execnz .LBB4_9
; %bb.10:
	s_or_b64 exec, exec, s[18:19]
.LBB4_11:
	s_or_b64 exec, exec, s[4:5]
	s_cbranch_execz .LBB4_13
	s_branch .LBB4_18
.LBB4_12:
                                        ; implicit-def: $vgpr1
                                        ; implicit-def: $vgpr5
.LBB4_13:
	v_mov_b32_e32 v1, 0
	v_mov_b32_e32 v0, v1
	;; [unrolled: 1-line block ×4, first 2 shown]
	s_and_saveexec_b64 s[4:5], s[2:3]
	s_cbranch_execz .LBB4_17
; %bb.14:
	v_mov_b32_e32 v9, 0
	v_lshlrev_b32_e32 v8, 2, v6
	s_mov_b64 s[2:3], 0
	v_mov_b32_e32 v4, v9
	v_mov_b32_e32 v5, v9
	;; [unrolled: 1-line block ×4, first 2 shown]
.LBB4_15:                               ; =>This Inner Loop Header: Depth=1
	v_ashrrev_i32_e32 v7, 31, v6
	v_lshl_add_u64 v[10:11], v[6:7], 2, s[6:7]
	global_load_dword v7, v[10:11], off
	v_lshl_add_u64 v[10:11], v[8:9], 2, s[8:9]
	v_mov_b32_e32 v19, v9
	global_load_dwordx4 v[14:17], v[10:11], off
	v_add_u32_e32 v6, 64, v6
	v_cmp_ge_i32_e32 vcc, v6, v12
	v_add_u32_e32 v8, 0x100, v8
	s_or_b64 s[2:3], vcc, s[2:3]
	s_waitcnt vmcnt(1)
	v_subrev_u32_e32 v18, s16, v7
	v_lshl_add_u64 v[10:11], v[18:19], 2, s[10:11]
	global_load_dword v10, v[10:11], off
	s_waitcnt vmcnt(0)
	v_pk_fma_f32 v[4:5], v[14:15], v[10:11], v[4:5] op_sel_hi:[1,0,1]
	v_pk_fma_f32 v[0:1], v[16:17], v[10:11], v[0:1] op_sel_hi:[1,0,1]
	s_andn2_b64 exec, exec, s[2:3]
	s_cbranch_execnz .LBB4_15
; %bb.16:
	s_or_b64 exec, exec, s[2:3]
.LBB4_17:
	s_or_b64 exec, exec, s[4:5]
.LBB4_18:
	v_mov_b32_dpp v6, v4 row_shr:1 row_mask:0xf bank_mask:0xf
	v_mov_b32_dpp v7, v5 row_shr:1 row_mask:0xf bank_mask:0xf
	;; [unrolled: 1-line block ×4, first 2 shown]
	v_pk_add_f32 v[4:5], v[4:5], v[6:7]
	v_pk_add_f32 v[0:1], v[0:1], v[8:9]
	v_cmp_eq_u32_e32 vcc, 63, v3
	v_mov_b32_dpp v6, v4 row_shr:2 row_mask:0xf bank_mask:0xf
	v_mov_b32_dpp v7, v5 row_shr:2 row_mask:0xf bank_mask:0xf
	v_mov_b32_dpp v8, v0 row_shr:2 row_mask:0xf bank_mask:0xf
	v_mov_b32_dpp v9, v1 row_shr:2 row_mask:0xf bank_mask:0xf
	v_pk_add_f32 v[4:5], v[4:5], v[6:7]
	v_pk_add_f32 v[0:1], v[0:1], v[8:9]
	s_nop 0
	v_mov_b32_dpp v6, v4 row_shr:4 row_mask:0xf bank_mask:0xe
	v_mov_b32_dpp v7, v5 row_shr:4 row_mask:0xf bank_mask:0xe
	v_mov_b32_dpp v8, v0 row_shr:4 row_mask:0xf bank_mask:0xe
	v_mov_b32_dpp v9, v1 row_shr:4 row_mask:0xf bank_mask:0xe
	v_pk_add_f32 v[4:5], v[4:5], v[6:7]
	v_pk_add_f32 v[0:1], v[0:1], v[8:9]
	s_nop 0
	;; [unrolled: 7-line block ×3, first 2 shown]
	v_mov_b32_dpp v6, v4 row_bcast:15 row_mask:0xa bank_mask:0xf
	v_mov_b32_dpp v7, v5 row_bcast:15 row_mask:0xa bank_mask:0xf
	;; [unrolled: 1-line block ×4, first 2 shown]
	v_pk_add_f32 v[4:5], v[4:5], v[6:7]
	v_pk_add_f32 v[0:1], v[0:1], v[8:9]
	s_nop 0
	v_mov_b32_dpp v6, v4 row_bcast:31 row_mask:0xc bank_mask:0xf
	v_mov_b32_dpp v7, v5 row_bcast:31 row_mask:0xc bank_mask:0xf
	v_mov_b32_dpp v8, v0 row_bcast:31 row_mask:0xc bank_mask:0xf
	v_mov_b32_dpp v9, v1 row_bcast:31 row_mask:0xc bank_mask:0xf
	s_and_b64 exec, exec, vcc
	s_cbranch_execz .LBB4_22
; %bb.19:
	s_load_dwordx2 s[0:1], s[0:1], 0x38
	v_cmp_eq_f32_e64 s[2:3], s12, 0
	v_pk_add_f32 v[4:5], v[4:5], v[6:7]
	v_pk_add_f32 v[0:1], v[0:1], v[8:9]
	s_and_b64 vcc, exec, s[2:3]
	v_lshlrev_b32_e32 v2, 2, v2
	s_cbranch_vccz .LBB4_23
; %bb.20:
	v_ashrrev_i32_e32 v3, 31, v2
	s_waitcnt lgkmcnt(0)
	v_lshl_add_u64 v[10:11], v[2:3], 2, s[0:1]
	v_pk_mul_f32 v[6:7], s[14:15], v[4:5] op_sel_hi:[0,1]
	v_pk_mul_f32 v[8:9], s[14:15], v[0:1] op_sel_hi:[0,1]
	global_store_dwordx4 v[10:11], v[6:9], off
	s_cbranch_execnz .LBB4_22
.LBB4_21:
	v_ashrrev_i32_e32 v3, 31, v2
	s_waitcnt lgkmcnt(0)
	v_lshl_add_u64 v[10:11], v[2:3], 2, s[0:1]
	global_load_dwordx4 v[6:9], v[10:11], off
	v_pk_mul_f32 v[2:3], s[14:15], v[4:5] op_sel_hi:[0,1]
	v_pk_mul_f32 v[4:5], s[14:15], v[0:1] op_sel_hi:[0,1]
	s_waitcnt vmcnt(0)
	v_pk_fma_f32 v[0:1], s[12:13], v[6:7], v[2:3] op_sel_hi:[0,1,1]
	v_pk_fma_f32 v[2:3], s[12:13], v[8:9], v[4:5] op_sel_hi:[0,1,1]
	global_store_dwordx4 v[10:11], v[0:3], off
.LBB4_22:
	s_endpgm
.LBB4_23:
	s_branch .LBB4_21
	.section	.rodata,"a",@progbits
	.p2align	6, 0x0
	.amdhsa_kernel _ZN9rocsparseL19gebsrmvn_4xn_kernelILj128ELj1ELj64EfEEvi20rocsparse_direction_NS_24const_host_device_scalarIT2_EEPKiS6_PKS3_S8_S4_PS3_21rocsparse_index_base_b
		.amdhsa_group_segment_fixed_size 0
		.amdhsa_private_segment_fixed_size 0
		.amdhsa_kernarg_size 72
		.amdhsa_user_sgpr_count 2
		.amdhsa_user_sgpr_dispatch_ptr 0
		.amdhsa_user_sgpr_queue_ptr 0
		.amdhsa_user_sgpr_kernarg_segment_ptr 1
		.amdhsa_user_sgpr_dispatch_id 0
		.amdhsa_user_sgpr_kernarg_preload_length 0
		.amdhsa_user_sgpr_kernarg_preload_offset 0
		.amdhsa_user_sgpr_private_segment_size 0
		.amdhsa_uses_dynamic_stack 0
		.amdhsa_enable_private_segment 0
		.amdhsa_system_sgpr_workgroup_id_x 1
		.amdhsa_system_sgpr_workgroup_id_y 0
		.amdhsa_system_sgpr_workgroup_id_z 0
		.amdhsa_system_sgpr_workgroup_info 0
		.amdhsa_system_vgpr_workitem_id 0
		.amdhsa_next_free_vgpr 20
		.amdhsa_next_free_sgpr 20
		.amdhsa_accum_offset 20
		.amdhsa_reserve_vcc 1
		.amdhsa_float_round_mode_32 0
		.amdhsa_float_round_mode_16_64 0
		.amdhsa_float_denorm_mode_32 3
		.amdhsa_float_denorm_mode_16_64 3
		.amdhsa_dx10_clamp 1
		.amdhsa_ieee_mode 1
		.amdhsa_fp16_overflow 0
		.amdhsa_tg_split 0
		.amdhsa_exception_fp_ieee_invalid_op 0
		.amdhsa_exception_fp_denorm_src 0
		.amdhsa_exception_fp_ieee_div_zero 0
		.amdhsa_exception_fp_ieee_overflow 0
		.amdhsa_exception_fp_ieee_underflow 0
		.amdhsa_exception_fp_ieee_inexact 0
		.amdhsa_exception_int_div_zero 0
	.end_amdhsa_kernel
	.section	.text._ZN9rocsparseL19gebsrmvn_4xn_kernelILj128ELj1ELj64EfEEvi20rocsparse_direction_NS_24const_host_device_scalarIT2_EEPKiS6_PKS3_S8_S4_PS3_21rocsparse_index_base_b,"axG",@progbits,_ZN9rocsparseL19gebsrmvn_4xn_kernelILj128ELj1ELj64EfEEvi20rocsparse_direction_NS_24const_host_device_scalarIT2_EEPKiS6_PKS3_S8_S4_PS3_21rocsparse_index_base_b,comdat
.Lfunc_end4:
	.size	_ZN9rocsparseL19gebsrmvn_4xn_kernelILj128ELj1ELj64EfEEvi20rocsparse_direction_NS_24const_host_device_scalarIT2_EEPKiS6_PKS3_S8_S4_PS3_21rocsparse_index_base_b, .Lfunc_end4-_ZN9rocsparseL19gebsrmvn_4xn_kernelILj128ELj1ELj64EfEEvi20rocsparse_direction_NS_24const_host_device_scalarIT2_EEPKiS6_PKS3_S8_S4_PS3_21rocsparse_index_base_b
                                        ; -- End function
	.set _ZN9rocsparseL19gebsrmvn_4xn_kernelILj128ELj1ELj64EfEEvi20rocsparse_direction_NS_24const_host_device_scalarIT2_EEPKiS6_PKS3_S8_S4_PS3_21rocsparse_index_base_b.num_vgpr, 20
	.set _ZN9rocsparseL19gebsrmvn_4xn_kernelILj128ELj1ELj64EfEEvi20rocsparse_direction_NS_24const_host_device_scalarIT2_EEPKiS6_PKS3_S8_S4_PS3_21rocsparse_index_base_b.num_agpr, 0
	.set _ZN9rocsparseL19gebsrmvn_4xn_kernelILj128ELj1ELj64EfEEvi20rocsparse_direction_NS_24const_host_device_scalarIT2_EEPKiS6_PKS3_S8_S4_PS3_21rocsparse_index_base_b.numbered_sgpr, 20
	.set _ZN9rocsparseL19gebsrmvn_4xn_kernelILj128ELj1ELj64EfEEvi20rocsparse_direction_NS_24const_host_device_scalarIT2_EEPKiS6_PKS3_S8_S4_PS3_21rocsparse_index_base_b.num_named_barrier, 0
	.set _ZN9rocsparseL19gebsrmvn_4xn_kernelILj128ELj1ELj64EfEEvi20rocsparse_direction_NS_24const_host_device_scalarIT2_EEPKiS6_PKS3_S8_S4_PS3_21rocsparse_index_base_b.private_seg_size, 0
	.set _ZN9rocsparseL19gebsrmvn_4xn_kernelILj128ELj1ELj64EfEEvi20rocsparse_direction_NS_24const_host_device_scalarIT2_EEPKiS6_PKS3_S8_S4_PS3_21rocsparse_index_base_b.uses_vcc, 1
	.set _ZN9rocsparseL19gebsrmvn_4xn_kernelILj128ELj1ELj64EfEEvi20rocsparse_direction_NS_24const_host_device_scalarIT2_EEPKiS6_PKS3_S8_S4_PS3_21rocsparse_index_base_b.uses_flat_scratch, 0
	.set _ZN9rocsparseL19gebsrmvn_4xn_kernelILj128ELj1ELj64EfEEvi20rocsparse_direction_NS_24const_host_device_scalarIT2_EEPKiS6_PKS3_S8_S4_PS3_21rocsparse_index_base_b.has_dyn_sized_stack, 0
	.set _ZN9rocsparseL19gebsrmvn_4xn_kernelILj128ELj1ELj64EfEEvi20rocsparse_direction_NS_24const_host_device_scalarIT2_EEPKiS6_PKS3_S8_S4_PS3_21rocsparse_index_base_b.has_recursion, 0
	.set _ZN9rocsparseL19gebsrmvn_4xn_kernelILj128ELj1ELj64EfEEvi20rocsparse_direction_NS_24const_host_device_scalarIT2_EEPKiS6_PKS3_S8_S4_PS3_21rocsparse_index_base_b.has_indirect_call, 0
	.section	.AMDGPU.csdata,"",@progbits
; Kernel info:
; codeLenInByte = 1028
; TotalNumSgprs: 26
; NumVgprs: 20
; NumAgprs: 0
; TotalNumVgprs: 20
; ScratchSize: 0
; MemoryBound: 0
; FloatMode: 240
; IeeeMode: 1
; LDSByteSize: 0 bytes/workgroup (compile time only)
; SGPRBlocks: 3
; VGPRBlocks: 2
; NumSGPRsForWavesPerEU: 26
; NumVGPRsForWavesPerEU: 20
; AccumOffset: 20
; Occupancy: 8
; WaveLimiterHint : 1
; COMPUTE_PGM_RSRC2:SCRATCH_EN: 0
; COMPUTE_PGM_RSRC2:USER_SGPR: 2
; COMPUTE_PGM_RSRC2:TRAP_HANDLER: 0
; COMPUTE_PGM_RSRC2:TGID_X_EN: 1
; COMPUTE_PGM_RSRC2:TGID_Y_EN: 0
; COMPUTE_PGM_RSRC2:TGID_Z_EN: 0
; COMPUTE_PGM_RSRC2:TIDIG_COMP_CNT: 0
; COMPUTE_PGM_RSRC3_GFX90A:ACCUM_OFFSET: 4
; COMPUTE_PGM_RSRC3_GFX90A:TG_SPLIT: 0
	.section	.text._ZN9rocsparseL19gebsrmvn_4xn_kernelILj128ELj2ELj4EfEEvi20rocsparse_direction_NS_24const_host_device_scalarIT2_EEPKiS6_PKS3_S8_S4_PS3_21rocsparse_index_base_b,"axG",@progbits,_ZN9rocsparseL19gebsrmvn_4xn_kernelILj128ELj2ELj4EfEEvi20rocsparse_direction_NS_24const_host_device_scalarIT2_EEPKiS6_PKS3_S8_S4_PS3_21rocsparse_index_base_b,comdat
	.globl	_ZN9rocsparseL19gebsrmvn_4xn_kernelILj128ELj2ELj4EfEEvi20rocsparse_direction_NS_24const_host_device_scalarIT2_EEPKiS6_PKS3_S8_S4_PS3_21rocsparse_index_base_b ; -- Begin function _ZN9rocsparseL19gebsrmvn_4xn_kernelILj128ELj2ELj4EfEEvi20rocsparse_direction_NS_24const_host_device_scalarIT2_EEPKiS6_PKS3_S8_S4_PS3_21rocsparse_index_base_b
	.p2align	8
	.type	_ZN9rocsparseL19gebsrmvn_4xn_kernelILj128ELj2ELj4EfEEvi20rocsparse_direction_NS_24const_host_device_scalarIT2_EEPKiS6_PKS3_S8_S4_PS3_21rocsparse_index_base_b,@function
_ZN9rocsparseL19gebsrmvn_4xn_kernelILj128ELj2ELj4EfEEvi20rocsparse_direction_NS_24const_host_device_scalarIT2_EEPKiS6_PKS3_S8_S4_PS3_21rocsparse_index_base_b: ; @_ZN9rocsparseL19gebsrmvn_4xn_kernelILj128ELj2ELj4EfEEvi20rocsparse_direction_NS_24const_host_device_scalarIT2_EEPKiS6_PKS3_S8_S4_PS3_21rocsparse_index_base_b
; %bb.0:
	s_load_dwordx2 s[16:17], s[0:1], 0x40
	s_load_dwordx2 s[14:15], s[0:1], 0x8
	;; [unrolled: 1-line block ×3, first 2 shown]
	s_waitcnt lgkmcnt(0)
	s_bitcmp1_b32 s17, 0
	s_cselect_b64 s[6:7], -1, 0
	s_xor_b64 s[4:5], s[6:7], -1
	s_and_b64 vcc, exec, s[6:7]
	s_cbranch_vccnz .LBB5_2
; %bb.1:
	s_load_dword s14, s[14:15], 0x0
.LBB5_2:
	s_andn2_b64 vcc, exec, s[4:5]
	s_cbranch_vccnz .LBB5_4
; %bb.3:
	s_load_dword s12, s[12:13], 0x0
.LBB5_4:
	s_waitcnt lgkmcnt(0)
	v_cmp_eq_f32_e64 s[4:5], s14, 0
	v_cmp_eq_f32_e64 s[6:7], s12, 1.0
	s_and_b64 s[4:5], s[4:5], s[6:7]
	s_and_b64 vcc, exec, s[4:5]
	s_cbranch_vccnz .LBB5_22
; %bb.5:
	s_load_dwordx2 s[18:19], s[0:1], 0x0
	v_lshrrev_b32_e32 v1, 2, v0
	v_lshl_or_b32 v2, s2, 5, v1
	s_waitcnt lgkmcnt(0)
	v_cmp_gt_i32_e32 vcc, s18, v2
	s_and_saveexec_b64 s[2:3], vcc
	s_cbranch_execz .LBB5_22
; %bb.6:
	s_load_dwordx8 s[4:11], s[0:1], 0x10
	v_ashrrev_i32_e32 v3, 31, v2
	s_cmp_lg_u32 s19, 0
	s_waitcnt lgkmcnt(0)
	v_lshl_add_u64 v[4:5], v[2:3], 2, s[4:5]
	global_load_dwordx2 v[4:5], v[4:5], off
	v_and_b32_e32 v3, 3, v0
	s_waitcnt vmcnt(0)
	v_subrev_u32_e32 v0, s16, v4
	v_subrev_u32_e32 v12, s16, v5
	v_add_u32_e32 v4, v0, v3
	v_cmp_lt_i32_e64 s[2:3], v4, v12
	s_cbranch_scc0 .LBB5_12
; %bb.7:
	v_mov_b32_e32 v1, 0
	v_mov_b32_e32 v0, v1
	v_mov_b32_e32 v7, v1
	v_mov_b32_e32 v6, v1
	s_and_saveexec_b64 s[4:5], s[2:3]
	s_cbranch_execz .LBB5_11
; %bb.8:
	v_mov_b32_e32 v9, 0
	v_lshlrev_b32_e32 v8, 3, v4
	s_mov_b64 s[18:19], 0
	v_mov_b32_e32 v10, v4
	v_mov_b32_e32 v6, v9
	v_mov_b32_e32 v7, v9
	v_mov_b32_e32 v0, v9
	v_mov_b32_e32 v1, v9
.LBB5_9:                                ; =>This Inner Loop Header: Depth=1
	v_ashrrev_i32_e32 v11, 31, v10
	v_lshl_add_u64 v[14:15], v[10:11], 2, s[6:7]
	global_load_dword v5, v[14:15], off
	v_lshl_add_u64 v[22:23], v[8:9], 2, s[8:9]
	v_mov_b32_e32 v25, v9
	global_load_dwordx4 v[14:17], v[22:23], off offset:16
	global_load_dwordx4 v[18:21], v[22:23], off
	v_add_u32_e32 v10, 4, v10
	v_cmp_ge_i32_e32 vcc, v10, v12
	v_add_u32_e32 v8, 32, v8
	s_or_b64 s[18:19], vcc, s[18:19]
	s_waitcnt vmcnt(2)
	v_subrev_u32_e32 v5, s16, v5
	v_lshlrev_b32_e32 v24, 1, v5
	v_lshl_add_u64 v[22:23], v[24:25], 2, s[10:11]
	global_load_dwordx2 v[22:23], v[22:23], off
	s_waitcnt vmcnt(0)
	v_pk_fma_f32 v[6:7], v[18:19], v[22:23], v[6:7] op_sel_hi:[1,0,1]
	v_pk_fma_f32 v[0:1], v[20:21], v[22:23], v[0:1] op_sel_hi:[1,0,1]
	v_pk_fma_f32 v[6:7], v[14:15], v[22:23], v[6:7] op_sel:[0,1,0]
	v_pk_fma_f32 v[0:1], v[16:17], v[22:23], v[0:1] op_sel:[0,1,0]
	s_andn2_b64 exec, exec, s[18:19]
	s_cbranch_execnz .LBB5_9
; %bb.10:
	s_or_b64 exec, exec, s[18:19]
.LBB5_11:
	s_or_b64 exec, exec, s[4:5]
	s_cbranch_execz .LBB5_13
	s_branch .LBB5_18
.LBB5_12:
                                        ; implicit-def: $vgpr1
                                        ; implicit-def: $vgpr7
.LBB5_13:
	v_mov_b32_e32 v1, 0
	v_mov_b32_e32 v0, v1
	;; [unrolled: 1-line block ×4, first 2 shown]
	s_and_saveexec_b64 s[4:5], s[2:3]
	s_cbranch_execz .LBB5_17
; %bb.14:
	v_mov_b32_e32 v9, 0
	v_lshlrev_b32_e32 v8, 3, v4
	s_mov_b64 s[2:3], 0
	v_mov_b32_e32 v6, v9
	v_mov_b32_e32 v7, v9
	;; [unrolled: 1-line block ×4, first 2 shown]
.LBB5_15:                               ; =>This Inner Loop Header: Depth=1
	v_ashrrev_i32_e32 v5, 31, v4
	v_lshl_add_u64 v[10:11], v[4:5], 2, s[6:7]
	global_load_dword v5, v[10:11], off
	v_lshl_add_u64 v[10:11], v[8:9], 2, s[8:9]
	v_mov_b32_e32 v23, v9
	global_load_dwordx4 v[14:17], v[10:11], off
	global_load_dwordx4 v[18:21], v[10:11], off offset:16
	v_add_u32_e32 v4, 4, v4
	v_cmp_ge_i32_e32 vcc, v4, v12
	v_add_u32_e32 v8, 32, v8
	s_or_b64 s[2:3], vcc, s[2:3]
	s_waitcnt vmcnt(2)
	v_subrev_u32_e32 v5, s16, v5
	v_lshlrev_b32_e32 v22, 1, v5
	v_lshl_add_u64 v[10:11], v[22:23], 2, s[10:11]
	global_load_dwordx2 v[10:11], v[10:11], off
	s_waitcnt vmcnt(2)
	v_mov_b32_e32 v22, v14
	v_mov_b32_e32 v23, v16
	s_waitcnt vmcnt(1)
	v_mov_b32_e32 v24, v18
	v_mov_b32_e32 v25, v20
	;; [unrolled: 1-line block ×4, first 2 shown]
	s_waitcnt vmcnt(0)
	v_pk_fma_f32 v[6:7], v[22:23], v[10:11], v[6:7] op_sel_hi:[1,0,1]
	v_pk_fma_f32 v[0:1], v[24:25], v[10:11], v[0:1] op_sel_hi:[1,0,1]
	v_pk_fma_f32 v[6:7], v[16:17], v[10:11], v[6:7] op_sel:[0,1,0]
	v_pk_fma_f32 v[0:1], v[20:21], v[10:11], v[0:1] op_sel:[0,1,0]
	s_andn2_b64 exec, exec, s[2:3]
	s_cbranch_execnz .LBB5_15
; %bb.16:
	s_or_b64 exec, exec, s[2:3]
.LBB5_17:
	s_or_b64 exec, exec, s[4:5]
.LBB5_18:
	v_mov_b32_dpp v4, v6 row_shr:1 row_mask:0xf bank_mask:0xf
	v_mov_b32_dpp v5, v7 row_shr:1 row_mask:0xf bank_mask:0xf
	;; [unrolled: 1-line block ×4, first 2 shown]
	v_pk_add_f32 v[4:5], v[6:7], v[4:5]
	v_pk_add_f32 v[0:1], v[0:1], v[8:9]
	v_cmp_eq_u32_e32 vcc, 3, v3
	v_mov_b32_dpp v6, v4 row_shr:2 row_mask:0xf bank_mask:0xf
	v_mov_b32_dpp v7, v5 row_shr:2 row_mask:0xf bank_mask:0xf
	;; [unrolled: 1-line block ×4, first 2 shown]
	s_and_b64 exec, exec, vcc
	s_cbranch_execz .LBB5_22
; %bb.19:
	s_load_dwordx2 s[0:1], s[0:1], 0x38
	v_cmp_eq_f32_e64 s[2:3], s12, 0
	v_pk_add_f32 v[4:5], v[4:5], v[6:7]
	v_pk_add_f32 v[0:1], v[0:1], v[8:9]
	s_and_b64 vcc, exec, s[2:3]
	v_lshlrev_b32_e32 v2, 2, v2
	s_cbranch_vccz .LBB5_23
; %bb.20:
	v_ashrrev_i32_e32 v3, 31, v2
	s_waitcnt lgkmcnt(0)
	v_lshl_add_u64 v[10:11], v[2:3], 2, s[0:1]
	v_pk_mul_f32 v[6:7], s[14:15], v[4:5] op_sel_hi:[0,1]
	v_pk_mul_f32 v[8:9], s[14:15], v[0:1] op_sel_hi:[0,1]
	global_store_dwordx4 v[10:11], v[6:9], off
	s_cbranch_execnz .LBB5_22
.LBB5_21:
	v_ashrrev_i32_e32 v3, 31, v2
	s_waitcnt lgkmcnt(0)
	v_lshl_add_u64 v[10:11], v[2:3], 2, s[0:1]
	global_load_dwordx4 v[6:9], v[10:11], off
	v_pk_mul_f32 v[2:3], s[14:15], v[4:5] op_sel_hi:[0,1]
	v_pk_mul_f32 v[4:5], s[14:15], v[0:1] op_sel_hi:[0,1]
	s_waitcnt vmcnt(0)
	v_pk_fma_f32 v[0:1], s[12:13], v[6:7], v[2:3] op_sel_hi:[0,1,1]
	v_pk_fma_f32 v[2:3], s[12:13], v[8:9], v[4:5] op_sel_hi:[0,1,1]
	global_store_dwordx4 v[10:11], v[0:3], off
.LBB5_22:
	s_endpgm
.LBB5_23:
	s_branch .LBB5_21
	.section	.rodata,"a",@progbits
	.p2align	6, 0x0
	.amdhsa_kernel _ZN9rocsparseL19gebsrmvn_4xn_kernelILj128ELj2ELj4EfEEvi20rocsparse_direction_NS_24const_host_device_scalarIT2_EEPKiS6_PKS3_S8_S4_PS3_21rocsparse_index_base_b
		.amdhsa_group_segment_fixed_size 0
		.amdhsa_private_segment_fixed_size 0
		.amdhsa_kernarg_size 72
		.amdhsa_user_sgpr_count 2
		.amdhsa_user_sgpr_dispatch_ptr 0
		.amdhsa_user_sgpr_queue_ptr 0
		.amdhsa_user_sgpr_kernarg_segment_ptr 1
		.amdhsa_user_sgpr_dispatch_id 0
		.amdhsa_user_sgpr_kernarg_preload_length 0
		.amdhsa_user_sgpr_kernarg_preload_offset 0
		.amdhsa_user_sgpr_private_segment_size 0
		.amdhsa_uses_dynamic_stack 0
		.amdhsa_enable_private_segment 0
		.amdhsa_system_sgpr_workgroup_id_x 1
		.amdhsa_system_sgpr_workgroup_id_y 0
		.amdhsa_system_sgpr_workgroup_id_z 0
		.amdhsa_system_sgpr_workgroup_info 0
		.amdhsa_system_vgpr_workitem_id 0
		.amdhsa_next_free_vgpr 26
		.amdhsa_next_free_sgpr 20
		.amdhsa_accum_offset 28
		.amdhsa_reserve_vcc 1
		.amdhsa_float_round_mode_32 0
		.amdhsa_float_round_mode_16_64 0
		.amdhsa_float_denorm_mode_32 3
		.amdhsa_float_denorm_mode_16_64 3
		.amdhsa_dx10_clamp 1
		.amdhsa_ieee_mode 1
		.amdhsa_fp16_overflow 0
		.amdhsa_tg_split 0
		.amdhsa_exception_fp_ieee_invalid_op 0
		.amdhsa_exception_fp_denorm_src 0
		.amdhsa_exception_fp_ieee_div_zero 0
		.amdhsa_exception_fp_ieee_overflow 0
		.amdhsa_exception_fp_ieee_underflow 0
		.amdhsa_exception_fp_ieee_inexact 0
		.amdhsa_exception_int_div_zero 0
	.end_amdhsa_kernel
	.section	.text._ZN9rocsparseL19gebsrmvn_4xn_kernelILj128ELj2ELj4EfEEvi20rocsparse_direction_NS_24const_host_device_scalarIT2_EEPKiS6_PKS3_S8_S4_PS3_21rocsparse_index_base_b,"axG",@progbits,_ZN9rocsparseL19gebsrmvn_4xn_kernelILj128ELj2ELj4EfEEvi20rocsparse_direction_NS_24const_host_device_scalarIT2_EEPKiS6_PKS3_S8_S4_PS3_21rocsparse_index_base_b,comdat
.Lfunc_end5:
	.size	_ZN9rocsparseL19gebsrmvn_4xn_kernelILj128ELj2ELj4EfEEvi20rocsparse_direction_NS_24const_host_device_scalarIT2_EEPKiS6_PKS3_S8_S4_PS3_21rocsparse_index_base_b, .Lfunc_end5-_ZN9rocsparseL19gebsrmvn_4xn_kernelILj128ELj2ELj4EfEEvi20rocsparse_direction_NS_24const_host_device_scalarIT2_EEPKiS6_PKS3_S8_S4_PS3_21rocsparse_index_base_b
                                        ; -- End function
	.set _ZN9rocsparseL19gebsrmvn_4xn_kernelILj128ELj2ELj4EfEEvi20rocsparse_direction_NS_24const_host_device_scalarIT2_EEPKiS6_PKS3_S8_S4_PS3_21rocsparse_index_base_b.num_vgpr, 26
	.set _ZN9rocsparseL19gebsrmvn_4xn_kernelILj128ELj2ELj4EfEEvi20rocsparse_direction_NS_24const_host_device_scalarIT2_EEPKiS6_PKS3_S8_S4_PS3_21rocsparse_index_base_b.num_agpr, 0
	.set _ZN9rocsparseL19gebsrmvn_4xn_kernelILj128ELj2ELj4EfEEvi20rocsparse_direction_NS_24const_host_device_scalarIT2_EEPKiS6_PKS3_S8_S4_PS3_21rocsparse_index_base_b.numbered_sgpr, 20
	.set _ZN9rocsparseL19gebsrmvn_4xn_kernelILj128ELj2ELj4EfEEvi20rocsparse_direction_NS_24const_host_device_scalarIT2_EEPKiS6_PKS3_S8_S4_PS3_21rocsparse_index_base_b.num_named_barrier, 0
	.set _ZN9rocsparseL19gebsrmvn_4xn_kernelILj128ELj2ELj4EfEEvi20rocsparse_direction_NS_24const_host_device_scalarIT2_EEPKiS6_PKS3_S8_S4_PS3_21rocsparse_index_base_b.private_seg_size, 0
	.set _ZN9rocsparseL19gebsrmvn_4xn_kernelILj128ELj2ELj4EfEEvi20rocsparse_direction_NS_24const_host_device_scalarIT2_EEPKiS6_PKS3_S8_S4_PS3_21rocsparse_index_base_b.uses_vcc, 1
	.set _ZN9rocsparseL19gebsrmvn_4xn_kernelILj128ELj2ELj4EfEEvi20rocsparse_direction_NS_24const_host_device_scalarIT2_EEPKiS6_PKS3_S8_S4_PS3_21rocsparse_index_base_b.uses_flat_scratch, 0
	.set _ZN9rocsparseL19gebsrmvn_4xn_kernelILj128ELj2ELj4EfEEvi20rocsparse_direction_NS_24const_host_device_scalarIT2_EEPKiS6_PKS3_S8_S4_PS3_21rocsparse_index_base_b.has_dyn_sized_stack, 0
	.set _ZN9rocsparseL19gebsrmvn_4xn_kernelILj128ELj2ELj4EfEEvi20rocsparse_direction_NS_24const_host_device_scalarIT2_EEPKiS6_PKS3_S8_S4_PS3_21rocsparse_index_base_b.has_recursion, 0
	.set _ZN9rocsparseL19gebsrmvn_4xn_kernelILj128ELj2ELj4EfEEvi20rocsparse_direction_NS_24const_host_device_scalarIT2_EEPKiS6_PKS3_S8_S4_PS3_21rocsparse_index_base_b.has_indirect_call, 0
	.section	.AMDGPU.csdata,"",@progbits
; Kernel info:
; codeLenInByte = 900
; TotalNumSgprs: 26
; NumVgprs: 26
; NumAgprs: 0
; TotalNumVgprs: 26
; ScratchSize: 0
; MemoryBound: 0
; FloatMode: 240
; IeeeMode: 1
; LDSByteSize: 0 bytes/workgroup (compile time only)
; SGPRBlocks: 3
; VGPRBlocks: 3
; NumSGPRsForWavesPerEU: 26
; NumVGPRsForWavesPerEU: 26
; AccumOffset: 28
; Occupancy: 8
; WaveLimiterHint : 1
; COMPUTE_PGM_RSRC2:SCRATCH_EN: 0
; COMPUTE_PGM_RSRC2:USER_SGPR: 2
; COMPUTE_PGM_RSRC2:TRAP_HANDLER: 0
; COMPUTE_PGM_RSRC2:TGID_X_EN: 1
; COMPUTE_PGM_RSRC2:TGID_Y_EN: 0
; COMPUTE_PGM_RSRC2:TGID_Z_EN: 0
; COMPUTE_PGM_RSRC2:TIDIG_COMP_CNT: 0
; COMPUTE_PGM_RSRC3_GFX90A:ACCUM_OFFSET: 6
; COMPUTE_PGM_RSRC3_GFX90A:TG_SPLIT: 0
	.section	.text._ZN9rocsparseL19gebsrmvn_4xn_kernelILj128ELj2ELj8EfEEvi20rocsparse_direction_NS_24const_host_device_scalarIT2_EEPKiS6_PKS3_S8_S4_PS3_21rocsparse_index_base_b,"axG",@progbits,_ZN9rocsparseL19gebsrmvn_4xn_kernelILj128ELj2ELj8EfEEvi20rocsparse_direction_NS_24const_host_device_scalarIT2_EEPKiS6_PKS3_S8_S4_PS3_21rocsparse_index_base_b,comdat
	.globl	_ZN9rocsparseL19gebsrmvn_4xn_kernelILj128ELj2ELj8EfEEvi20rocsparse_direction_NS_24const_host_device_scalarIT2_EEPKiS6_PKS3_S8_S4_PS3_21rocsparse_index_base_b ; -- Begin function _ZN9rocsparseL19gebsrmvn_4xn_kernelILj128ELj2ELj8EfEEvi20rocsparse_direction_NS_24const_host_device_scalarIT2_EEPKiS6_PKS3_S8_S4_PS3_21rocsparse_index_base_b
	.p2align	8
	.type	_ZN9rocsparseL19gebsrmvn_4xn_kernelILj128ELj2ELj8EfEEvi20rocsparse_direction_NS_24const_host_device_scalarIT2_EEPKiS6_PKS3_S8_S4_PS3_21rocsparse_index_base_b,@function
_ZN9rocsparseL19gebsrmvn_4xn_kernelILj128ELj2ELj8EfEEvi20rocsparse_direction_NS_24const_host_device_scalarIT2_EEPKiS6_PKS3_S8_S4_PS3_21rocsparse_index_base_b: ; @_ZN9rocsparseL19gebsrmvn_4xn_kernelILj128ELj2ELj8EfEEvi20rocsparse_direction_NS_24const_host_device_scalarIT2_EEPKiS6_PKS3_S8_S4_PS3_21rocsparse_index_base_b
; %bb.0:
	s_load_dwordx2 s[16:17], s[0:1], 0x40
	s_load_dwordx2 s[14:15], s[0:1], 0x8
	;; [unrolled: 1-line block ×3, first 2 shown]
	s_waitcnt lgkmcnt(0)
	s_bitcmp1_b32 s17, 0
	s_cselect_b64 s[6:7], -1, 0
	s_xor_b64 s[4:5], s[6:7], -1
	s_and_b64 vcc, exec, s[6:7]
	s_cbranch_vccnz .LBB6_2
; %bb.1:
	s_load_dword s14, s[14:15], 0x0
.LBB6_2:
	s_andn2_b64 vcc, exec, s[4:5]
	s_cbranch_vccnz .LBB6_4
; %bb.3:
	s_load_dword s12, s[12:13], 0x0
.LBB6_4:
	s_waitcnt lgkmcnt(0)
	v_cmp_eq_f32_e64 s[4:5], s14, 0
	v_cmp_eq_f32_e64 s[6:7], s12, 1.0
	s_and_b64 s[4:5], s[4:5], s[6:7]
	s_and_b64 vcc, exec, s[4:5]
	s_cbranch_vccnz .LBB6_22
; %bb.5:
	s_load_dwordx2 s[18:19], s[0:1], 0x0
	v_lshrrev_b32_e32 v1, 3, v0
	v_lshl_or_b32 v2, s2, 4, v1
	s_waitcnt lgkmcnt(0)
	v_cmp_gt_i32_e32 vcc, s18, v2
	s_and_saveexec_b64 s[2:3], vcc
	s_cbranch_execz .LBB6_22
; %bb.6:
	s_load_dwordx8 s[4:11], s[0:1], 0x10
	v_ashrrev_i32_e32 v3, 31, v2
	s_cmp_lg_u32 s19, 0
	s_waitcnt lgkmcnt(0)
	v_lshl_add_u64 v[4:5], v[2:3], 2, s[4:5]
	global_load_dwordx2 v[4:5], v[4:5], off
	v_and_b32_e32 v3, 7, v0
	s_waitcnt vmcnt(0)
	v_subrev_u32_e32 v0, s16, v4
	v_subrev_u32_e32 v12, s16, v5
	v_add_u32_e32 v4, v0, v3
	v_cmp_lt_i32_e64 s[2:3], v4, v12
	s_cbranch_scc0 .LBB6_12
; %bb.7:
	v_mov_b32_e32 v1, 0
	v_mov_b32_e32 v0, v1
	;; [unrolled: 1-line block ×4, first 2 shown]
	s_and_saveexec_b64 s[4:5], s[2:3]
	s_cbranch_execz .LBB6_11
; %bb.8:
	v_mov_b32_e32 v9, 0
	v_lshlrev_b32_e32 v8, 3, v4
	s_mov_b64 s[18:19], 0
	v_mov_b32_e32 v10, v4
	v_mov_b32_e32 v6, v9
	;; [unrolled: 1-line block ×5, first 2 shown]
.LBB6_9:                                ; =>This Inner Loop Header: Depth=1
	v_ashrrev_i32_e32 v11, 31, v10
	v_lshl_add_u64 v[14:15], v[10:11], 2, s[6:7]
	global_load_dword v5, v[14:15], off
	v_lshl_add_u64 v[22:23], v[8:9], 2, s[8:9]
	v_mov_b32_e32 v25, v9
	global_load_dwordx4 v[14:17], v[22:23], off offset:16
	global_load_dwordx4 v[18:21], v[22:23], off
	v_add_u32_e32 v10, 8, v10
	v_cmp_ge_i32_e32 vcc, v10, v12
	v_add_u32_e32 v8, 64, v8
	s_or_b64 s[18:19], vcc, s[18:19]
	s_waitcnt vmcnt(2)
	v_subrev_u32_e32 v5, s16, v5
	v_lshlrev_b32_e32 v24, 1, v5
	v_lshl_add_u64 v[22:23], v[24:25], 2, s[10:11]
	global_load_dwordx2 v[22:23], v[22:23], off
	s_waitcnt vmcnt(0)
	v_pk_fma_f32 v[6:7], v[18:19], v[22:23], v[6:7] op_sel_hi:[1,0,1]
	v_pk_fma_f32 v[0:1], v[20:21], v[22:23], v[0:1] op_sel_hi:[1,0,1]
	v_pk_fma_f32 v[6:7], v[14:15], v[22:23], v[6:7] op_sel:[0,1,0]
	v_pk_fma_f32 v[0:1], v[16:17], v[22:23], v[0:1] op_sel:[0,1,0]
	s_andn2_b64 exec, exec, s[18:19]
	s_cbranch_execnz .LBB6_9
; %bb.10:
	s_or_b64 exec, exec, s[18:19]
.LBB6_11:
	s_or_b64 exec, exec, s[4:5]
	s_cbranch_execz .LBB6_13
	s_branch .LBB6_18
.LBB6_12:
                                        ; implicit-def: $vgpr1
                                        ; implicit-def: $vgpr7
.LBB6_13:
	v_mov_b32_e32 v1, 0
	v_mov_b32_e32 v0, v1
	;; [unrolled: 1-line block ×4, first 2 shown]
	s_and_saveexec_b64 s[4:5], s[2:3]
	s_cbranch_execz .LBB6_17
; %bb.14:
	v_mov_b32_e32 v9, 0
	v_lshlrev_b32_e32 v8, 3, v4
	s_mov_b64 s[2:3], 0
	v_mov_b32_e32 v6, v9
	v_mov_b32_e32 v7, v9
	;; [unrolled: 1-line block ×4, first 2 shown]
.LBB6_15:                               ; =>This Inner Loop Header: Depth=1
	v_ashrrev_i32_e32 v5, 31, v4
	v_lshl_add_u64 v[10:11], v[4:5], 2, s[6:7]
	global_load_dword v5, v[10:11], off
	v_lshl_add_u64 v[10:11], v[8:9], 2, s[8:9]
	v_mov_b32_e32 v23, v9
	global_load_dwordx4 v[14:17], v[10:11], off
	global_load_dwordx4 v[18:21], v[10:11], off offset:16
	v_add_u32_e32 v4, 8, v4
	v_cmp_ge_i32_e32 vcc, v4, v12
	v_add_u32_e32 v8, 64, v8
	s_or_b64 s[2:3], vcc, s[2:3]
	s_waitcnt vmcnt(2)
	v_subrev_u32_e32 v5, s16, v5
	v_lshlrev_b32_e32 v22, 1, v5
	v_lshl_add_u64 v[10:11], v[22:23], 2, s[10:11]
	global_load_dwordx2 v[10:11], v[10:11], off
	s_waitcnt vmcnt(2)
	v_mov_b32_e32 v22, v14
	v_mov_b32_e32 v23, v16
	s_waitcnt vmcnt(1)
	v_mov_b32_e32 v24, v18
	v_mov_b32_e32 v25, v20
	;; [unrolled: 1-line block ×4, first 2 shown]
	s_waitcnt vmcnt(0)
	v_pk_fma_f32 v[6:7], v[22:23], v[10:11], v[6:7] op_sel_hi:[1,0,1]
	v_pk_fma_f32 v[0:1], v[24:25], v[10:11], v[0:1] op_sel_hi:[1,0,1]
	v_pk_fma_f32 v[6:7], v[16:17], v[10:11], v[6:7] op_sel:[0,1,0]
	v_pk_fma_f32 v[0:1], v[20:21], v[10:11], v[0:1] op_sel:[0,1,0]
	s_andn2_b64 exec, exec, s[2:3]
	s_cbranch_execnz .LBB6_15
; %bb.16:
	s_or_b64 exec, exec, s[2:3]
.LBB6_17:
	s_or_b64 exec, exec, s[4:5]
.LBB6_18:
	v_mov_b32_dpp v4, v6 row_shr:1 row_mask:0xf bank_mask:0xf
	v_mov_b32_dpp v5, v7 row_shr:1 row_mask:0xf bank_mask:0xf
	;; [unrolled: 1-line block ×4, first 2 shown]
	v_pk_add_f32 v[4:5], v[6:7], v[4:5]
	v_pk_add_f32 v[0:1], v[0:1], v[8:9]
	v_cmp_eq_u32_e32 vcc, 7, v3
	v_mov_b32_dpp v6, v4 row_shr:2 row_mask:0xf bank_mask:0xf
	v_mov_b32_dpp v7, v5 row_shr:2 row_mask:0xf bank_mask:0xf
	;; [unrolled: 1-line block ×4, first 2 shown]
	v_pk_add_f32 v[4:5], v[4:5], v[6:7]
	v_pk_add_f32 v[0:1], v[0:1], v[8:9]
	s_nop 0
	v_mov_b32_dpp v6, v4 row_shr:4 row_mask:0xf bank_mask:0xe
	v_mov_b32_dpp v7, v5 row_shr:4 row_mask:0xf bank_mask:0xe
	;; [unrolled: 1-line block ×4, first 2 shown]
	s_and_b64 exec, exec, vcc
	s_cbranch_execz .LBB6_22
; %bb.19:
	s_load_dwordx2 s[0:1], s[0:1], 0x38
	v_cmp_eq_f32_e64 s[2:3], s12, 0
	v_pk_add_f32 v[4:5], v[4:5], v[6:7]
	v_pk_add_f32 v[0:1], v[0:1], v[8:9]
	s_and_b64 vcc, exec, s[2:3]
	v_lshlrev_b32_e32 v2, 2, v2
	s_cbranch_vccz .LBB6_23
; %bb.20:
	v_ashrrev_i32_e32 v3, 31, v2
	s_waitcnt lgkmcnt(0)
	v_lshl_add_u64 v[10:11], v[2:3], 2, s[0:1]
	v_pk_mul_f32 v[6:7], s[14:15], v[4:5] op_sel_hi:[0,1]
	v_pk_mul_f32 v[8:9], s[14:15], v[0:1] op_sel_hi:[0,1]
	global_store_dwordx4 v[10:11], v[6:9], off
	s_cbranch_execnz .LBB6_22
.LBB6_21:
	v_ashrrev_i32_e32 v3, 31, v2
	s_waitcnt lgkmcnt(0)
	v_lshl_add_u64 v[10:11], v[2:3], 2, s[0:1]
	global_load_dwordx4 v[6:9], v[10:11], off
	v_pk_mul_f32 v[2:3], s[14:15], v[4:5] op_sel_hi:[0,1]
	v_pk_mul_f32 v[4:5], s[14:15], v[0:1] op_sel_hi:[0,1]
	s_waitcnt vmcnt(0)
	v_pk_fma_f32 v[0:1], s[12:13], v[6:7], v[2:3] op_sel_hi:[0,1,1]
	v_pk_fma_f32 v[2:3], s[12:13], v[8:9], v[4:5] op_sel_hi:[0,1,1]
	global_store_dwordx4 v[10:11], v[0:3], off
.LBB6_22:
	s_endpgm
.LBB6_23:
	s_branch .LBB6_21
	.section	.rodata,"a",@progbits
	.p2align	6, 0x0
	.amdhsa_kernel _ZN9rocsparseL19gebsrmvn_4xn_kernelILj128ELj2ELj8EfEEvi20rocsparse_direction_NS_24const_host_device_scalarIT2_EEPKiS6_PKS3_S8_S4_PS3_21rocsparse_index_base_b
		.amdhsa_group_segment_fixed_size 0
		.amdhsa_private_segment_fixed_size 0
		.amdhsa_kernarg_size 72
		.amdhsa_user_sgpr_count 2
		.amdhsa_user_sgpr_dispatch_ptr 0
		.amdhsa_user_sgpr_queue_ptr 0
		.amdhsa_user_sgpr_kernarg_segment_ptr 1
		.amdhsa_user_sgpr_dispatch_id 0
		.amdhsa_user_sgpr_kernarg_preload_length 0
		.amdhsa_user_sgpr_kernarg_preload_offset 0
		.amdhsa_user_sgpr_private_segment_size 0
		.amdhsa_uses_dynamic_stack 0
		.amdhsa_enable_private_segment 0
		.amdhsa_system_sgpr_workgroup_id_x 1
		.amdhsa_system_sgpr_workgroup_id_y 0
		.amdhsa_system_sgpr_workgroup_id_z 0
		.amdhsa_system_sgpr_workgroup_info 0
		.amdhsa_system_vgpr_workitem_id 0
		.amdhsa_next_free_vgpr 26
		.amdhsa_next_free_sgpr 20
		.amdhsa_accum_offset 28
		.amdhsa_reserve_vcc 1
		.amdhsa_float_round_mode_32 0
		.amdhsa_float_round_mode_16_64 0
		.amdhsa_float_denorm_mode_32 3
		.amdhsa_float_denorm_mode_16_64 3
		.amdhsa_dx10_clamp 1
		.amdhsa_ieee_mode 1
		.amdhsa_fp16_overflow 0
		.amdhsa_tg_split 0
		.amdhsa_exception_fp_ieee_invalid_op 0
		.amdhsa_exception_fp_denorm_src 0
		.amdhsa_exception_fp_ieee_div_zero 0
		.amdhsa_exception_fp_ieee_overflow 0
		.amdhsa_exception_fp_ieee_underflow 0
		.amdhsa_exception_fp_ieee_inexact 0
		.amdhsa_exception_int_div_zero 0
	.end_amdhsa_kernel
	.section	.text._ZN9rocsparseL19gebsrmvn_4xn_kernelILj128ELj2ELj8EfEEvi20rocsparse_direction_NS_24const_host_device_scalarIT2_EEPKiS6_PKS3_S8_S4_PS3_21rocsparse_index_base_b,"axG",@progbits,_ZN9rocsparseL19gebsrmvn_4xn_kernelILj128ELj2ELj8EfEEvi20rocsparse_direction_NS_24const_host_device_scalarIT2_EEPKiS6_PKS3_S8_S4_PS3_21rocsparse_index_base_b,comdat
.Lfunc_end6:
	.size	_ZN9rocsparseL19gebsrmvn_4xn_kernelILj128ELj2ELj8EfEEvi20rocsparse_direction_NS_24const_host_device_scalarIT2_EEPKiS6_PKS3_S8_S4_PS3_21rocsparse_index_base_b, .Lfunc_end6-_ZN9rocsparseL19gebsrmvn_4xn_kernelILj128ELj2ELj8EfEEvi20rocsparse_direction_NS_24const_host_device_scalarIT2_EEPKiS6_PKS3_S8_S4_PS3_21rocsparse_index_base_b
                                        ; -- End function
	.set _ZN9rocsparseL19gebsrmvn_4xn_kernelILj128ELj2ELj8EfEEvi20rocsparse_direction_NS_24const_host_device_scalarIT2_EEPKiS6_PKS3_S8_S4_PS3_21rocsparse_index_base_b.num_vgpr, 26
	.set _ZN9rocsparseL19gebsrmvn_4xn_kernelILj128ELj2ELj8EfEEvi20rocsparse_direction_NS_24const_host_device_scalarIT2_EEPKiS6_PKS3_S8_S4_PS3_21rocsparse_index_base_b.num_agpr, 0
	.set _ZN9rocsparseL19gebsrmvn_4xn_kernelILj128ELj2ELj8EfEEvi20rocsparse_direction_NS_24const_host_device_scalarIT2_EEPKiS6_PKS3_S8_S4_PS3_21rocsparse_index_base_b.numbered_sgpr, 20
	.set _ZN9rocsparseL19gebsrmvn_4xn_kernelILj128ELj2ELj8EfEEvi20rocsparse_direction_NS_24const_host_device_scalarIT2_EEPKiS6_PKS3_S8_S4_PS3_21rocsparse_index_base_b.num_named_barrier, 0
	.set _ZN9rocsparseL19gebsrmvn_4xn_kernelILj128ELj2ELj8EfEEvi20rocsparse_direction_NS_24const_host_device_scalarIT2_EEPKiS6_PKS3_S8_S4_PS3_21rocsparse_index_base_b.private_seg_size, 0
	.set _ZN9rocsparseL19gebsrmvn_4xn_kernelILj128ELj2ELj8EfEEvi20rocsparse_direction_NS_24const_host_device_scalarIT2_EEPKiS6_PKS3_S8_S4_PS3_21rocsparse_index_base_b.uses_vcc, 1
	.set _ZN9rocsparseL19gebsrmvn_4xn_kernelILj128ELj2ELj8EfEEvi20rocsparse_direction_NS_24const_host_device_scalarIT2_EEPKiS6_PKS3_S8_S4_PS3_21rocsparse_index_base_b.uses_flat_scratch, 0
	.set _ZN9rocsparseL19gebsrmvn_4xn_kernelILj128ELj2ELj8EfEEvi20rocsparse_direction_NS_24const_host_device_scalarIT2_EEPKiS6_PKS3_S8_S4_PS3_21rocsparse_index_base_b.has_dyn_sized_stack, 0
	.set _ZN9rocsparseL19gebsrmvn_4xn_kernelILj128ELj2ELj8EfEEvi20rocsparse_direction_NS_24const_host_device_scalarIT2_EEPKiS6_PKS3_S8_S4_PS3_21rocsparse_index_base_b.has_recursion, 0
	.set _ZN9rocsparseL19gebsrmvn_4xn_kernelILj128ELj2ELj8EfEEvi20rocsparse_direction_NS_24const_host_device_scalarIT2_EEPKiS6_PKS3_S8_S4_PS3_21rocsparse_index_base_b.has_indirect_call, 0
	.section	.AMDGPU.csdata,"",@progbits
; Kernel info:
; codeLenInByte = 952
; TotalNumSgprs: 26
; NumVgprs: 26
; NumAgprs: 0
; TotalNumVgprs: 26
; ScratchSize: 0
; MemoryBound: 0
; FloatMode: 240
; IeeeMode: 1
; LDSByteSize: 0 bytes/workgroup (compile time only)
; SGPRBlocks: 3
; VGPRBlocks: 3
; NumSGPRsForWavesPerEU: 26
; NumVGPRsForWavesPerEU: 26
; AccumOffset: 28
; Occupancy: 8
; WaveLimiterHint : 1
; COMPUTE_PGM_RSRC2:SCRATCH_EN: 0
; COMPUTE_PGM_RSRC2:USER_SGPR: 2
; COMPUTE_PGM_RSRC2:TRAP_HANDLER: 0
; COMPUTE_PGM_RSRC2:TGID_X_EN: 1
; COMPUTE_PGM_RSRC2:TGID_Y_EN: 0
; COMPUTE_PGM_RSRC2:TGID_Z_EN: 0
; COMPUTE_PGM_RSRC2:TIDIG_COMP_CNT: 0
; COMPUTE_PGM_RSRC3_GFX90A:ACCUM_OFFSET: 6
; COMPUTE_PGM_RSRC3_GFX90A:TG_SPLIT: 0
	.section	.text._ZN9rocsparseL19gebsrmvn_4xn_kernelILj128ELj2ELj16EfEEvi20rocsparse_direction_NS_24const_host_device_scalarIT2_EEPKiS6_PKS3_S8_S4_PS3_21rocsparse_index_base_b,"axG",@progbits,_ZN9rocsparseL19gebsrmvn_4xn_kernelILj128ELj2ELj16EfEEvi20rocsparse_direction_NS_24const_host_device_scalarIT2_EEPKiS6_PKS3_S8_S4_PS3_21rocsparse_index_base_b,comdat
	.globl	_ZN9rocsparseL19gebsrmvn_4xn_kernelILj128ELj2ELj16EfEEvi20rocsparse_direction_NS_24const_host_device_scalarIT2_EEPKiS6_PKS3_S8_S4_PS3_21rocsparse_index_base_b ; -- Begin function _ZN9rocsparseL19gebsrmvn_4xn_kernelILj128ELj2ELj16EfEEvi20rocsparse_direction_NS_24const_host_device_scalarIT2_EEPKiS6_PKS3_S8_S4_PS3_21rocsparse_index_base_b
	.p2align	8
	.type	_ZN9rocsparseL19gebsrmvn_4xn_kernelILj128ELj2ELj16EfEEvi20rocsparse_direction_NS_24const_host_device_scalarIT2_EEPKiS6_PKS3_S8_S4_PS3_21rocsparse_index_base_b,@function
_ZN9rocsparseL19gebsrmvn_4xn_kernelILj128ELj2ELj16EfEEvi20rocsparse_direction_NS_24const_host_device_scalarIT2_EEPKiS6_PKS3_S8_S4_PS3_21rocsparse_index_base_b: ; @_ZN9rocsparseL19gebsrmvn_4xn_kernelILj128ELj2ELj16EfEEvi20rocsparse_direction_NS_24const_host_device_scalarIT2_EEPKiS6_PKS3_S8_S4_PS3_21rocsparse_index_base_b
; %bb.0:
	s_load_dwordx2 s[16:17], s[0:1], 0x40
	s_load_dwordx2 s[14:15], s[0:1], 0x8
	;; [unrolled: 1-line block ×3, first 2 shown]
	s_waitcnt lgkmcnt(0)
	s_bitcmp1_b32 s17, 0
	s_cselect_b64 s[6:7], -1, 0
	s_xor_b64 s[4:5], s[6:7], -1
	s_and_b64 vcc, exec, s[6:7]
	s_cbranch_vccnz .LBB7_2
; %bb.1:
	s_load_dword s14, s[14:15], 0x0
.LBB7_2:
	s_andn2_b64 vcc, exec, s[4:5]
	s_cbranch_vccnz .LBB7_4
; %bb.3:
	s_load_dword s12, s[12:13], 0x0
.LBB7_4:
	s_waitcnt lgkmcnt(0)
	v_cmp_eq_f32_e64 s[4:5], s14, 0
	v_cmp_eq_f32_e64 s[6:7], s12, 1.0
	s_and_b64 s[4:5], s[4:5], s[6:7]
	s_and_b64 vcc, exec, s[4:5]
	s_cbranch_vccnz .LBB7_22
; %bb.5:
	s_load_dwordx2 s[18:19], s[0:1], 0x0
	v_lshrrev_b32_e32 v1, 4, v0
	v_lshl_or_b32 v2, s2, 3, v1
	s_waitcnt lgkmcnt(0)
	v_cmp_gt_i32_e32 vcc, s18, v2
	s_and_saveexec_b64 s[2:3], vcc
	s_cbranch_execz .LBB7_22
; %bb.6:
	s_load_dwordx8 s[4:11], s[0:1], 0x10
	v_ashrrev_i32_e32 v3, 31, v2
	s_cmp_lg_u32 s19, 0
	s_waitcnt lgkmcnt(0)
	v_lshl_add_u64 v[4:5], v[2:3], 2, s[4:5]
	global_load_dwordx2 v[4:5], v[4:5], off
	v_and_b32_e32 v3, 15, v0
	s_waitcnt vmcnt(0)
	v_subrev_u32_e32 v0, s16, v4
	v_subrev_u32_e32 v12, s16, v5
	v_add_u32_e32 v4, v0, v3
	v_cmp_lt_i32_e64 s[2:3], v4, v12
	s_cbranch_scc0 .LBB7_12
; %bb.7:
	v_mov_b32_e32 v1, 0
	v_mov_b32_e32 v0, v1
	v_mov_b32_e32 v7, v1
	v_mov_b32_e32 v6, v1
	s_and_saveexec_b64 s[4:5], s[2:3]
	s_cbranch_execz .LBB7_11
; %bb.8:
	v_mov_b32_e32 v9, 0
	v_lshlrev_b32_e32 v8, 3, v4
	s_mov_b64 s[18:19], 0
	v_mov_b32_e32 v10, v4
	v_mov_b32_e32 v6, v9
	;; [unrolled: 1-line block ×5, first 2 shown]
.LBB7_9:                                ; =>This Inner Loop Header: Depth=1
	v_ashrrev_i32_e32 v11, 31, v10
	v_lshl_add_u64 v[14:15], v[10:11], 2, s[6:7]
	global_load_dword v5, v[14:15], off
	v_lshl_add_u64 v[22:23], v[8:9], 2, s[8:9]
	v_mov_b32_e32 v25, v9
	global_load_dwordx4 v[14:17], v[22:23], off offset:16
	global_load_dwordx4 v[18:21], v[22:23], off
	v_add_u32_e32 v10, 16, v10
	v_cmp_ge_i32_e32 vcc, v10, v12
	v_add_u32_e32 v8, 0x80, v8
	s_or_b64 s[18:19], vcc, s[18:19]
	s_waitcnt vmcnt(2)
	v_subrev_u32_e32 v5, s16, v5
	v_lshlrev_b32_e32 v24, 1, v5
	v_lshl_add_u64 v[22:23], v[24:25], 2, s[10:11]
	global_load_dwordx2 v[22:23], v[22:23], off
	s_waitcnt vmcnt(0)
	v_pk_fma_f32 v[6:7], v[18:19], v[22:23], v[6:7] op_sel_hi:[1,0,1]
	v_pk_fma_f32 v[0:1], v[20:21], v[22:23], v[0:1] op_sel_hi:[1,0,1]
	v_pk_fma_f32 v[6:7], v[14:15], v[22:23], v[6:7] op_sel:[0,1,0]
	v_pk_fma_f32 v[0:1], v[16:17], v[22:23], v[0:1] op_sel:[0,1,0]
	s_andn2_b64 exec, exec, s[18:19]
	s_cbranch_execnz .LBB7_9
; %bb.10:
	s_or_b64 exec, exec, s[18:19]
.LBB7_11:
	s_or_b64 exec, exec, s[4:5]
	s_cbranch_execz .LBB7_13
	s_branch .LBB7_18
.LBB7_12:
                                        ; implicit-def: $vgpr1
                                        ; implicit-def: $vgpr7
.LBB7_13:
	v_mov_b32_e32 v1, 0
	v_mov_b32_e32 v0, v1
	;; [unrolled: 1-line block ×4, first 2 shown]
	s_and_saveexec_b64 s[4:5], s[2:3]
	s_cbranch_execz .LBB7_17
; %bb.14:
	v_mov_b32_e32 v9, 0
	v_lshlrev_b32_e32 v8, 3, v4
	s_mov_b64 s[2:3], 0
	v_mov_b32_e32 v6, v9
	v_mov_b32_e32 v7, v9
	;; [unrolled: 1-line block ×4, first 2 shown]
.LBB7_15:                               ; =>This Inner Loop Header: Depth=1
	v_ashrrev_i32_e32 v5, 31, v4
	v_lshl_add_u64 v[10:11], v[4:5], 2, s[6:7]
	global_load_dword v5, v[10:11], off
	v_lshl_add_u64 v[10:11], v[8:9], 2, s[8:9]
	v_mov_b32_e32 v23, v9
	global_load_dwordx4 v[14:17], v[10:11], off
	global_load_dwordx4 v[18:21], v[10:11], off offset:16
	v_add_u32_e32 v4, 16, v4
	v_cmp_ge_i32_e32 vcc, v4, v12
	v_add_u32_e32 v8, 0x80, v8
	s_or_b64 s[2:3], vcc, s[2:3]
	s_waitcnt vmcnt(2)
	v_subrev_u32_e32 v5, s16, v5
	v_lshlrev_b32_e32 v22, 1, v5
	v_lshl_add_u64 v[10:11], v[22:23], 2, s[10:11]
	global_load_dwordx2 v[10:11], v[10:11], off
	s_waitcnt vmcnt(2)
	v_mov_b32_e32 v22, v14
	v_mov_b32_e32 v23, v16
	s_waitcnt vmcnt(1)
	v_mov_b32_e32 v24, v18
	v_mov_b32_e32 v25, v20
	;; [unrolled: 1-line block ×4, first 2 shown]
	s_waitcnt vmcnt(0)
	v_pk_fma_f32 v[6:7], v[22:23], v[10:11], v[6:7] op_sel_hi:[1,0,1]
	v_pk_fma_f32 v[0:1], v[24:25], v[10:11], v[0:1] op_sel_hi:[1,0,1]
	v_pk_fma_f32 v[6:7], v[16:17], v[10:11], v[6:7] op_sel:[0,1,0]
	v_pk_fma_f32 v[0:1], v[20:21], v[10:11], v[0:1] op_sel:[0,1,0]
	s_andn2_b64 exec, exec, s[2:3]
	s_cbranch_execnz .LBB7_15
; %bb.16:
	s_or_b64 exec, exec, s[2:3]
.LBB7_17:
	s_or_b64 exec, exec, s[4:5]
.LBB7_18:
	v_mov_b32_dpp v4, v6 row_shr:1 row_mask:0xf bank_mask:0xf
	v_mov_b32_dpp v5, v7 row_shr:1 row_mask:0xf bank_mask:0xf
	;; [unrolled: 1-line block ×4, first 2 shown]
	v_pk_add_f32 v[4:5], v[6:7], v[4:5]
	v_pk_add_f32 v[0:1], v[0:1], v[8:9]
	v_cmp_eq_u32_e32 vcc, 15, v3
	v_mov_b32_dpp v6, v4 row_shr:2 row_mask:0xf bank_mask:0xf
	v_mov_b32_dpp v7, v5 row_shr:2 row_mask:0xf bank_mask:0xf
	;; [unrolled: 1-line block ×4, first 2 shown]
	v_pk_add_f32 v[4:5], v[4:5], v[6:7]
	v_pk_add_f32 v[0:1], v[0:1], v[8:9]
	s_nop 0
	v_mov_b32_dpp v6, v4 row_shr:4 row_mask:0xf bank_mask:0xe
	v_mov_b32_dpp v7, v5 row_shr:4 row_mask:0xf bank_mask:0xe
	;; [unrolled: 1-line block ×4, first 2 shown]
	v_pk_add_f32 v[4:5], v[4:5], v[6:7]
	v_pk_add_f32 v[0:1], v[0:1], v[8:9]
	s_nop 0
	v_mov_b32_dpp v6, v4 row_shr:8 row_mask:0xf bank_mask:0xc
	v_mov_b32_dpp v7, v5 row_shr:8 row_mask:0xf bank_mask:0xc
	;; [unrolled: 1-line block ×4, first 2 shown]
	s_and_b64 exec, exec, vcc
	s_cbranch_execz .LBB7_22
; %bb.19:
	s_load_dwordx2 s[0:1], s[0:1], 0x38
	v_cmp_eq_f32_e64 s[2:3], s12, 0
	v_pk_add_f32 v[4:5], v[4:5], v[6:7]
	v_pk_add_f32 v[0:1], v[0:1], v[8:9]
	s_and_b64 vcc, exec, s[2:3]
	v_lshlrev_b32_e32 v2, 2, v2
	s_cbranch_vccz .LBB7_23
; %bb.20:
	v_ashrrev_i32_e32 v3, 31, v2
	s_waitcnt lgkmcnt(0)
	v_lshl_add_u64 v[10:11], v[2:3], 2, s[0:1]
	v_pk_mul_f32 v[6:7], s[14:15], v[4:5] op_sel_hi:[0,1]
	v_pk_mul_f32 v[8:9], s[14:15], v[0:1] op_sel_hi:[0,1]
	global_store_dwordx4 v[10:11], v[6:9], off
	s_cbranch_execnz .LBB7_22
.LBB7_21:
	v_ashrrev_i32_e32 v3, 31, v2
	s_waitcnt lgkmcnt(0)
	v_lshl_add_u64 v[10:11], v[2:3], 2, s[0:1]
	global_load_dwordx4 v[6:9], v[10:11], off
	v_pk_mul_f32 v[2:3], s[14:15], v[4:5] op_sel_hi:[0,1]
	v_pk_mul_f32 v[4:5], s[14:15], v[0:1] op_sel_hi:[0,1]
	s_waitcnt vmcnt(0)
	v_pk_fma_f32 v[0:1], s[12:13], v[6:7], v[2:3] op_sel_hi:[0,1,1]
	v_pk_fma_f32 v[2:3], s[12:13], v[8:9], v[4:5] op_sel_hi:[0,1,1]
	global_store_dwordx4 v[10:11], v[0:3], off
.LBB7_22:
	s_endpgm
.LBB7_23:
	s_branch .LBB7_21
	.section	.rodata,"a",@progbits
	.p2align	6, 0x0
	.amdhsa_kernel _ZN9rocsparseL19gebsrmvn_4xn_kernelILj128ELj2ELj16EfEEvi20rocsparse_direction_NS_24const_host_device_scalarIT2_EEPKiS6_PKS3_S8_S4_PS3_21rocsparse_index_base_b
		.amdhsa_group_segment_fixed_size 0
		.amdhsa_private_segment_fixed_size 0
		.amdhsa_kernarg_size 72
		.amdhsa_user_sgpr_count 2
		.amdhsa_user_sgpr_dispatch_ptr 0
		.amdhsa_user_sgpr_queue_ptr 0
		.amdhsa_user_sgpr_kernarg_segment_ptr 1
		.amdhsa_user_sgpr_dispatch_id 0
		.amdhsa_user_sgpr_kernarg_preload_length 0
		.amdhsa_user_sgpr_kernarg_preload_offset 0
		.amdhsa_user_sgpr_private_segment_size 0
		.amdhsa_uses_dynamic_stack 0
		.amdhsa_enable_private_segment 0
		.amdhsa_system_sgpr_workgroup_id_x 1
		.amdhsa_system_sgpr_workgroup_id_y 0
		.amdhsa_system_sgpr_workgroup_id_z 0
		.amdhsa_system_sgpr_workgroup_info 0
		.amdhsa_system_vgpr_workitem_id 0
		.amdhsa_next_free_vgpr 26
		.amdhsa_next_free_sgpr 20
		.amdhsa_accum_offset 28
		.amdhsa_reserve_vcc 1
		.amdhsa_float_round_mode_32 0
		.amdhsa_float_round_mode_16_64 0
		.amdhsa_float_denorm_mode_32 3
		.amdhsa_float_denorm_mode_16_64 3
		.amdhsa_dx10_clamp 1
		.amdhsa_ieee_mode 1
		.amdhsa_fp16_overflow 0
		.amdhsa_tg_split 0
		.amdhsa_exception_fp_ieee_invalid_op 0
		.amdhsa_exception_fp_denorm_src 0
		.amdhsa_exception_fp_ieee_div_zero 0
		.amdhsa_exception_fp_ieee_overflow 0
		.amdhsa_exception_fp_ieee_underflow 0
		.amdhsa_exception_fp_ieee_inexact 0
		.amdhsa_exception_int_div_zero 0
	.end_amdhsa_kernel
	.section	.text._ZN9rocsparseL19gebsrmvn_4xn_kernelILj128ELj2ELj16EfEEvi20rocsparse_direction_NS_24const_host_device_scalarIT2_EEPKiS6_PKS3_S8_S4_PS3_21rocsparse_index_base_b,"axG",@progbits,_ZN9rocsparseL19gebsrmvn_4xn_kernelILj128ELj2ELj16EfEEvi20rocsparse_direction_NS_24const_host_device_scalarIT2_EEPKiS6_PKS3_S8_S4_PS3_21rocsparse_index_base_b,comdat
.Lfunc_end7:
	.size	_ZN9rocsparseL19gebsrmvn_4xn_kernelILj128ELj2ELj16EfEEvi20rocsparse_direction_NS_24const_host_device_scalarIT2_EEPKiS6_PKS3_S8_S4_PS3_21rocsparse_index_base_b, .Lfunc_end7-_ZN9rocsparseL19gebsrmvn_4xn_kernelILj128ELj2ELj16EfEEvi20rocsparse_direction_NS_24const_host_device_scalarIT2_EEPKiS6_PKS3_S8_S4_PS3_21rocsparse_index_base_b
                                        ; -- End function
	.set _ZN9rocsparseL19gebsrmvn_4xn_kernelILj128ELj2ELj16EfEEvi20rocsparse_direction_NS_24const_host_device_scalarIT2_EEPKiS6_PKS3_S8_S4_PS3_21rocsparse_index_base_b.num_vgpr, 26
	.set _ZN9rocsparseL19gebsrmvn_4xn_kernelILj128ELj2ELj16EfEEvi20rocsparse_direction_NS_24const_host_device_scalarIT2_EEPKiS6_PKS3_S8_S4_PS3_21rocsparse_index_base_b.num_agpr, 0
	.set _ZN9rocsparseL19gebsrmvn_4xn_kernelILj128ELj2ELj16EfEEvi20rocsparse_direction_NS_24const_host_device_scalarIT2_EEPKiS6_PKS3_S8_S4_PS3_21rocsparse_index_base_b.numbered_sgpr, 20
	.set _ZN9rocsparseL19gebsrmvn_4xn_kernelILj128ELj2ELj16EfEEvi20rocsparse_direction_NS_24const_host_device_scalarIT2_EEPKiS6_PKS3_S8_S4_PS3_21rocsparse_index_base_b.num_named_barrier, 0
	.set _ZN9rocsparseL19gebsrmvn_4xn_kernelILj128ELj2ELj16EfEEvi20rocsparse_direction_NS_24const_host_device_scalarIT2_EEPKiS6_PKS3_S8_S4_PS3_21rocsparse_index_base_b.private_seg_size, 0
	.set _ZN9rocsparseL19gebsrmvn_4xn_kernelILj128ELj2ELj16EfEEvi20rocsparse_direction_NS_24const_host_device_scalarIT2_EEPKiS6_PKS3_S8_S4_PS3_21rocsparse_index_base_b.uses_vcc, 1
	.set _ZN9rocsparseL19gebsrmvn_4xn_kernelILj128ELj2ELj16EfEEvi20rocsparse_direction_NS_24const_host_device_scalarIT2_EEPKiS6_PKS3_S8_S4_PS3_21rocsparse_index_base_b.uses_flat_scratch, 0
	.set _ZN9rocsparseL19gebsrmvn_4xn_kernelILj128ELj2ELj16EfEEvi20rocsparse_direction_NS_24const_host_device_scalarIT2_EEPKiS6_PKS3_S8_S4_PS3_21rocsparse_index_base_b.has_dyn_sized_stack, 0
	.set _ZN9rocsparseL19gebsrmvn_4xn_kernelILj128ELj2ELj16EfEEvi20rocsparse_direction_NS_24const_host_device_scalarIT2_EEPKiS6_PKS3_S8_S4_PS3_21rocsparse_index_base_b.has_recursion, 0
	.set _ZN9rocsparseL19gebsrmvn_4xn_kernelILj128ELj2ELj16EfEEvi20rocsparse_direction_NS_24const_host_device_scalarIT2_EEPKiS6_PKS3_S8_S4_PS3_21rocsparse_index_base_b.has_indirect_call, 0
	.section	.AMDGPU.csdata,"",@progbits
; Kernel info:
; codeLenInByte = 1012
; TotalNumSgprs: 26
; NumVgprs: 26
; NumAgprs: 0
; TotalNumVgprs: 26
; ScratchSize: 0
; MemoryBound: 0
; FloatMode: 240
; IeeeMode: 1
; LDSByteSize: 0 bytes/workgroup (compile time only)
; SGPRBlocks: 3
; VGPRBlocks: 3
; NumSGPRsForWavesPerEU: 26
; NumVGPRsForWavesPerEU: 26
; AccumOffset: 28
; Occupancy: 8
; WaveLimiterHint : 1
; COMPUTE_PGM_RSRC2:SCRATCH_EN: 0
; COMPUTE_PGM_RSRC2:USER_SGPR: 2
; COMPUTE_PGM_RSRC2:TRAP_HANDLER: 0
; COMPUTE_PGM_RSRC2:TGID_X_EN: 1
; COMPUTE_PGM_RSRC2:TGID_Y_EN: 0
; COMPUTE_PGM_RSRC2:TGID_Z_EN: 0
; COMPUTE_PGM_RSRC2:TIDIG_COMP_CNT: 0
; COMPUTE_PGM_RSRC3_GFX90A:ACCUM_OFFSET: 6
; COMPUTE_PGM_RSRC3_GFX90A:TG_SPLIT: 0
	.section	.text._ZN9rocsparseL19gebsrmvn_4xn_kernelILj128ELj2ELj32EfEEvi20rocsparse_direction_NS_24const_host_device_scalarIT2_EEPKiS6_PKS3_S8_S4_PS3_21rocsparse_index_base_b,"axG",@progbits,_ZN9rocsparseL19gebsrmvn_4xn_kernelILj128ELj2ELj32EfEEvi20rocsparse_direction_NS_24const_host_device_scalarIT2_EEPKiS6_PKS3_S8_S4_PS3_21rocsparse_index_base_b,comdat
	.globl	_ZN9rocsparseL19gebsrmvn_4xn_kernelILj128ELj2ELj32EfEEvi20rocsparse_direction_NS_24const_host_device_scalarIT2_EEPKiS6_PKS3_S8_S4_PS3_21rocsparse_index_base_b ; -- Begin function _ZN9rocsparseL19gebsrmvn_4xn_kernelILj128ELj2ELj32EfEEvi20rocsparse_direction_NS_24const_host_device_scalarIT2_EEPKiS6_PKS3_S8_S4_PS3_21rocsparse_index_base_b
	.p2align	8
	.type	_ZN9rocsparseL19gebsrmvn_4xn_kernelILj128ELj2ELj32EfEEvi20rocsparse_direction_NS_24const_host_device_scalarIT2_EEPKiS6_PKS3_S8_S4_PS3_21rocsparse_index_base_b,@function
_ZN9rocsparseL19gebsrmvn_4xn_kernelILj128ELj2ELj32EfEEvi20rocsparse_direction_NS_24const_host_device_scalarIT2_EEPKiS6_PKS3_S8_S4_PS3_21rocsparse_index_base_b: ; @_ZN9rocsparseL19gebsrmvn_4xn_kernelILj128ELj2ELj32EfEEvi20rocsparse_direction_NS_24const_host_device_scalarIT2_EEPKiS6_PKS3_S8_S4_PS3_21rocsparse_index_base_b
; %bb.0:
	s_load_dwordx2 s[16:17], s[0:1], 0x40
	s_load_dwordx2 s[14:15], s[0:1], 0x8
	;; [unrolled: 1-line block ×3, first 2 shown]
	s_waitcnt lgkmcnt(0)
	s_bitcmp1_b32 s17, 0
	s_cselect_b64 s[6:7], -1, 0
	s_xor_b64 s[4:5], s[6:7], -1
	s_and_b64 vcc, exec, s[6:7]
	s_cbranch_vccnz .LBB8_2
; %bb.1:
	s_load_dword s14, s[14:15], 0x0
.LBB8_2:
	s_andn2_b64 vcc, exec, s[4:5]
	s_cbranch_vccnz .LBB8_4
; %bb.3:
	s_load_dword s12, s[12:13], 0x0
.LBB8_4:
	s_waitcnt lgkmcnt(0)
	v_cmp_eq_f32_e64 s[4:5], s14, 0
	v_cmp_eq_f32_e64 s[6:7], s12, 1.0
	s_and_b64 s[4:5], s[4:5], s[6:7]
	s_and_b64 vcc, exec, s[4:5]
	s_cbranch_vccnz .LBB8_22
; %bb.5:
	s_load_dwordx2 s[18:19], s[0:1], 0x0
	v_lshrrev_b32_e32 v1, 5, v0
	v_lshl_or_b32 v2, s2, 2, v1
	s_waitcnt lgkmcnt(0)
	v_cmp_gt_i32_e32 vcc, s18, v2
	s_and_saveexec_b64 s[2:3], vcc
	s_cbranch_execz .LBB8_22
; %bb.6:
	s_load_dwordx8 s[4:11], s[0:1], 0x10
	v_ashrrev_i32_e32 v3, 31, v2
	s_cmp_lg_u32 s19, 0
	s_waitcnt lgkmcnt(0)
	v_lshl_add_u64 v[4:5], v[2:3], 2, s[4:5]
	global_load_dwordx2 v[4:5], v[4:5], off
	v_and_b32_e32 v3, 31, v0
	s_waitcnt vmcnt(0)
	v_subrev_u32_e32 v0, s16, v4
	v_subrev_u32_e32 v12, s16, v5
	v_add_u32_e32 v4, v0, v3
	v_cmp_lt_i32_e64 s[2:3], v4, v12
	s_cbranch_scc0 .LBB8_12
; %bb.7:
	v_mov_b32_e32 v1, 0
	v_mov_b32_e32 v0, v1
	;; [unrolled: 1-line block ×4, first 2 shown]
	s_and_saveexec_b64 s[4:5], s[2:3]
	s_cbranch_execz .LBB8_11
; %bb.8:
	v_mov_b32_e32 v9, 0
	v_lshlrev_b32_e32 v8, 3, v4
	s_mov_b64 s[18:19], 0
	v_mov_b32_e32 v10, v4
	v_mov_b32_e32 v6, v9
	;; [unrolled: 1-line block ×5, first 2 shown]
.LBB8_9:                                ; =>This Inner Loop Header: Depth=1
	v_ashrrev_i32_e32 v11, 31, v10
	v_lshl_add_u64 v[14:15], v[10:11], 2, s[6:7]
	global_load_dword v5, v[14:15], off
	v_lshl_add_u64 v[22:23], v[8:9], 2, s[8:9]
	v_mov_b32_e32 v25, v9
	global_load_dwordx4 v[14:17], v[22:23], off offset:16
	global_load_dwordx4 v[18:21], v[22:23], off
	v_add_u32_e32 v10, 32, v10
	v_cmp_ge_i32_e32 vcc, v10, v12
	v_add_u32_e32 v8, 0x100, v8
	s_or_b64 s[18:19], vcc, s[18:19]
	s_waitcnt vmcnt(2)
	v_subrev_u32_e32 v5, s16, v5
	v_lshlrev_b32_e32 v24, 1, v5
	v_lshl_add_u64 v[22:23], v[24:25], 2, s[10:11]
	global_load_dwordx2 v[22:23], v[22:23], off
	s_waitcnt vmcnt(0)
	v_pk_fma_f32 v[6:7], v[18:19], v[22:23], v[6:7] op_sel_hi:[1,0,1]
	v_pk_fma_f32 v[0:1], v[20:21], v[22:23], v[0:1] op_sel_hi:[1,0,1]
	v_pk_fma_f32 v[6:7], v[14:15], v[22:23], v[6:7] op_sel:[0,1,0]
	v_pk_fma_f32 v[0:1], v[16:17], v[22:23], v[0:1] op_sel:[0,1,0]
	s_andn2_b64 exec, exec, s[18:19]
	s_cbranch_execnz .LBB8_9
; %bb.10:
	s_or_b64 exec, exec, s[18:19]
.LBB8_11:
	s_or_b64 exec, exec, s[4:5]
	s_cbranch_execz .LBB8_13
	s_branch .LBB8_18
.LBB8_12:
                                        ; implicit-def: $vgpr1
                                        ; implicit-def: $vgpr7
.LBB8_13:
	v_mov_b32_e32 v1, 0
	v_mov_b32_e32 v0, v1
	;; [unrolled: 1-line block ×4, first 2 shown]
	s_and_saveexec_b64 s[4:5], s[2:3]
	s_cbranch_execz .LBB8_17
; %bb.14:
	v_mov_b32_e32 v9, 0
	v_lshlrev_b32_e32 v8, 3, v4
	s_mov_b64 s[2:3], 0
	v_mov_b32_e32 v6, v9
	v_mov_b32_e32 v7, v9
	v_mov_b32_e32 v0, v9
	v_mov_b32_e32 v1, v9
.LBB8_15:                               ; =>This Inner Loop Header: Depth=1
	v_ashrrev_i32_e32 v5, 31, v4
	v_lshl_add_u64 v[10:11], v[4:5], 2, s[6:7]
	global_load_dword v5, v[10:11], off
	v_lshl_add_u64 v[10:11], v[8:9], 2, s[8:9]
	v_mov_b32_e32 v23, v9
	global_load_dwordx4 v[14:17], v[10:11], off
	global_load_dwordx4 v[18:21], v[10:11], off offset:16
	v_add_u32_e32 v4, 32, v4
	v_cmp_ge_i32_e32 vcc, v4, v12
	v_add_u32_e32 v8, 0x100, v8
	s_or_b64 s[2:3], vcc, s[2:3]
	s_waitcnt vmcnt(2)
	v_subrev_u32_e32 v5, s16, v5
	v_lshlrev_b32_e32 v22, 1, v5
	v_lshl_add_u64 v[10:11], v[22:23], 2, s[10:11]
	global_load_dwordx2 v[10:11], v[10:11], off
	s_waitcnt vmcnt(2)
	v_mov_b32_e32 v22, v14
	v_mov_b32_e32 v23, v16
	s_waitcnt vmcnt(1)
	v_mov_b32_e32 v24, v18
	v_mov_b32_e32 v25, v20
	;; [unrolled: 1-line block ×4, first 2 shown]
	s_waitcnt vmcnt(0)
	v_pk_fma_f32 v[6:7], v[22:23], v[10:11], v[6:7] op_sel_hi:[1,0,1]
	v_pk_fma_f32 v[0:1], v[24:25], v[10:11], v[0:1] op_sel_hi:[1,0,1]
	v_pk_fma_f32 v[6:7], v[16:17], v[10:11], v[6:7] op_sel:[0,1,0]
	v_pk_fma_f32 v[0:1], v[20:21], v[10:11], v[0:1] op_sel:[0,1,0]
	s_andn2_b64 exec, exec, s[2:3]
	s_cbranch_execnz .LBB8_15
; %bb.16:
	s_or_b64 exec, exec, s[2:3]
.LBB8_17:
	s_or_b64 exec, exec, s[4:5]
.LBB8_18:
	v_mov_b32_dpp v4, v6 row_shr:1 row_mask:0xf bank_mask:0xf
	v_mov_b32_dpp v5, v7 row_shr:1 row_mask:0xf bank_mask:0xf
	;; [unrolled: 1-line block ×4, first 2 shown]
	v_pk_add_f32 v[4:5], v[6:7], v[4:5]
	v_pk_add_f32 v[0:1], v[0:1], v[8:9]
	v_cmp_eq_u32_e32 vcc, 31, v3
	v_mov_b32_dpp v6, v4 row_shr:2 row_mask:0xf bank_mask:0xf
	v_mov_b32_dpp v7, v5 row_shr:2 row_mask:0xf bank_mask:0xf
	v_mov_b32_dpp v8, v0 row_shr:2 row_mask:0xf bank_mask:0xf
	v_mov_b32_dpp v9, v1 row_shr:2 row_mask:0xf bank_mask:0xf
	v_pk_add_f32 v[4:5], v[4:5], v[6:7]
	v_pk_add_f32 v[0:1], v[0:1], v[8:9]
	s_nop 0
	v_mov_b32_dpp v6, v4 row_shr:4 row_mask:0xf bank_mask:0xe
	v_mov_b32_dpp v7, v5 row_shr:4 row_mask:0xf bank_mask:0xe
	v_mov_b32_dpp v8, v0 row_shr:4 row_mask:0xf bank_mask:0xe
	v_mov_b32_dpp v9, v1 row_shr:4 row_mask:0xf bank_mask:0xe
	v_pk_add_f32 v[4:5], v[4:5], v[6:7]
	v_pk_add_f32 v[0:1], v[0:1], v[8:9]
	s_nop 0
	;; [unrolled: 7-line block ×3, first 2 shown]
	v_mov_b32_dpp v6, v4 row_bcast:15 row_mask:0xa bank_mask:0xf
	v_mov_b32_dpp v7, v5 row_bcast:15 row_mask:0xa bank_mask:0xf
	;; [unrolled: 1-line block ×4, first 2 shown]
	s_and_b64 exec, exec, vcc
	s_cbranch_execz .LBB8_22
; %bb.19:
	s_load_dwordx2 s[0:1], s[0:1], 0x38
	v_cmp_eq_f32_e64 s[2:3], s12, 0
	v_pk_add_f32 v[4:5], v[4:5], v[6:7]
	v_pk_add_f32 v[0:1], v[0:1], v[8:9]
	s_and_b64 vcc, exec, s[2:3]
	v_lshlrev_b32_e32 v2, 2, v2
	s_cbranch_vccz .LBB8_23
; %bb.20:
	v_ashrrev_i32_e32 v3, 31, v2
	s_waitcnt lgkmcnt(0)
	v_lshl_add_u64 v[10:11], v[2:3], 2, s[0:1]
	v_pk_mul_f32 v[6:7], s[14:15], v[4:5] op_sel_hi:[0,1]
	v_pk_mul_f32 v[8:9], s[14:15], v[0:1] op_sel_hi:[0,1]
	global_store_dwordx4 v[10:11], v[6:9], off
	s_cbranch_execnz .LBB8_22
.LBB8_21:
	v_ashrrev_i32_e32 v3, 31, v2
	s_waitcnt lgkmcnt(0)
	v_lshl_add_u64 v[10:11], v[2:3], 2, s[0:1]
	global_load_dwordx4 v[6:9], v[10:11], off
	v_pk_mul_f32 v[2:3], s[14:15], v[4:5] op_sel_hi:[0,1]
	v_pk_mul_f32 v[4:5], s[14:15], v[0:1] op_sel_hi:[0,1]
	s_waitcnt vmcnt(0)
	v_pk_fma_f32 v[0:1], s[12:13], v[6:7], v[2:3] op_sel_hi:[0,1,1]
	v_pk_fma_f32 v[2:3], s[12:13], v[8:9], v[4:5] op_sel_hi:[0,1,1]
	global_store_dwordx4 v[10:11], v[0:3], off
.LBB8_22:
	s_endpgm
.LBB8_23:
	s_branch .LBB8_21
	.section	.rodata,"a",@progbits
	.p2align	6, 0x0
	.amdhsa_kernel _ZN9rocsparseL19gebsrmvn_4xn_kernelILj128ELj2ELj32EfEEvi20rocsparse_direction_NS_24const_host_device_scalarIT2_EEPKiS6_PKS3_S8_S4_PS3_21rocsparse_index_base_b
		.amdhsa_group_segment_fixed_size 0
		.amdhsa_private_segment_fixed_size 0
		.amdhsa_kernarg_size 72
		.amdhsa_user_sgpr_count 2
		.amdhsa_user_sgpr_dispatch_ptr 0
		.amdhsa_user_sgpr_queue_ptr 0
		.amdhsa_user_sgpr_kernarg_segment_ptr 1
		.amdhsa_user_sgpr_dispatch_id 0
		.amdhsa_user_sgpr_kernarg_preload_length 0
		.amdhsa_user_sgpr_kernarg_preload_offset 0
		.amdhsa_user_sgpr_private_segment_size 0
		.amdhsa_uses_dynamic_stack 0
		.amdhsa_enable_private_segment 0
		.amdhsa_system_sgpr_workgroup_id_x 1
		.amdhsa_system_sgpr_workgroup_id_y 0
		.amdhsa_system_sgpr_workgroup_id_z 0
		.amdhsa_system_sgpr_workgroup_info 0
		.amdhsa_system_vgpr_workitem_id 0
		.amdhsa_next_free_vgpr 26
		.amdhsa_next_free_sgpr 20
		.amdhsa_accum_offset 28
		.amdhsa_reserve_vcc 1
		.amdhsa_float_round_mode_32 0
		.amdhsa_float_round_mode_16_64 0
		.amdhsa_float_denorm_mode_32 3
		.amdhsa_float_denorm_mode_16_64 3
		.amdhsa_dx10_clamp 1
		.amdhsa_ieee_mode 1
		.amdhsa_fp16_overflow 0
		.amdhsa_tg_split 0
		.amdhsa_exception_fp_ieee_invalid_op 0
		.amdhsa_exception_fp_denorm_src 0
		.amdhsa_exception_fp_ieee_div_zero 0
		.amdhsa_exception_fp_ieee_overflow 0
		.amdhsa_exception_fp_ieee_underflow 0
		.amdhsa_exception_fp_ieee_inexact 0
		.amdhsa_exception_int_div_zero 0
	.end_amdhsa_kernel
	.section	.text._ZN9rocsparseL19gebsrmvn_4xn_kernelILj128ELj2ELj32EfEEvi20rocsparse_direction_NS_24const_host_device_scalarIT2_EEPKiS6_PKS3_S8_S4_PS3_21rocsparse_index_base_b,"axG",@progbits,_ZN9rocsparseL19gebsrmvn_4xn_kernelILj128ELj2ELj32EfEEvi20rocsparse_direction_NS_24const_host_device_scalarIT2_EEPKiS6_PKS3_S8_S4_PS3_21rocsparse_index_base_b,comdat
.Lfunc_end8:
	.size	_ZN9rocsparseL19gebsrmvn_4xn_kernelILj128ELj2ELj32EfEEvi20rocsparse_direction_NS_24const_host_device_scalarIT2_EEPKiS6_PKS3_S8_S4_PS3_21rocsparse_index_base_b, .Lfunc_end8-_ZN9rocsparseL19gebsrmvn_4xn_kernelILj128ELj2ELj32EfEEvi20rocsparse_direction_NS_24const_host_device_scalarIT2_EEPKiS6_PKS3_S8_S4_PS3_21rocsparse_index_base_b
                                        ; -- End function
	.set _ZN9rocsparseL19gebsrmvn_4xn_kernelILj128ELj2ELj32EfEEvi20rocsparse_direction_NS_24const_host_device_scalarIT2_EEPKiS6_PKS3_S8_S4_PS3_21rocsparse_index_base_b.num_vgpr, 26
	.set _ZN9rocsparseL19gebsrmvn_4xn_kernelILj128ELj2ELj32EfEEvi20rocsparse_direction_NS_24const_host_device_scalarIT2_EEPKiS6_PKS3_S8_S4_PS3_21rocsparse_index_base_b.num_agpr, 0
	.set _ZN9rocsparseL19gebsrmvn_4xn_kernelILj128ELj2ELj32EfEEvi20rocsparse_direction_NS_24const_host_device_scalarIT2_EEPKiS6_PKS3_S8_S4_PS3_21rocsparse_index_base_b.numbered_sgpr, 20
	.set _ZN9rocsparseL19gebsrmvn_4xn_kernelILj128ELj2ELj32EfEEvi20rocsparse_direction_NS_24const_host_device_scalarIT2_EEPKiS6_PKS3_S8_S4_PS3_21rocsparse_index_base_b.num_named_barrier, 0
	.set _ZN9rocsparseL19gebsrmvn_4xn_kernelILj128ELj2ELj32EfEEvi20rocsparse_direction_NS_24const_host_device_scalarIT2_EEPKiS6_PKS3_S8_S4_PS3_21rocsparse_index_base_b.private_seg_size, 0
	.set _ZN9rocsparseL19gebsrmvn_4xn_kernelILj128ELj2ELj32EfEEvi20rocsparse_direction_NS_24const_host_device_scalarIT2_EEPKiS6_PKS3_S8_S4_PS3_21rocsparse_index_base_b.uses_vcc, 1
	.set _ZN9rocsparseL19gebsrmvn_4xn_kernelILj128ELj2ELj32EfEEvi20rocsparse_direction_NS_24const_host_device_scalarIT2_EEPKiS6_PKS3_S8_S4_PS3_21rocsparse_index_base_b.uses_flat_scratch, 0
	.set _ZN9rocsparseL19gebsrmvn_4xn_kernelILj128ELj2ELj32EfEEvi20rocsparse_direction_NS_24const_host_device_scalarIT2_EEPKiS6_PKS3_S8_S4_PS3_21rocsparse_index_base_b.has_dyn_sized_stack, 0
	.set _ZN9rocsparseL19gebsrmvn_4xn_kernelILj128ELj2ELj32EfEEvi20rocsparse_direction_NS_24const_host_device_scalarIT2_EEPKiS6_PKS3_S8_S4_PS3_21rocsparse_index_base_b.has_recursion, 0
	.set _ZN9rocsparseL19gebsrmvn_4xn_kernelILj128ELj2ELj32EfEEvi20rocsparse_direction_NS_24const_host_device_scalarIT2_EEPKiS6_PKS3_S8_S4_PS3_21rocsparse_index_base_b.has_indirect_call, 0
	.section	.AMDGPU.csdata,"",@progbits
; Kernel info:
; codeLenInByte = 1064
; TotalNumSgprs: 26
; NumVgprs: 26
; NumAgprs: 0
; TotalNumVgprs: 26
; ScratchSize: 0
; MemoryBound: 0
; FloatMode: 240
; IeeeMode: 1
; LDSByteSize: 0 bytes/workgroup (compile time only)
; SGPRBlocks: 3
; VGPRBlocks: 3
; NumSGPRsForWavesPerEU: 26
; NumVGPRsForWavesPerEU: 26
; AccumOffset: 28
; Occupancy: 8
; WaveLimiterHint : 1
; COMPUTE_PGM_RSRC2:SCRATCH_EN: 0
; COMPUTE_PGM_RSRC2:USER_SGPR: 2
; COMPUTE_PGM_RSRC2:TRAP_HANDLER: 0
; COMPUTE_PGM_RSRC2:TGID_X_EN: 1
; COMPUTE_PGM_RSRC2:TGID_Y_EN: 0
; COMPUTE_PGM_RSRC2:TGID_Z_EN: 0
; COMPUTE_PGM_RSRC2:TIDIG_COMP_CNT: 0
; COMPUTE_PGM_RSRC3_GFX90A:ACCUM_OFFSET: 6
; COMPUTE_PGM_RSRC3_GFX90A:TG_SPLIT: 0
	.section	.text._ZN9rocsparseL19gebsrmvn_4xn_kernelILj128ELj2ELj64EfEEvi20rocsparse_direction_NS_24const_host_device_scalarIT2_EEPKiS6_PKS3_S8_S4_PS3_21rocsparse_index_base_b,"axG",@progbits,_ZN9rocsparseL19gebsrmvn_4xn_kernelILj128ELj2ELj64EfEEvi20rocsparse_direction_NS_24const_host_device_scalarIT2_EEPKiS6_PKS3_S8_S4_PS3_21rocsparse_index_base_b,comdat
	.globl	_ZN9rocsparseL19gebsrmvn_4xn_kernelILj128ELj2ELj64EfEEvi20rocsparse_direction_NS_24const_host_device_scalarIT2_EEPKiS6_PKS3_S8_S4_PS3_21rocsparse_index_base_b ; -- Begin function _ZN9rocsparseL19gebsrmvn_4xn_kernelILj128ELj2ELj64EfEEvi20rocsparse_direction_NS_24const_host_device_scalarIT2_EEPKiS6_PKS3_S8_S4_PS3_21rocsparse_index_base_b
	.p2align	8
	.type	_ZN9rocsparseL19gebsrmvn_4xn_kernelILj128ELj2ELj64EfEEvi20rocsparse_direction_NS_24const_host_device_scalarIT2_EEPKiS6_PKS3_S8_S4_PS3_21rocsparse_index_base_b,@function
_ZN9rocsparseL19gebsrmvn_4xn_kernelILj128ELj2ELj64EfEEvi20rocsparse_direction_NS_24const_host_device_scalarIT2_EEPKiS6_PKS3_S8_S4_PS3_21rocsparse_index_base_b: ; @_ZN9rocsparseL19gebsrmvn_4xn_kernelILj128ELj2ELj64EfEEvi20rocsparse_direction_NS_24const_host_device_scalarIT2_EEPKiS6_PKS3_S8_S4_PS3_21rocsparse_index_base_b
; %bb.0:
	s_load_dwordx2 s[16:17], s[0:1], 0x40
	s_load_dwordx2 s[14:15], s[0:1], 0x8
	;; [unrolled: 1-line block ×3, first 2 shown]
	s_waitcnt lgkmcnt(0)
	s_bitcmp1_b32 s17, 0
	s_cselect_b64 s[6:7], -1, 0
	s_xor_b64 s[4:5], s[6:7], -1
	s_and_b64 vcc, exec, s[6:7]
	s_cbranch_vccnz .LBB9_2
; %bb.1:
	s_load_dword s14, s[14:15], 0x0
.LBB9_2:
	s_andn2_b64 vcc, exec, s[4:5]
	s_cbranch_vccnz .LBB9_4
; %bb.3:
	s_load_dword s12, s[12:13], 0x0
.LBB9_4:
	s_waitcnt lgkmcnt(0)
	v_cmp_eq_f32_e64 s[4:5], s14, 0
	v_cmp_eq_f32_e64 s[6:7], s12, 1.0
	s_and_b64 s[4:5], s[4:5], s[6:7]
	s_and_b64 vcc, exec, s[4:5]
	s_cbranch_vccnz .LBB9_22
; %bb.5:
	s_load_dwordx2 s[18:19], s[0:1], 0x0
	v_lshrrev_b32_e32 v1, 6, v0
	v_lshl_or_b32 v2, s2, 1, v1
	s_waitcnt lgkmcnt(0)
	v_cmp_gt_i32_e32 vcc, s18, v2
	s_and_saveexec_b64 s[2:3], vcc
	s_cbranch_execz .LBB9_22
; %bb.6:
	s_load_dwordx8 s[4:11], s[0:1], 0x10
	v_ashrrev_i32_e32 v3, 31, v2
	s_cmp_lg_u32 s19, 0
	s_waitcnt lgkmcnt(0)
	v_lshl_add_u64 v[4:5], v[2:3], 2, s[4:5]
	global_load_dwordx2 v[4:5], v[4:5], off
	v_and_b32_e32 v3, 63, v0
	s_waitcnt vmcnt(0)
	v_subrev_u32_e32 v0, s16, v4
	v_subrev_u32_e32 v12, s16, v5
	v_add_u32_e32 v4, v0, v3
	v_cmp_lt_i32_e64 s[2:3], v4, v12
	s_cbranch_scc0 .LBB9_12
; %bb.7:
	v_mov_b32_e32 v1, 0
	v_mov_b32_e32 v0, v1
	;; [unrolled: 1-line block ×4, first 2 shown]
	s_and_saveexec_b64 s[4:5], s[2:3]
	s_cbranch_execz .LBB9_11
; %bb.8:
	v_mov_b32_e32 v9, 0
	v_lshlrev_b32_e32 v8, 3, v4
	s_mov_b64 s[18:19], 0
	v_mov_b32_e32 v10, v4
	v_mov_b32_e32 v6, v9
	;; [unrolled: 1-line block ×5, first 2 shown]
.LBB9_9:                                ; =>This Inner Loop Header: Depth=1
	v_ashrrev_i32_e32 v11, 31, v10
	v_lshl_add_u64 v[14:15], v[10:11], 2, s[6:7]
	global_load_dword v5, v[14:15], off
	v_lshl_add_u64 v[22:23], v[8:9], 2, s[8:9]
	v_mov_b32_e32 v25, v9
	global_load_dwordx4 v[14:17], v[22:23], off offset:16
	global_load_dwordx4 v[18:21], v[22:23], off
	v_add_u32_e32 v10, 64, v10
	v_cmp_ge_i32_e32 vcc, v10, v12
	v_add_u32_e32 v8, 0x200, v8
	s_or_b64 s[18:19], vcc, s[18:19]
	s_waitcnt vmcnt(2)
	v_subrev_u32_e32 v5, s16, v5
	v_lshlrev_b32_e32 v24, 1, v5
	v_lshl_add_u64 v[22:23], v[24:25], 2, s[10:11]
	global_load_dwordx2 v[22:23], v[22:23], off
	s_waitcnt vmcnt(0)
	v_pk_fma_f32 v[6:7], v[18:19], v[22:23], v[6:7] op_sel_hi:[1,0,1]
	v_pk_fma_f32 v[0:1], v[20:21], v[22:23], v[0:1] op_sel_hi:[1,0,1]
	v_pk_fma_f32 v[6:7], v[14:15], v[22:23], v[6:7] op_sel:[0,1,0]
	v_pk_fma_f32 v[0:1], v[16:17], v[22:23], v[0:1] op_sel:[0,1,0]
	s_andn2_b64 exec, exec, s[18:19]
	s_cbranch_execnz .LBB9_9
; %bb.10:
	s_or_b64 exec, exec, s[18:19]
.LBB9_11:
	s_or_b64 exec, exec, s[4:5]
	s_cbranch_execz .LBB9_13
	s_branch .LBB9_18
.LBB9_12:
                                        ; implicit-def: $vgpr1
                                        ; implicit-def: $vgpr7
.LBB9_13:
	v_mov_b32_e32 v1, 0
	v_mov_b32_e32 v0, v1
	;; [unrolled: 1-line block ×4, first 2 shown]
	s_and_saveexec_b64 s[4:5], s[2:3]
	s_cbranch_execz .LBB9_17
; %bb.14:
	v_mov_b32_e32 v9, 0
	v_lshlrev_b32_e32 v8, 3, v4
	s_mov_b64 s[2:3], 0
	v_mov_b32_e32 v6, v9
	v_mov_b32_e32 v1, v9
	;; [unrolled: 1-line block ×4, first 2 shown]
.LBB9_15:                               ; =>This Inner Loop Header: Depth=1
	v_ashrrev_i32_e32 v5, 31, v4
	v_lshl_add_u64 v[10:11], v[4:5], 2, s[6:7]
	global_load_dword v5, v[10:11], off
	v_lshl_add_u64 v[10:11], v[8:9], 2, s[8:9]
	v_mov_b32_e32 v23, v9
	global_load_dwordx4 v[14:17], v[10:11], off
	global_load_dwordx4 v[18:21], v[10:11], off offset:16
	v_add_u32_e32 v4, 64, v4
	v_cmp_ge_i32_e32 vcc, v4, v12
	v_add_u32_e32 v8, 0x200, v8
	s_or_b64 s[2:3], vcc, s[2:3]
	s_waitcnt vmcnt(2)
	v_subrev_u32_e32 v5, s16, v5
	v_lshlrev_b32_e32 v22, 1, v5
	v_lshl_add_u64 v[10:11], v[22:23], 2, s[10:11]
	global_load_dwordx2 v[10:11], v[10:11], off
	s_waitcnt vmcnt(2)
	v_mov_b32_e32 v22, v14
	v_mov_b32_e32 v23, v16
	s_waitcnt vmcnt(1)
	v_mov_b32_e32 v24, v18
	v_mov_b32_e32 v25, v20
	;; [unrolled: 1-line block ×4, first 2 shown]
	s_waitcnt vmcnt(0)
	v_pk_fma_f32 v[6:7], v[22:23], v[10:11], v[6:7] op_sel_hi:[1,0,1]
	v_pk_fma_f32 v[0:1], v[24:25], v[10:11], v[0:1] op_sel_hi:[1,0,1]
	v_pk_fma_f32 v[6:7], v[16:17], v[10:11], v[6:7] op_sel:[0,1,0]
	v_pk_fma_f32 v[0:1], v[20:21], v[10:11], v[0:1] op_sel:[0,1,0]
	s_andn2_b64 exec, exec, s[2:3]
	s_cbranch_execnz .LBB9_15
; %bb.16:
	s_or_b64 exec, exec, s[2:3]
.LBB9_17:
	s_or_b64 exec, exec, s[4:5]
.LBB9_18:
	v_mov_b32_dpp v4, v6 row_shr:1 row_mask:0xf bank_mask:0xf
	v_mov_b32_dpp v5, v7 row_shr:1 row_mask:0xf bank_mask:0xf
	;; [unrolled: 1-line block ×4, first 2 shown]
	v_pk_add_f32 v[4:5], v[6:7], v[4:5]
	v_pk_add_f32 v[0:1], v[0:1], v[8:9]
	v_cmp_eq_u32_e32 vcc, 63, v3
	v_mov_b32_dpp v6, v4 row_shr:2 row_mask:0xf bank_mask:0xf
	v_mov_b32_dpp v7, v5 row_shr:2 row_mask:0xf bank_mask:0xf
	v_mov_b32_dpp v8, v0 row_shr:2 row_mask:0xf bank_mask:0xf
	v_mov_b32_dpp v9, v1 row_shr:2 row_mask:0xf bank_mask:0xf
	v_pk_add_f32 v[4:5], v[4:5], v[6:7]
	v_pk_add_f32 v[0:1], v[0:1], v[8:9]
	s_nop 0
	v_mov_b32_dpp v6, v4 row_shr:4 row_mask:0xf bank_mask:0xe
	v_mov_b32_dpp v7, v5 row_shr:4 row_mask:0xf bank_mask:0xe
	v_mov_b32_dpp v8, v0 row_shr:4 row_mask:0xf bank_mask:0xe
	v_mov_b32_dpp v9, v1 row_shr:4 row_mask:0xf bank_mask:0xe
	v_pk_add_f32 v[4:5], v[4:5], v[6:7]
	v_pk_add_f32 v[0:1], v[0:1], v[8:9]
	s_nop 0
	;; [unrolled: 7-line block ×3, first 2 shown]
	v_mov_b32_dpp v6, v4 row_bcast:15 row_mask:0xa bank_mask:0xf
	v_mov_b32_dpp v7, v5 row_bcast:15 row_mask:0xa bank_mask:0xf
	;; [unrolled: 1-line block ×4, first 2 shown]
	v_pk_add_f32 v[4:5], v[4:5], v[6:7]
	v_pk_add_f32 v[0:1], v[0:1], v[8:9]
	s_nop 0
	v_mov_b32_dpp v6, v4 row_bcast:31 row_mask:0xc bank_mask:0xf
	v_mov_b32_dpp v7, v5 row_bcast:31 row_mask:0xc bank_mask:0xf
	;; [unrolled: 1-line block ×4, first 2 shown]
	s_and_b64 exec, exec, vcc
	s_cbranch_execz .LBB9_22
; %bb.19:
	s_load_dwordx2 s[0:1], s[0:1], 0x38
	v_cmp_eq_f32_e64 s[2:3], s12, 0
	v_pk_add_f32 v[4:5], v[4:5], v[6:7]
	v_pk_add_f32 v[0:1], v[0:1], v[8:9]
	s_and_b64 vcc, exec, s[2:3]
	v_lshlrev_b32_e32 v2, 2, v2
	s_cbranch_vccz .LBB9_23
; %bb.20:
	v_ashrrev_i32_e32 v3, 31, v2
	s_waitcnt lgkmcnt(0)
	v_lshl_add_u64 v[10:11], v[2:3], 2, s[0:1]
	v_pk_mul_f32 v[6:7], s[14:15], v[4:5] op_sel_hi:[0,1]
	v_pk_mul_f32 v[8:9], s[14:15], v[0:1] op_sel_hi:[0,1]
	global_store_dwordx4 v[10:11], v[6:9], off
	s_cbranch_execnz .LBB9_22
.LBB9_21:
	v_ashrrev_i32_e32 v3, 31, v2
	s_waitcnt lgkmcnt(0)
	v_lshl_add_u64 v[10:11], v[2:3], 2, s[0:1]
	global_load_dwordx4 v[6:9], v[10:11], off
	v_pk_mul_f32 v[2:3], s[14:15], v[4:5] op_sel_hi:[0,1]
	v_pk_mul_f32 v[4:5], s[14:15], v[0:1] op_sel_hi:[0,1]
	s_waitcnt vmcnt(0)
	v_pk_fma_f32 v[0:1], s[12:13], v[6:7], v[2:3] op_sel_hi:[0,1,1]
	v_pk_fma_f32 v[2:3], s[12:13], v[8:9], v[4:5] op_sel_hi:[0,1,1]
	global_store_dwordx4 v[10:11], v[0:3], off
.LBB9_22:
	s_endpgm
.LBB9_23:
	s_branch .LBB9_21
	.section	.rodata,"a",@progbits
	.p2align	6, 0x0
	.amdhsa_kernel _ZN9rocsparseL19gebsrmvn_4xn_kernelILj128ELj2ELj64EfEEvi20rocsparse_direction_NS_24const_host_device_scalarIT2_EEPKiS6_PKS3_S8_S4_PS3_21rocsparse_index_base_b
		.amdhsa_group_segment_fixed_size 0
		.amdhsa_private_segment_fixed_size 0
		.amdhsa_kernarg_size 72
		.amdhsa_user_sgpr_count 2
		.amdhsa_user_sgpr_dispatch_ptr 0
		.amdhsa_user_sgpr_queue_ptr 0
		.amdhsa_user_sgpr_kernarg_segment_ptr 1
		.amdhsa_user_sgpr_dispatch_id 0
		.amdhsa_user_sgpr_kernarg_preload_length 0
		.amdhsa_user_sgpr_kernarg_preload_offset 0
		.amdhsa_user_sgpr_private_segment_size 0
		.amdhsa_uses_dynamic_stack 0
		.amdhsa_enable_private_segment 0
		.amdhsa_system_sgpr_workgroup_id_x 1
		.amdhsa_system_sgpr_workgroup_id_y 0
		.amdhsa_system_sgpr_workgroup_id_z 0
		.amdhsa_system_sgpr_workgroup_info 0
		.amdhsa_system_vgpr_workitem_id 0
		.amdhsa_next_free_vgpr 26
		.amdhsa_next_free_sgpr 20
		.amdhsa_accum_offset 28
		.amdhsa_reserve_vcc 1
		.amdhsa_float_round_mode_32 0
		.amdhsa_float_round_mode_16_64 0
		.amdhsa_float_denorm_mode_32 3
		.amdhsa_float_denorm_mode_16_64 3
		.amdhsa_dx10_clamp 1
		.amdhsa_ieee_mode 1
		.amdhsa_fp16_overflow 0
		.amdhsa_tg_split 0
		.amdhsa_exception_fp_ieee_invalid_op 0
		.amdhsa_exception_fp_denorm_src 0
		.amdhsa_exception_fp_ieee_div_zero 0
		.amdhsa_exception_fp_ieee_overflow 0
		.amdhsa_exception_fp_ieee_underflow 0
		.amdhsa_exception_fp_ieee_inexact 0
		.amdhsa_exception_int_div_zero 0
	.end_amdhsa_kernel
	.section	.text._ZN9rocsparseL19gebsrmvn_4xn_kernelILj128ELj2ELj64EfEEvi20rocsparse_direction_NS_24const_host_device_scalarIT2_EEPKiS6_PKS3_S8_S4_PS3_21rocsparse_index_base_b,"axG",@progbits,_ZN9rocsparseL19gebsrmvn_4xn_kernelILj128ELj2ELj64EfEEvi20rocsparse_direction_NS_24const_host_device_scalarIT2_EEPKiS6_PKS3_S8_S4_PS3_21rocsparse_index_base_b,comdat
.Lfunc_end9:
	.size	_ZN9rocsparseL19gebsrmvn_4xn_kernelILj128ELj2ELj64EfEEvi20rocsparse_direction_NS_24const_host_device_scalarIT2_EEPKiS6_PKS3_S8_S4_PS3_21rocsparse_index_base_b, .Lfunc_end9-_ZN9rocsparseL19gebsrmvn_4xn_kernelILj128ELj2ELj64EfEEvi20rocsparse_direction_NS_24const_host_device_scalarIT2_EEPKiS6_PKS3_S8_S4_PS3_21rocsparse_index_base_b
                                        ; -- End function
	.set _ZN9rocsparseL19gebsrmvn_4xn_kernelILj128ELj2ELj64EfEEvi20rocsparse_direction_NS_24const_host_device_scalarIT2_EEPKiS6_PKS3_S8_S4_PS3_21rocsparse_index_base_b.num_vgpr, 26
	.set _ZN9rocsparseL19gebsrmvn_4xn_kernelILj128ELj2ELj64EfEEvi20rocsparse_direction_NS_24const_host_device_scalarIT2_EEPKiS6_PKS3_S8_S4_PS3_21rocsparse_index_base_b.num_agpr, 0
	.set _ZN9rocsparseL19gebsrmvn_4xn_kernelILj128ELj2ELj64EfEEvi20rocsparse_direction_NS_24const_host_device_scalarIT2_EEPKiS6_PKS3_S8_S4_PS3_21rocsparse_index_base_b.numbered_sgpr, 20
	.set _ZN9rocsparseL19gebsrmvn_4xn_kernelILj128ELj2ELj64EfEEvi20rocsparse_direction_NS_24const_host_device_scalarIT2_EEPKiS6_PKS3_S8_S4_PS3_21rocsparse_index_base_b.num_named_barrier, 0
	.set _ZN9rocsparseL19gebsrmvn_4xn_kernelILj128ELj2ELj64EfEEvi20rocsparse_direction_NS_24const_host_device_scalarIT2_EEPKiS6_PKS3_S8_S4_PS3_21rocsparse_index_base_b.private_seg_size, 0
	.set _ZN9rocsparseL19gebsrmvn_4xn_kernelILj128ELj2ELj64EfEEvi20rocsparse_direction_NS_24const_host_device_scalarIT2_EEPKiS6_PKS3_S8_S4_PS3_21rocsparse_index_base_b.uses_vcc, 1
	.set _ZN9rocsparseL19gebsrmvn_4xn_kernelILj128ELj2ELj64EfEEvi20rocsparse_direction_NS_24const_host_device_scalarIT2_EEPKiS6_PKS3_S8_S4_PS3_21rocsparse_index_base_b.uses_flat_scratch, 0
	.set _ZN9rocsparseL19gebsrmvn_4xn_kernelILj128ELj2ELj64EfEEvi20rocsparse_direction_NS_24const_host_device_scalarIT2_EEPKiS6_PKS3_S8_S4_PS3_21rocsparse_index_base_b.has_dyn_sized_stack, 0
	.set _ZN9rocsparseL19gebsrmvn_4xn_kernelILj128ELj2ELj64EfEEvi20rocsparse_direction_NS_24const_host_device_scalarIT2_EEPKiS6_PKS3_S8_S4_PS3_21rocsparse_index_base_b.has_recursion, 0
	.set _ZN9rocsparseL19gebsrmvn_4xn_kernelILj128ELj2ELj64EfEEvi20rocsparse_direction_NS_24const_host_device_scalarIT2_EEPKiS6_PKS3_S8_S4_PS3_21rocsparse_index_base_b.has_indirect_call, 0
	.section	.AMDGPU.csdata,"",@progbits
; Kernel info:
; codeLenInByte = 1116
; TotalNumSgprs: 26
; NumVgprs: 26
; NumAgprs: 0
; TotalNumVgprs: 26
; ScratchSize: 0
; MemoryBound: 0
; FloatMode: 240
; IeeeMode: 1
; LDSByteSize: 0 bytes/workgroup (compile time only)
; SGPRBlocks: 3
; VGPRBlocks: 3
; NumSGPRsForWavesPerEU: 26
; NumVGPRsForWavesPerEU: 26
; AccumOffset: 28
; Occupancy: 8
; WaveLimiterHint : 1
; COMPUTE_PGM_RSRC2:SCRATCH_EN: 0
; COMPUTE_PGM_RSRC2:USER_SGPR: 2
; COMPUTE_PGM_RSRC2:TRAP_HANDLER: 0
; COMPUTE_PGM_RSRC2:TGID_X_EN: 1
; COMPUTE_PGM_RSRC2:TGID_Y_EN: 0
; COMPUTE_PGM_RSRC2:TGID_Z_EN: 0
; COMPUTE_PGM_RSRC2:TIDIG_COMP_CNT: 0
; COMPUTE_PGM_RSRC3_GFX90A:ACCUM_OFFSET: 6
; COMPUTE_PGM_RSRC3_GFX90A:TG_SPLIT: 0
	.section	.text._ZN9rocsparseL19gebsrmvn_4xn_kernelILj128ELj3ELj4EfEEvi20rocsparse_direction_NS_24const_host_device_scalarIT2_EEPKiS6_PKS3_S8_S4_PS3_21rocsparse_index_base_b,"axG",@progbits,_ZN9rocsparseL19gebsrmvn_4xn_kernelILj128ELj3ELj4EfEEvi20rocsparse_direction_NS_24const_host_device_scalarIT2_EEPKiS6_PKS3_S8_S4_PS3_21rocsparse_index_base_b,comdat
	.globl	_ZN9rocsparseL19gebsrmvn_4xn_kernelILj128ELj3ELj4EfEEvi20rocsparse_direction_NS_24const_host_device_scalarIT2_EEPKiS6_PKS3_S8_S4_PS3_21rocsparse_index_base_b ; -- Begin function _ZN9rocsparseL19gebsrmvn_4xn_kernelILj128ELj3ELj4EfEEvi20rocsparse_direction_NS_24const_host_device_scalarIT2_EEPKiS6_PKS3_S8_S4_PS3_21rocsparse_index_base_b
	.p2align	8
	.type	_ZN9rocsparseL19gebsrmvn_4xn_kernelILj128ELj3ELj4EfEEvi20rocsparse_direction_NS_24const_host_device_scalarIT2_EEPKiS6_PKS3_S8_S4_PS3_21rocsparse_index_base_b,@function
_ZN9rocsparseL19gebsrmvn_4xn_kernelILj128ELj3ELj4EfEEvi20rocsparse_direction_NS_24const_host_device_scalarIT2_EEPKiS6_PKS3_S8_S4_PS3_21rocsparse_index_base_b: ; @_ZN9rocsparseL19gebsrmvn_4xn_kernelILj128ELj3ELj4EfEEvi20rocsparse_direction_NS_24const_host_device_scalarIT2_EEPKiS6_PKS3_S8_S4_PS3_21rocsparse_index_base_b
; %bb.0:
	s_load_dwordx2 s[16:17], s[0:1], 0x40
	s_load_dwordx2 s[14:15], s[0:1], 0x8
	s_load_dwordx2 s[12:13], s[0:1], 0x30
	s_waitcnt lgkmcnt(0)
	s_bitcmp1_b32 s17, 0
	s_cselect_b64 s[6:7], -1, 0
	s_xor_b64 s[4:5], s[6:7], -1
	s_and_b64 vcc, exec, s[6:7]
	s_cbranch_vccnz .LBB10_2
; %bb.1:
	s_load_dword s14, s[14:15], 0x0
.LBB10_2:
	s_andn2_b64 vcc, exec, s[4:5]
	s_cbranch_vccnz .LBB10_4
; %bb.3:
	s_load_dword s12, s[12:13], 0x0
.LBB10_4:
	s_waitcnt lgkmcnt(0)
	v_cmp_eq_f32_e64 s[4:5], s14, 0
	v_cmp_eq_f32_e64 s[6:7], s12, 1.0
	s_and_b64 s[4:5], s[4:5], s[6:7]
	s_and_b64 vcc, exec, s[4:5]
	s_cbranch_vccnz .LBB10_22
; %bb.5:
	s_load_dwordx2 s[18:19], s[0:1], 0x0
	v_lshrrev_b32_e32 v1, 2, v0
	v_lshl_or_b32 v2, s2, 5, v1
	s_waitcnt lgkmcnt(0)
	v_cmp_gt_i32_e32 vcc, s18, v2
	s_and_saveexec_b64 s[2:3], vcc
	s_cbranch_execz .LBB10_22
; %bb.6:
	s_load_dwordx8 s[4:11], s[0:1], 0x10
	v_ashrrev_i32_e32 v3, 31, v2
	s_cmp_lg_u32 s19, 0
	s_waitcnt lgkmcnt(0)
	v_lshl_add_u64 v[4:5], v[2:3], 2, s[4:5]
	global_load_dwordx2 v[4:5], v[4:5], off
	v_and_b32_e32 v3, 3, v0
	s_waitcnt vmcnt(0)
	v_subrev_u32_e32 v0, s16, v4
	v_subrev_u32_e32 v12, s16, v5
	v_add_u32_e32 v4, v0, v3
	v_cmp_lt_i32_e64 s[2:3], v4, v12
	s_cbranch_scc0 .LBB10_12
; %bb.7:
	v_mov_b32_e32 v1, 0
	v_mov_b32_e32 v0, v1
	;; [unrolled: 1-line block ×4, first 2 shown]
	s_and_saveexec_b64 s[4:5], s[2:3]
	s_cbranch_execz .LBB10_11
; %bb.8:
	v_mov_b32_e32 v9, 0
	v_mul_lo_u32 v8, v4, 12
	s_mov_b64 s[18:19], 0
	v_mov_b32_e32 v10, v4
	v_mov_b32_e32 v6, v9
	v_mov_b32_e32 v7, v9
	v_mov_b32_e32 v0, v9
	v_mov_b32_e32 v1, v9
.LBB10_9:                               ; =>This Inner Loop Header: Depth=1
	v_ashrrev_i32_e32 v11, 31, v10
	v_lshl_add_u64 v[14:15], v[10:11], 2, s[6:7]
	global_load_dword v5, v[14:15], off
	v_add_u32_e32 v18, 4, v8
	v_mov_b32_e32 v19, v9
	v_lshl_add_u64 v[14:15], v[8:9], 2, s[8:9]
	v_mov_b32_e32 v27, v9
	v_add_u32_e32 v20, 8, v8
	v_mov_b32_e32 v21, v9
	v_lshl_add_u64 v[32:33], v[18:19], 2, s[8:9]
	global_load_dwordx4 v[14:17], v[14:15], off
	v_lshl_add_u64 v[34:35], v[20:21], 2, s[8:9]
	global_load_dwordx4 v[18:21], v[32:33], off
	global_load_dwordx4 v[22:25], v[34:35], off
	v_mov_b32_e32 v29, v9
	v_mov_b32_e32 v31, v9
	v_add_u32_e32 v10, 4, v10
	v_cmp_ge_i32_e32 vcc, v10, v12
	v_add_u32_e32 v8, 48, v8
	s_or_b64 s[18:19], vcc, s[18:19]
	s_waitcnt vmcnt(3)
	v_subrev_u32_e32 v5, s16, v5
	v_lshl_add_u32 v26, v5, 1, v5
	v_lshl_add_u64 v[32:33], v[26:27], 2, s[10:11]
	v_add_u32_e32 v28, 1, v26
	v_add_u32_e32 v30, 2, v26
	global_load_dword v26, v[32:33], off
	v_lshl_add_u64 v[28:29], v[28:29], 2, s[10:11]
	v_lshl_add_u64 v[30:31], v[30:31], 2, s[10:11]
	global_load_dword v32, v[28:29], off
	global_load_dword v34, v[30:31], off
	s_waitcnt vmcnt(2)
	v_pk_fma_f32 v[6:7], v[14:15], v[26:27], v[6:7] op_sel_hi:[1,0,1]
	v_pk_fma_f32 v[0:1], v[16:17], v[26:27], v[0:1] op_sel_hi:[1,0,1]
	s_waitcnt vmcnt(1)
	v_pk_fma_f32 v[6:7], v[18:19], v[32:33], v[6:7] op_sel_hi:[1,0,1]
	v_pk_fma_f32 v[0:1], v[20:21], v[32:33], v[0:1] op_sel_hi:[1,0,1]
	s_waitcnt vmcnt(0)
	v_pk_fma_f32 v[6:7], v[22:23], v[34:35], v[6:7] op_sel_hi:[1,0,1]
	v_pk_fma_f32 v[0:1], v[24:25], v[34:35], v[0:1] op_sel_hi:[1,0,1]
	s_andn2_b64 exec, exec, s[18:19]
	s_cbranch_execnz .LBB10_9
; %bb.10:
	s_or_b64 exec, exec, s[18:19]
.LBB10_11:
	s_or_b64 exec, exec, s[4:5]
	s_cbranch_execz .LBB10_13
	s_branch .LBB10_18
.LBB10_12:
                                        ; implicit-def: $vgpr1
                                        ; implicit-def: $vgpr7
.LBB10_13:
	v_mov_b32_e32 v1, 0
	v_mov_b32_e32 v0, v1
	;; [unrolled: 1-line block ×4, first 2 shown]
	s_and_saveexec_b64 s[4:5], s[2:3]
	s_cbranch_execz .LBB10_17
; %bb.14:
	v_mad_u64_u32 v[8:9], s[2:3], v4, 12, 11
	v_mov_b32_e32 v11, 0
	s_mov_b64 s[2:3], 0
	v_mov_b32_e32 v6, v11
	v_mov_b32_e32 v7, v11
	;; [unrolled: 1-line block ×4, first 2 shown]
.LBB10_15:                              ; =>This Inner Loop Header: Depth=1
	v_ashrrev_i32_e32 v5, 31, v4
	v_add_u32_e32 v10, -11, v8
	v_lshl_add_u64 v[18:19], v[4:5], 2, s[6:7]
	v_lshl_add_u64 v[20:21], v[10:11], 2, s[8:9]
	global_load_dword v5, v[18:19], off
	global_load_dwordx4 v[14:17], v[20:21], off
	v_add_u32_e32 v18, -5, v8
	v_add_u32_e32 v20, -2, v8
	v_mov_b32_e32 v19, v11
	v_mov_b32_e32 v21, v11
	;; [unrolled: 1-line block ×3, first 2 shown]
	v_lshl_add_u64 v[18:19], v[18:19], 2, s[8:9]
	v_lshl_add_u64 v[20:21], v[20:21], 2, s[8:9]
	global_load_dword v26, v[18:19], off
	global_load_dword v27, v[20:21], off
	v_mov_b32_e32 v9, v11
	v_lshl_add_u64 v[24:25], v[8:9], 2, s[8:9]
	v_add_u32_e32 v4, 4, v4
	v_cmp_ge_i32_e32 vcc, v4, v12
	s_or_b64 s[2:3], vcc, s[2:3]
	s_waitcnt vmcnt(3)
	v_subrev_u32_e32 v5, s16, v5
	v_lshl_add_u32 v22, v5, 1, v5
	v_add_u32_e32 v10, 1, v22
	v_lshl_add_u64 v[28:29], v[10:11], 2, s[10:11]
	v_add_u32_e32 v10, -7, v8
	v_lshl_add_u64 v[30:31], v[10:11], 2, s[8:9]
	v_add_u32_e32 v10, -4, v8
	v_lshl_add_u64 v[20:21], v[22:23], 2, s[10:11]
	global_load_dword v23, v[30:31], off
	v_lshl_add_u64 v[30:31], v[10:11], 2, s[8:9]
	v_add_u32_e32 v10, -1, v8
	v_lshl_add_u64 v[32:33], v[10:11], 2, s[8:9]
	v_add_u32_e32 v10, 2, v22
	global_load_dword v20, v[20:21], off
	s_waitcnt vmcnt(4)
	v_mov_b32_e32 v19, v17
	global_load_dword v28, v[28:29], off
	s_nop 0
	global_load_dword v34, v[30:31], off
	global_load_dword v35, v[32:33], off
	v_lshl_add_u64 v[30:31], v[10:11], 2, s[10:11]
	v_add_u32_e32 v10, -6, v8
	v_lshl_add_u64 v[32:33], v[10:11], 2, s[8:9]
	v_add_u32_e32 v10, -3, v8
	global_load_dword v30, v[30:31], off
	v_lshl_add_u64 v[36:37], v[10:11], 2, s[8:9]
	global_load_dword v17, v[32:33], off
	global_load_dword v38, v[36:37], off
	;; [unrolled: 1-line block ×3, first 2 shown]
	v_mov_b32_e32 v18, v14
	v_mov_b32_e32 v22, v15
	v_add_u32_e32 v8, 48, v8
	s_waitcnt vmcnt(7)
	v_pk_fma_f32 v[6:7], v[18:19], v[20:21], v[6:7] op_sel_hi:[1,0,1]
	v_pk_fma_f32 v[0:1], v[26:27], v[20:21], v[0:1] op_sel_hi:[1,0,1]
	s_waitcnt vmcnt(6)
	v_pk_fma_f32 v[6:7], v[22:23], v[28:29], v[6:7] op_sel_hi:[1,0,1]
	s_waitcnt vmcnt(4)
	;; [unrolled: 2-line block ×4, first 2 shown]
	v_pk_fma_f32 v[0:1], v[38:39], v[30:31], v[0:1] op_sel_hi:[1,0,1]
	s_andn2_b64 exec, exec, s[2:3]
	s_cbranch_execnz .LBB10_15
; %bb.16:
	s_or_b64 exec, exec, s[2:3]
.LBB10_17:
	s_or_b64 exec, exec, s[4:5]
.LBB10_18:
	v_mov_b32_dpp v4, v6 row_shr:1 row_mask:0xf bank_mask:0xf
	v_mov_b32_dpp v5, v7 row_shr:1 row_mask:0xf bank_mask:0xf
	;; [unrolled: 1-line block ×4, first 2 shown]
	v_pk_add_f32 v[4:5], v[6:7], v[4:5]
	v_pk_add_f32 v[0:1], v[0:1], v[8:9]
	v_cmp_eq_u32_e32 vcc, 3, v3
	v_mov_b32_dpp v6, v4 row_shr:2 row_mask:0xf bank_mask:0xf
	v_mov_b32_dpp v7, v5 row_shr:2 row_mask:0xf bank_mask:0xf
	;; [unrolled: 1-line block ×4, first 2 shown]
	s_and_b64 exec, exec, vcc
	s_cbranch_execz .LBB10_22
; %bb.19:
	s_load_dwordx2 s[0:1], s[0:1], 0x38
	v_cmp_eq_f32_e64 s[2:3], s12, 0
	v_pk_add_f32 v[4:5], v[4:5], v[6:7]
	v_pk_add_f32 v[0:1], v[0:1], v[8:9]
	s_and_b64 vcc, exec, s[2:3]
	v_lshlrev_b32_e32 v2, 2, v2
	s_cbranch_vccz .LBB10_23
; %bb.20:
	v_ashrrev_i32_e32 v3, 31, v2
	s_waitcnt lgkmcnt(0)
	v_lshl_add_u64 v[10:11], v[2:3], 2, s[0:1]
	v_pk_mul_f32 v[6:7], s[14:15], v[4:5] op_sel_hi:[0,1]
	v_pk_mul_f32 v[8:9], s[14:15], v[0:1] op_sel_hi:[0,1]
	global_store_dwordx4 v[10:11], v[6:9], off
	s_cbranch_execnz .LBB10_22
.LBB10_21:
	v_ashrrev_i32_e32 v3, 31, v2
	s_waitcnt lgkmcnt(0)
	v_lshl_add_u64 v[10:11], v[2:3], 2, s[0:1]
	global_load_dwordx4 v[6:9], v[10:11], off
	v_pk_mul_f32 v[2:3], s[14:15], v[4:5] op_sel_hi:[0,1]
	v_pk_mul_f32 v[4:5], s[14:15], v[0:1] op_sel_hi:[0,1]
	s_waitcnt vmcnt(0)
	v_pk_fma_f32 v[0:1], s[12:13], v[6:7], v[2:3] op_sel_hi:[0,1,1]
	v_pk_fma_f32 v[2:3], s[12:13], v[8:9], v[4:5] op_sel_hi:[0,1,1]
	global_store_dwordx4 v[10:11], v[0:3], off
.LBB10_22:
	s_endpgm
.LBB10_23:
	s_branch .LBB10_21
	.section	.rodata,"a",@progbits
	.p2align	6, 0x0
	.amdhsa_kernel _ZN9rocsparseL19gebsrmvn_4xn_kernelILj128ELj3ELj4EfEEvi20rocsparse_direction_NS_24const_host_device_scalarIT2_EEPKiS6_PKS3_S8_S4_PS3_21rocsparse_index_base_b
		.amdhsa_group_segment_fixed_size 0
		.amdhsa_private_segment_fixed_size 0
		.amdhsa_kernarg_size 72
		.amdhsa_user_sgpr_count 2
		.amdhsa_user_sgpr_dispatch_ptr 0
		.amdhsa_user_sgpr_queue_ptr 0
		.amdhsa_user_sgpr_kernarg_segment_ptr 1
		.amdhsa_user_sgpr_dispatch_id 0
		.amdhsa_user_sgpr_kernarg_preload_length 0
		.amdhsa_user_sgpr_kernarg_preload_offset 0
		.amdhsa_user_sgpr_private_segment_size 0
		.amdhsa_uses_dynamic_stack 0
		.amdhsa_enable_private_segment 0
		.amdhsa_system_sgpr_workgroup_id_x 1
		.amdhsa_system_sgpr_workgroup_id_y 0
		.amdhsa_system_sgpr_workgroup_id_z 0
		.amdhsa_system_sgpr_workgroup_info 0
		.amdhsa_system_vgpr_workitem_id 0
		.amdhsa_next_free_vgpr 40
		.amdhsa_next_free_sgpr 20
		.amdhsa_accum_offset 40
		.amdhsa_reserve_vcc 1
		.amdhsa_float_round_mode_32 0
		.amdhsa_float_round_mode_16_64 0
		.amdhsa_float_denorm_mode_32 3
		.amdhsa_float_denorm_mode_16_64 3
		.amdhsa_dx10_clamp 1
		.amdhsa_ieee_mode 1
		.amdhsa_fp16_overflow 0
		.amdhsa_tg_split 0
		.amdhsa_exception_fp_ieee_invalid_op 0
		.amdhsa_exception_fp_denorm_src 0
		.amdhsa_exception_fp_ieee_div_zero 0
		.amdhsa_exception_fp_ieee_overflow 0
		.amdhsa_exception_fp_ieee_underflow 0
		.amdhsa_exception_fp_ieee_inexact 0
		.amdhsa_exception_int_div_zero 0
	.end_amdhsa_kernel
	.section	.text._ZN9rocsparseL19gebsrmvn_4xn_kernelILj128ELj3ELj4EfEEvi20rocsparse_direction_NS_24const_host_device_scalarIT2_EEPKiS6_PKS3_S8_S4_PS3_21rocsparse_index_base_b,"axG",@progbits,_ZN9rocsparseL19gebsrmvn_4xn_kernelILj128ELj3ELj4EfEEvi20rocsparse_direction_NS_24const_host_device_scalarIT2_EEPKiS6_PKS3_S8_S4_PS3_21rocsparse_index_base_b,comdat
.Lfunc_end10:
	.size	_ZN9rocsparseL19gebsrmvn_4xn_kernelILj128ELj3ELj4EfEEvi20rocsparse_direction_NS_24const_host_device_scalarIT2_EEPKiS6_PKS3_S8_S4_PS3_21rocsparse_index_base_b, .Lfunc_end10-_ZN9rocsparseL19gebsrmvn_4xn_kernelILj128ELj3ELj4EfEEvi20rocsparse_direction_NS_24const_host_device_scalarIT2_EEPKiS6_PKS3_S8_S4_PS3_21rocsparse_index_base_b
                                        ; -- End function
	.set _ZN9rocsparseL19gebsrmvn_4xn_kernelILj128ELj3ELj4EfEEvi20rocsparse_direction_NS_24const_host_device_scalarIT2_EEPKiS6_PKS3_S8_S4_PS3_21rocsparse_index_base_b.num_vgpr, 40
	.set _ZN9rocsparseL19gebsrmvn_4xn_kernelILj128ELj3ELj4EfEEvi20rocsparse_direction_NS_24const_host_device_scalarIT2_EEPKiS6_PKS3_S8_S4_PS3_21rocsparse_index_base_b.num_agpr, 0
	.set _ZN9rocsparseL19gebsrmvn_4xn_kernelILj128ELj3ELj4EfEEvi20rocsparse_direction_NS_24const_host_device_scalarIT2_EEPKiS6_PKS3_S8_S4_PS3_21rocsparse_index_base_b.numbered_sgpr, 20
	.set _ZN9rocsparseL19gebsrmvn_4xn_kernelILj128ELj3ELj4EfEEvi20rocsparse_direction_NS_24const_host_device_scalarIT2_EEPKiS6_PKS3_S8_S4_PS3_21rocsparse_index_base_b.num_named_barrier, 0
	.set _ZN9rocsparseL19gebsrmvn_4xn_kernelILj128ELj3ELj4EfEEvi20rocsparse_direction_NS_24const_host_device_scalarIT2_EEPKiS6_PKS3_S8_S4_PS3_21rocsparse_index_base_b.private_seg_size, 0
	.set _ZN9rocsparseL19gebsrmvn_4xn_kernelILj128ELj3ELj4EfEEvi20rocsparse_direction_NS_24const_host_device_scalarIT2_EEPKiS6_PKS3_S8_S4_PS3_21rocsparse_index_base_b.uses_vcc, 1
	.set _ZN9rocsparseL19gebsrmvn_4xn_kernelILj128ELj3ELj4EfEEvi20rocsparse_direction_NS_24const_host_device_scalarIT2_EEPKiS6_PKS3_S8_S4_PS3_21rocsparse_index_base_b.uses_flat_scratch, 0
	.set _ZN9rocsparseL19gebsrmvn_4xn_kernelILj128ELj3ELj4EfEEvi20rocsparse_direction_NS_24const_host_device_scalarIT2_EEPKiS6_PKS3_S8_S4_PS3_21rocsparse_index_base_b.has_dyn_sized_stack, 0
	.set _ZN9rocsparseL19gebsrmvn_4xn_kernelILj128ELj3ELj4EfEEvi20rocsparse_direction_NS_24const_host_device_scalarIT2_EEPKiS6_PKS3_S8_S4_PS3_21rocsparse_index_base_b.has_recursion, 0
	.set _ZN9rocsparseL19gebsrmvn_4xn_kernelILj128ELj3ELj4EfEEvi20rocsparse_direction_NS_24const_host_device_scalarIT2_EEPKiS6_PKS3_S8_S4_PS3_21rocsparse_index_base_b.has_indirect_call, 0
	.section	.AMDGPU.csdata,"",@progbits
; Kernel info:
; codeLenInByte = 1252
; TotalNumSgprs: 26
; NumVgprs: 40
; NumAgprs: 0
; TotalNumVgprs: 40
; ScratchSize: 0
; MemoryBound: 0
; FloatMode: 240
; IeeeMode: 1
; LDSByteSize: 0 bytes/workgroup (compile time only)
; SGPRBlocks: 3
; VGPRBlocks: 4
; NumSGPRsForWavesPerEU: 26
; NumVGPRsForWavesPerEU: 40
; AccumOffset: 40
; Occupancy: 8
; WaveLimiterHint : 1
; COMPUTE_PGM_RSRC2:SCRATCH_EN: 0
; COMPUTE_PGM_RSRC2:USER_SGPR: 2
; COMPUTE_PGM_RSRC2:TRAP_HANDLER: 0
; COMPUTE_PGM_RSRC2:TGID_X_EN: 1
; COMPUTE_PGM_RSRC2:TGID_Y_EN: 0
; COMPUTE_PGM_RSRC2:TGID_Z_EN: 0
; COMPUTE_PGM_RSRC2:TIDIG_COMP_CNT: 0
; COMPUTE_PGM_RSRC3_GFX90A:ACCUM_OFFSET: 9
; COMPUTE_PGM_RSRC3_GFX90A:TG_SPLIT: 0
	.section	.text._ZN9rocsparseL19gebsrmvn_4xn_kernelILj128ELj3ELj8EfEEvi20rocsparse_direction_NS_24const_host_device_scalarIT2_EEPKiS6_PKS3_S8_S4_PS3_21rocsparse_index_base_b,"axG",@progbits,_ZN9rocsparseL19gebsrmvn_4xn_kernelILj128ELj3ELj8EfEEvi20rocsparse_direction_NS_24const_host_device_scalarIT2_EEPKiS6_PKS3_S8_S4_PS3_21rocsparse_index_base_b,comdat
	.globl	_ZN9rocsparseL19gebsrmvn_4xn_kernelILj128ELj3ELj8EfEEvi20rocsparse_direction_NS_24const_host_device_scalarIT2_EEPKiS6_PKS3_S8_S4_PS3_21rocsparse_index_base_b ; -- Begin function _ZN9rocsparseL19gebsrmvn_4xn_kernelILj128ELj3ELj8EfEEvi20rocsparse_direction_NS_24const_host_device_scalarIT2_EEPKiS6_PKS3_S8_S4_PS3_21rocsparse_index_base_b
	.p2align	8
	.type	_ZN9rocsparseL19gebsrmvn_4xn_kernelILj128ELj3ELj8EfEEvi20rocsparse_direction_NS_24const_host_device_scalarIT2_EEPKiS6_PKS3_S8_S4_PS3_21rocsparse_index_base_b,@function
_ZN9rocsparseL19gebsrmvn_4xn_kernelILj128ELj3ELj8EfEEvi20rocsparse_direction_NS_24const_host_device_scalarIT2_EEPKiS6_PKS3_S8_S4_PS3_21rocsparse_index_base_b: ; @_ZN9rocsparseL19gebsrmvn_4xn_kernelILj128ELj3ELj8EfEEvi20rocsparse_direction_NS_24const_host_device_scalarIT2_EEPKiS6_PKS3_S8_S4_PS3_21rocsparse_index_base_b
; %bb.0:
	s_load_dwordx2 s[16:17], s[0:1], 0x40
	s_load_dwordx2 s[14:15], s[0:1], 0x8
	;; [unrolled: 1-line block ×3, first 2 shown]
	s_waitcnt lgkmcnt(0)
	s_bitcmp1_b32 s17, 0
	s_cselect_b64 s[6:7], -1, 0
	s_xor_b64 s[4:5], s[6:7], -1
	s_and_b64 vcc, exec, s[6:7]
	s_cbranch_vccnz .LBB11_2
; %bb.1:
	s_load_dword s14, s[14:15], 0x0
.LBB11_2:
	s_andn2_b64 vcc, exec, s[4:5]
	s_cbranch_vccnz .LBB11_4
; %bb.3:
	s_load_dword s12, s[12:13], 0x0
.LBB11_4:
	s_waitcnt lgkmcnt(0)
	v_cmp_eq_f32_e64 s[4:5], s14, 0
	v_cmp_eq_f32_e64 s[6:7], s12, 1.0
	s_and_b64 s[4:5], s[4:5], s[6:7]
	s_and_b64 vcc, exec, s[4:5]
	s_cbranch_vccnz .LBB11_22
; %bb.5:
	s_load_dwordx2 s[18:19], s[0:1], 0x0
	v_lshrrev_b32_e32 v1, 3, v0
	v_lshl_or_b32 v2, s2, 4, v1
	s_waitcnt lgkmcnt(0)
	v_cmp_gt_i32_e32 vcc, s18, v2
	s_and_saveexec_b64 s[2:3], vcc
	s_cbranch_execz .LBB11_22
; %bb.6:
	s_load_dwordx8 s[4:11], s[0:1], 0x10
	v_ashrrev_i32_e32 v3, 31, v2
	s_cmp_lg_u32 s19, 0
	s_waitcnt lgkmcnt(0)
	v_lshl_add_u64 v[4:5], v[2:3], 2, s[4:5]
	global_load_dwordx2 v[4:5], v[4:5], off
	v_and_b32_e32 v3, 7, v0
	s_waitcnt vmcnt(0)
	v_subrev_u32_e32 v0, s16, v4
	v_subrev_u32_e32 v12, s16, v5
	v_add_u32_e32 v4, v0, v3
	v_cmp_lt_i32_e64 s[2:3], v4, v12
	s_cbranch_scc0 .LBB11_12
; %bb.7:
	v_mov_b32_e32 v1, 0
	v_mov_b32_e32 v0, v1
	;; [unrolled: 1-line block ×4, first 2 shown]
	s_and_saveexec_b64 s[4:5], s[2:3]
	s_cbranch_execz .LBB11_11
; %bb.8:
	v_mov_b32_e32 v9, 0
	v_mul_lo_u32 v8, v4, 12
	s_mov_b64 s[18:19], 0
	v_mov_b32_e32 v10, v4
	v_mov_b32_e32 v6, v9
	;; [unrolled: 1-line block ×5, first 2 shown]
.LBB11_9:                               ; =>This Inner Loop Header: Depth=1
	v_ashrrev_i32_e32 v11, 31, v10
	v_lshl_add_u64 v[14:15], v[10:11], 2, s[6:7]
	global_load_dword v5, v[14:15], off
	v_add_u32_e32 v18, 4, v8
	v_mov_b32_e32 v19, v9
	v_lshl_add_u64 v[14:15], v[8:9], 2, s[8:9]
	v_mov_b32_e32 v27, v9
	v_add_u32_e32 v20, 8, v8
	v_mov_b32_e32 v21, v9
	v_lshl_add_u64 v[32:33], v[18:19], 2, s[8:9]
	global_load_dwordx4 v[14:17], v[14:15], off
	v_lshl_add_u64 v[34:35], v[20:21], 2, s[8:9]
	global_load_dwordx4 v[18:21], v[32:33], off
	global_load_dwordx4 v[22:25], v[34:35], off
	v_mov_b32_e32 v29, v9
	v_mov_b32_e32 v31, v9
	v_add_u32_e32 v10, 8, v10
	v_cmp_ge_i32_e32 vcc, v10, v12
	v_add_u32_e32 v8, 0x60, v8
	s_or_b64 s[18:19], vcc, s[18:19]
	s_waitcnt vmcnt(3)
	v_subrev_u32_e32 v5, s16, v5
	v_lshl_add_u32 v26, v5, 1, v5
	v_lshl_add_u64 v[32:33], v[26:27], 2, s[10:11]
	v_add_u32_e32 v28, 1, v26
	v_add_u32_e32 v30, 2, v26
	global_load_dword v26, v[32:33], off
	v_lshl_add_u64 v[28:29], v[28:29], 2, s[10:11]
	v_lshl_add_u64 v[30:31], v[30:31], 2, s[10:11]
	global_load_dword v32, v[28:29], off
	global_load_dword v34, v[30:31], off
	s_waitcnt vmcnt(2)
	v_pk_fma_f32 v[6:7], v[14:15], v[26:27], v[6:7] op_sel_hi:[1,0,1]
	v_pk_fma_f32 v[0:1], v[16:17], v[26:27], v[0:1] op_sel_hi:[1,0,1]
	s_waitcnt vmcnt(1)
	v_pk_fma_f32 v[6:7], v[18:19], v[32:33], v[6:7] op_sel_hi:[1,0,1]
	v_pk_fma_f32 v[0:1], v[20:21], v[32:33], v[0:1] op_sel_hi:[1,0,1]
	;; [unrolled: 3-line block ×3, first 2 shown]
	s_andn2_b64 exec, exec, s[18:19]
	s_cbranch_execnz .LBB11_9
; %bb.10:
	s_or_b64 exec, exec, s[18:19]
.LBB11_11:
	s_or_b64 exec, exec, s[4:5]
	s_cbranch_execz .LBB11_13
	s_branch .LBB11_18
.LBB11_12:
                                        ; implicit-def: $vgpr1
                                        ; implicit-def: $vgpr7
.LBB11_13:
	v_mov_b32_e32 v1, 0
	v_mov_b32_e32 v0, v1
	;; [unrolled: 1-line block ×4, first 2 shown]
	s_and_saveexec_b64 s[4:5], s[2:3]
	s_cbranch_execz .LBB11_17
; %bb.14:
	v_mad_u64_u32 v[8:9], s[2:3], v4, 12, 11
	v_mov_b32_e32 v11, 0
	s_mov_b64 s[2:3], 0
	v_mov_b32_e32 v6, v11
	v_mov_b32_e32 v7, v11
	;; [unrolled: 1-line block ×4, first 2 shown]
.LBB11_15:                              ; =>This Inner Loop Header: Depth=1
	v_ashrrev_i32_e32 v5, 31, v4
	v_add_u32_e32 v10, -11, v8
	v_lshl_add_u64 v[18:19], v[4:5], 2, s[6:7]
	v_lshl_add_u64 v[20:21], v[10:11], 2, s[8:9]
	global_load_dword v5, v[18:19], off
	global_load_dwordx4 v[14:17], v[20:21], off
	v_add_u32_e32 v18, -5, v8
	v_add_u32_e32 v20, -2, v8
	v_mov_b32_e32 v19, v11
	v_mov_b32_e32 v21, v11
	;; [unrolled: 1-line block ×3, first 2 shown]
	v_lshl_add_u64 v[18:19], v[18:19], 2, s[8:9]
	v_lshl_add_u64 v[20:21], v[20:21], 2, s[8:9]
	global_load_dword v26, v[18:19], off
	global_load_dword v27, v[20:21], off
	v_mov_b32_e32 v9, v11
	v_lshl_add_u64 v[24:25], v[8:9], 2, s[8:9]
	v_add_u32_e32 v4, 8, v4
	v_cmp_ge_i32_e32 vcc, v4, v12
	s_or_b64 s[2:3], vcc, s[2:3]
	s_waitcnt vmcnt(3)
	v_subrev_u32_e32 v5, s16, v5
	v_lshl_add_u32 v22, v5, 1, v5
	v_add_u32_e32 v10, 1, v22
	v_lshl_add_u64 v[28:29], v[10:11], 2, s[10:11]
	v_add_u32_e32 v10, -7, v8
	v_lshl_add_u64 v[30:31], v[10:11], 2, s[8:9]
	v_add_u32_e32 v10, -4, v8
	v_lshl_add_u64 v[20:21], v[22:23], 2, s[10:11]
	global_load_dword v23, v[30:31], off
	v_lshl_add_u64 v[30:31], v[10:11], 2, s[8:9]
	v_add_u32_e32 v10, -1, v8
	v_lshl_add_u64 v[32:33], v[10:11], 2, s[8:9]
	v_add_u32_e32 v10, 2, v22
	global_load_dword v20, v[20:21], off
	s_waitcnt vmcnt(4)
	v_mov_b32_e32 v19, v17
	global_load_dword v28, v[28:29], off
	s_nop 0
	global_load_dword v34, v[30:31], off
	global_load_dword v35, v[32:33], off
	v_lshl_add_u64 v[30:31], v[10:11], 2, s[10:11]
	v_add_u32_e32 v10, -6, v8
	v_lshl_add_u64 v[32:33], v[10:11], 2, s[8:9]
	v_add_u32_e32 v10, -3, v8
	global_load_dword v30, v[30:31], off
	v_lshl_add_u64 v[36:37], v[10:11], 2, s[8:9]
	global_load_dword v17, v[32:33], off
	global_load_dword v38, v[36:37], off
	;; [unrolled: 1-line block ×3, first 2 shown]
	v_mov_b32_e32 v18, v14
	v_mov_b32_e32 v22, v15
	v_add_u32_e32 v8, 0x60, v8
	s_waitcnt vmcnt(7)
	v_pk_fma_f32 v[6:7], v[18:19], v[20:21], v[6:7] op_sel_hi:[1,0,1]
	v_pk_fma_f32 v[0:1], v[26:27], v[20:21], v[0:1] op_sel_hi:[1,0,1]
	s_waitcnt vmcnt(6)
	v_pk_fma_f32 v[6:7], v[22:23], v[28:29], v[6:7] op_sel_hi:[1,0,1]
	s_waitcnt vmcnt(4)
	;; [unrolled: 2-line block ×4, first 2 shown]
	v_pk_fma_f32 v[0:1], v[38:39], v[30:31], v[0:1] op_sel_hi:[1,0,1]
	s_andn2_b64 exec, exec, s[2:3]
	s_cbranch_execnz .LBB11_15
; %bb.16:
	s_or_b64 exec, exec, s[2:3]
.LBB11_17:
	s_or_b64 exec, exec, s[4:5]
.LBB11_18:
	v_mov_b32_dpp v4, v6 row_shr:1 row_mask:0xf bank_mask:0xf
	v_mov_b32_dpp v5, v7 row_shr:1 row_mask:0xf bank_mask:0xf
	;; [unrolled: 1-line block ×4, first 2 shown]
	v_pk_add_f32 v[4:5], v[6:7], v[4:5]
	v_pk_add_f32 v[0:1], v[0:1], v[8:9]
	v_cmp_eq_u32_e32 vcc, 7, v3
	v_mov_b32_dpp v6, v4 row_shr:2 row_mask:0xf bank_mask:0xf
	v_mov_b32_dpp v7, v5 row_shr:2 row_mask:0xf bank_mask:0xf
	;; [unrolled: 1-line block ×4, first 2 shown]
	v_pk_add_f32 v[4:5], v[4:5], v[6:7]
	v_pk_add_f32 v[0:1], v[0:1], v[8:9]
	s_nop 0
	v_mov_b32_dpp v6, v4 row_shr:4 row_mask:0xf bank_mask:0xe
	v_mov_b32_dpp v7, v5 row_shr:4 row_mask:0xf bank_mask:0xe
	;; [unrolled: 1-line block ×4, first 2 shown]
	s_and_b64 exec, exec, vcc
	s_cbranch_execz .LBB11_22
; %bb.19:
	s_load_dwordx2 s[0:1], s[0:1], 0x38
	v_cmp_eq_f32_e64 s[2:3], s12, 0
	v_pk_add_f32 v[4:5], v[4:5], v[6:7]
	v_pk_add_f32 v[0:1], v[0:1], v[8:9]
	s_and_b64 vcc, exec, s[2:3]
	v_lshlrev_b32_e32 v2, 2, v2
	s_cbranch_vccz .LBB11_23
; %bb.20:
	v_ashrrev_i32_e32 v3, 31, v2
	s_waitcnt lgkmcnt(0)
	v_lshl_add_u64 v[10:11], v[2:3], 2, s[0:1]
	v_pk_mul_f32 v[6:7], s[14:15], v[4:5] op_sel_hi:[0,1]
	v_pk_mul_f32 v[8:9], s[14:15], v[0:1] op_sel_hi:[0,1]
	global_store_dwordx4 v[10:11], v[6:9], off
	s_cbranch_execnz .LBB11_22
.LBB11_21:
	v_ashrrev_i32_e32 v3, 31, v2
	s_waitcnt lgkmcnt(0)
	v_lshl_add_u64 v[10:11], v[2:3], 2, s[0:1]
	global_load_dwordx4 v[6:9], v[10:11], off
	v_pk_mul_f32 v[2:3], s[14:15], v[4:5] op_sel_hi:[0,1]
	v_pk_mul_f32 v[4:5], s[14:15], v[0:1] op_sel_hi:[0,1]
	s_waitcnt vmcnt(0)
	v_pk_fma_f32 v[0:1], s[12:13], v[6:7], v[2:3] op_sel_hi:[0,1,1]
	v_pk_fma_f32 v[2:3], s[12:13], v[8:9], v[4:5] op_sel_hi:[0,1,1]
	global_store_dwordx4 v[10:11], v[0:3], off
.LBB11_22:
	s_endpgm
.LBB11_23:
	s_branch .LBB11_21
	.section	.rodata,"a",@progbits
	.p2align	6, 0x0
	.amdhsa_kernel _ZN9rocsparseL19gebsrmvn_4xn_kernelILj128ELj3ELj8EfEEvi20rocsparse_direction_NS_24const_host_device_scalarIT2_EEPKiS6_PKS3_S8_S4_PS3_21rocsparse_index_base_b
		.amdhsa_group_segment_fixed_size 0
		.amdhsa_private_segment_fixed_size 0
		.amdhsa_kernarg_size 72
		.amdhsa_user_sgpr_count 2
		.amdhsa_user_sgpr_dispatch_ptr 0
		.amdhsa_user_sgpr_queue_ptr 0
		.amdhsa_user_sgpr_kernarg_segment_ptr 1
		.amdhsa_user_sgpr_dispatch_id 0
		.amdhsa_user_sgpr_kernarg_preload_length 0
		.amdhsa_user_sgpr_kernarg_preload_offset 0
		.amdhsa_user_sgpr_private_segment_size 0
		.amdhsa_uses_dynamic_stack 0
		.amdhsa_enable_private_segment 0
		.amdhsa_system_sgpr_workgroup_id_x 1
		.amdhsa_system_sgpr_workgroup_id_y 0
		.amdhsa_system_sgpr_workgroup_id_z 0
		.amdhsa_system_sgpr_workgroup_info 0
		.amdhsa_system_vgpr_workitem_id 0
		.amdhsa_next_free_vgpr 40
		.amdhsa_next_free_sgpr 20
		.amdhsa_accum_offset 40
		.amdhsa_reserve_vcc 1
		.amdhsa_float_round_mode_32 0
		.amdhsa_float_round_mode_16_64 0
		.amdhsa_float_denorm_mode_32 3
		.amdhsa_float_denorm_mode_16_64 3
		.amdhsa_dx10_clamp 1
		.amdhsa_ieee_mode 1
		.amdhsa_fp16_overflow 0
		.amdhsa_tg_split 0
		.amdhsa_exception_fp_ieee_invalid_op 0
		.amdhsa_exception_fp_denorm_src 0
		.amdhsa_exception_fp_ieee_div_zero 0
		.amdhsa_exception_fp_ieee_overflow 0
		.amdhsa_exception_fp_ieee_underflow 0
		.amdhsa_exception_fp_ieee_inexact 0
		.amdhsa_exception_int_div_zero 0
	.end_amdhsa_kernel
	.section	.text._ZN9rocsparseL19gebsrmvn_4xn_kernelILj128ELj3ELj8EfEEvi20rocsparse_direction_NS_24const_host_device_scalarIT2_EEPKiS6_PKS3_S8_S4_PS3_21rocsparse_index_base_b,"axG",@progbits,_ZN9rocsparseL19gebsrmvn_4xn_kernelILj128ELj3ELj8EfEEvi20rocsparse_direction_NS_24const_host_device_scalarIT2_EEPKiS6_PKS3_S8_S4_PS3_21rocsparse_index_base_b,comdat
.Lfunc_end11:
	.size	_ZN9rocsparseL19gebsrmvn_4xn_kernelILj128ELj3ELj8EfEEvi20rocsparse_direction_NS_24const_host_device_scalarIT2_EEPKiS6_PKS3_S8_S4_PS3_21rocsparse_index_base_b, .Lfunc_end11-_ZN9rocsparseL19gebsrmvn_4xn_kernelILj128ELj3ELj8EfEEvi20rocsparse_direction_NS_24const_host_device_scalarIT2_EEPKiS6_PKS3_S8_S4_PS3_21rocsparse_index_base_b
                                        ; -- End function
	.set _ZN9rocsparseL19gebsrmvn_4xn_kernelILj128ELj3ELj8EfEEvi20rocsparse_direction_NS_24const_host_device_scalarIT2_EEPKiS6_PKS3_S8_S4_PS3_21rocsparse_index_base_b.num_vgpr, 40
	.set _ZN9rocsparseL19gebsrmvn_4xn_kernelILj128ELj3ELj8EfEEvi20rocsparse_direction_NS_24const_host_device_scalarIT2_EEPKiS6_PKS3_S8_S4_PS3_21rocsparse_index_base_b.num_agpr, 0
	.set _ZN9rocsparseL19gebsrmvn_4xn_kernelILj128ELj3ELj8EfEEvi20rocsparse_direction_NS_24const_host_device_scalarIT2_EEPKiS6_PKS3_S8_S4_PS3_21rocsparse_index_base_b.numbered_sgpr, 20
	.set _ZN9rocsparseL19gebsrmvn_4xn_kernelILj128ELj3ELj8EfEEvi20rocsparse_direction_NS_24const_host_device_scalarIT2_EEPKiS6_PKS3_S8_S4_PS3_21rocsparse_index_base_b.num_named_barrier, 0
	.set _ZN9rocsparseL19gebsrmvn_4xn_kernelILj128ELj3ELj8EfEEvi20rocsparse_direction_NS_24const_host_device_scalarIT2_EEPKiS6_PKS3_S8_S4_PS3_21rocsparse_index_base_b.private_seg_size, 0
	.set _ZN9rocsparseL19gebsrmvn_4xn_kernelILj128ELj3ELj8EfEEvi20rocsparse_direction_NS_24const_host_device_scalarIT2_EEPKiS6_PKS3_S8_S4_PS3_21rocsparse_index_base_b.uses_vcc, 1
	.set _ZN9rocsparseL19gebsrmvn_4xn_kernelILj128ELj3ELj8EfEEvi20rocsparse_direction_NS_24const_host_device_scalarIT2_EEPKiS6_PKS3_S8_S4_PS3_21rocsparse_index_base_b.uses_flat_scratch, 0
	.set _ZN9rocsparseL19gebsrmvn_4xn_kernelILj128ELj3ELj8EfEEvi20rocsparse_direction_NS_24const_host_device_scalarIT2_EEPKiS6_PKS3_S8_S4_PS3_21rocsparse_index_base_b.has_dyn_sized_stack, 0
	.set _ZN9rocsparseL19gebsrmvn_4xn_kernelILj128ELj3ELj8EfEEvi20rocsparse_direction_NS_24const_host_device_scalarIT2_EEPKiS6_PKS3_S8_S4_PS3_21rocsparse_index_base_b.has_recursion, 0
	.set _ZN9rocsparseL19gebsrmvn_4xn_kernelILj128ELj3ELj8EfEEvi20rocsparse_direction_NS_24const_host_device_scalarIT2_EEPKiS6_PKS3_S8_S4_PS3_21rocsparse_index_base_b.has_indirect_call, 0
	.section	.AMDGPU.csdata,"",@progbits
; Kernel info:
; codeLenInByte = 1312
; TotalNumSgprs: 26
; NumVgprs: 40
; NumAgprs: 0
; TotalNumVgprs: 40
; ScratchSize: 0
; MemoryBound: 0
; FloatMode: 240
; IeeeMode: 1
; LDSByteSize: 0 bytes/workgroup (compile time only)
; SGPRBlocks: 3
; VGPRBlocks: 4
; NumSGPRsForWavesPerEU: 26
; NumVGPRsForWavesPerEU: 40
; AccumOffset: 40
; Occupancy: 8
; WaveLimiterHint : 1
; COMPUTE_PGM_RSRC2:SCRATCH_EN: 0
; COMPUTE_PGM_RSRC2:USER_SGPR: 2
; COMPUTE_PGM_RSRC2:TRAP_HANDLER: 0
; COMPUTE_PGM_RSRC2:TGID_X_EN: 1
; COMPUTE_PGM_RSRC2:TGID_Y_EN: 0
; COMPUTE_PGM_RSRC2:TGID_Z_EN: 0
; COMPUTE_PGM_RSRC2:TIDIG_COMP_CNT: 0
; COMPUTE_PGM_RSRC3_GFX90A:ACCUM_OFFSET: 9
; COMPUTE_PGM_RSRC3_GFX90A:TG_SPLIT: 0
	.section	.text._ZN9rocsparseL19gebsrmvn_4xn_kernelILj128ELj3ELj16EfEEvi20rocsparse_direction_NS_24const_host_device_scalarIT2_EEPKiS6_PKS3_S8_S4_PS3_21rocsparse_index_base_b,"axG",@progbits,_ZN9rocsparseL19gebsrmvn_4xn_kernelILj128ELj3ELj16EfEEvi20rocsparse_direction_NS_24const_host_device_scalarIT2_EEPKiS6_PKS3_S8_S4_PS3_21rocsparse_index_base_b,comdat
	.globl	_ZN9rocsparseL19gebsrmvn_4xn_kernelILj128ELj3ELj16EfEEvi20rocsparse_direction_NS_24const_host_device_scalarIT2_EEPKiS6_PKS3_S8_S4_PS3_21rocsparse_index_base_b ; -- Begin function _ZN9rocsparseL19gebsrmvn_4xn_kernelILj128ELj3ELj16EfEEvi20rocsparse_direction_NS_24const_host_device_scalarIT2_EEPKiS6_PKS3_S8_S4_PS3_21rocsparse_index_base_b
	.p2align	8
	.type	_ZN9rocsparseL19gebsrmvn_4xn_kernelILj128ELj3ELj16EfEEvi20rocsparse_direction_NS_24const_host_device_scalarIT2_EEPKiS6_PKS3_S8_S4_PS3_21rocsparse_index_base_b,@function
_ZN9rocsparseL19gebsrmvn_4xn_kernelILj128ELj3ELj16EfEEvi20rocsparse_direction_NS_24const_host_device_scalarIT2_EEPKiS6_PKS3_S8_S4_PS3_21rocsparse_index_base_b: ; @_ZN9rocsparseL19gebsrmvn_4xn_kernelILj128ELj3ELj16EfEEvi20rocsparse_direction_NS_24const_host_device_scalarIT2_EEPKiS6_PKS3_S8_S4_PS3_21rocsparse_index_base_b
; %bb.0:
	s_load_dwordx2 s[16:17], s[0:1], 0x40
	s_load_dwordx2 s[14:15], s[0:1], 0x8
	;; [unrolled: 1-line block ×3, first 2 shown]
	s_waitcnt lgkmcnt(0)
	s_bitcmp1_b32 s17, 0
	s_cselect_b64 s[6:7], -1, 0
	s_xor_b64 s[4:5], s[6:7], -1
	s_and_b64 vcc, exec, s[6:7]
	s_cbranch_vccnz .LBB12_2
; %bb.1:
	s_load_dword s14, s[14:15], 0x0
.LBB12_2:
	s_andn2_b64 vcc, exec, s[4:5]
	s_cbranch_vccnz .LBB12_4
; %bb.3:
	s_load_dword s12, s[12:13], 0x0
.LBB12_4:
	s_waitcnt lgkmcnt(0)
	v_cmp_eq_f32_e64 s[4:5], s14, 0
	v_cmp_eq_f32_e64 s[6:7], s12, 1.0
	s_and_b64 s[4:5], s[4:5], s[6:7]
	s_and_b64 vcc, exec, s[4:5]
	s_cbranch_vccnz .LBB12_22
; %bb.5:
	s_load_dwordx2 s[18:19], s[0:1], 0x0
	v_lshrrev_b32_e32 v1, 4, v0
	v_lshl_or_b32 v2, s2, 3, v1
	s_waitcnt lgkmcnt(0)
	v_cmp_gt_i32_e32 vcc, s18, v2
	s_and_saveexec_b64 s[2:3], vcc
	s_cbranch_execz .LBB12_22
; %bb.6:
	s_load_dwordx8 s[4:11], s[0:1], 0x10
	v_ashrrev_i32_e32 v3, 31, v2
	s_cmp_lg_u32 s19, 0
	s_waitcnt lgkmcnt(0)
	v_lshl_add_u64 v[4:5], v[2:3], 2, s[4:5]
	global_load_dwordx2 v[4:5], v[4:5], off
	v_and_b32_e32 v3, 15, v0
	s_waitcnt vmcnt(0)
	v_subrev_u32_e32 v0, s16, v4
	v_subrev_u32_e32 v12, s16, v5
	v_add_u32_e32 v4, v0, v3
	v_cmp_lt_i32_e64 s[2:3], v4, v12
	s_cbranch_scc0 .LBB12_12
; %bb.7:
	v_mov_b32_e32 v1, 0
	v_mov_b32_e32 v0, v1
	;; [unrolled: 1-line block ×4, first 2 shown]
	s_and_saveexec_b64 s[4:5], s[2:3]
	s_cbranch_execz .LBB12_11
; %bb.8:
	v_mov_b32_e32 v9, 0
	v_mul_lo_u32 v8, v4, 12
	s_mov_b64 s[18:19], 0
	v_mov_b32_e32 v10, v4
	v_mov_b32_e32 v6, v9
	;; [unrolled: 1-line block ×5, first 2 shown]
.LBB12_9:                               ; =>This Inner Loop Header: Depth=1
	v_ashrrev_i32_e32 v11, 31, v10
	v_lshl_add_u64 v[14:15], v[10:11], 2, s[6:7]
	global_load_dword v5, v[14:15], off
	v_add_u32_e32 v18, 4, v8
	v_mov_b32_e32 v19, v9
	v_lshl_add_u64 v[14:15], v[8:9], 2, s[8:9]
	v_mov_b32_e32 v27, v9
	v_add_u32_e32 v20, 8, v8
	v_mov_b32_e32 v21, v9
	v_lshl_add_u64 v[32:33], v[18:19], 2, s[8:9]
	global_load_dwordx4 v[14:17], v[14:15], off
	v_lshl_add_u64 v[34:35], v[20:21], 2, s[8:9]
	global_load_dwordx4 v[18:21], v[32:33], off
	global_load_dwordx4 v[22:25], v[34:35], off
	v_mov_b32_e32 v29, v9
	v_mov_b32_e32 v31, v9
	v_add_u32_e32 v10, 16, v10
	v_cmp_ge_i32_e32 vcc, v10, v12
	v_add_u32_e32 v8, 0xc0, v8
	s_or_b64 s[18:19], vcc, s[18:19]
	s_waitcnt vmcnt(3)
	v_subrev_u32_e32 v5, s16, v5
	v_lshl_add_u32 v26, v5, 1, v5
	v_lshl_add_u64 v[32:33], v[26:27], 2, s[10:11]
	v_add_u32_e32 v28, 1, v26
	v_add_u32_e32 v30, 2, v26
	global_load_dword v26, v[32:33], off
	v_lshl_add_u64 v[28:29], v[28:29], 2, s[10:11]
	v_lshl_add_u64 v[30:31], v[30:31], 2, s[10:11]
	global_load_dword v32, v[28:29], off
	global_load_dword v34, v[30:31], off
	s_waitcnt vmcnt(2)
	v_pk_fma_f32 v[6:7], v[14:15], v[26:27], v[6:7] op_sel_hi:[1,0,1]
	v_pk_fma_f32 v[0:1], v[16:17], v[26:27], v[0:1] op_sel_hi:[1,0,1]
	s_waitcnt vmcnt(1)
	v_pk_fma_f32 v[6:7], v[18:19], v[32:33], v[6:7] op_sel_hi:[1,0,1]
	v_pk_fma_f32 v[0:1], v[20:21], v[32:33], v[0:1] op_sel_hi:[1,0,1]
	;; [unrolled: 3-line block ×3, first 2 shown]
	s_andn2_b64 exec, exec, s[18:19]
	s_cbranch_execnz .LBB12_9
; %bb.10:
	s_or_b64 exec, exec, s[18:19]
.LBB12_11:
	s_or_b64 exec, exec, s[4:5]
	s_cbranch_execz .LBB12_13
	s_branch .LBB12_18
.LBB12_12:
                                        ; implicit-def: $vgpr1
                                        ; implicit-def: $vgpr7
.LBB12_13:
	v_mov_b32_e32 v1, 0
	v_mov_b32_e32 v0, v1
	;; [unrolled: 1-line block ×4, first 2 shown]
	s_and_saveexec_b64 s[4:5], s[2:3]
	s_cbranch_execz .LBB12_17
; %bb.14:
	v_mad_u64_u32 v[8:9], s[2:3], v4, 12, 11
	v_mov_b32_e32 v11, 0
	s_mov_b64 s[2:3], 0
	v_mov_b32_e32 v6, v11
	v_mov_b32_e32 v7, v11
	;; [unrolled: 1-line block ×4, first 2 shown]
.LBB12_15:                              ; =>This Inner Loop Header: Depth=1
	v_ashrrev_i32_e32 v5, 31, v4
	v_add_u32_e32 v10, -11, v8
	v_lshl_add_u64 v[18:19], v[4:5], 2, s[6:7]
	v_lshl_add_u64 v[20:21], v[10:11], 2, s[8:9]
	global_load_dword v5, v[18:19], off
	global_load_dwordx4 v[14:17], v[20:21], off
	v_add_u32_e32 v18, -5, v8
	v_add_u32_e32 v20, -2, v8
	v_mov_b32_e32 v19, v11
	v_mov_b32_e32 v21, v11
	;; [unrolled: 1-line block ×3, first 2 shown]
	v_lshl_add_u64 v[18:19], v[18:19], 2, s[8:9]
	v_lshl_add_u64 v[20:21], v[20:21], 2, s[8:9]
	global_load_dword v26, v[18:19], off
	global_load_dword v27, v[20:21], off
	v_mov_b32_e32 v9, v11
	v_lshl_add_u64 v[24:25], v[8:9], 2, s[8:9]
	v_add_u32_e32 v4, 16, v4
	v_cmp_ge_i32_e32 vcc, v4, v12
	s_or_b64 s[2:3], vcc, s[2:3]
	s_waitcnt vmcnt(3)
	v_subrev_u32_e32 v5, s16, v5
	v_lshl_add_u32 v22, v5, 1, v5
	v_add_u32_e32 v10, 1, v22
	v_lshl_add_u64 v[28:29], v[10:11], 2, s[10:11]
	v_add_u32_e32 v10, -7, v8
	v_lshl_add_u64 v[30:31], v[10:11], 2, s[8:9]
	v_add_u32_e32 v10, -4, v8
	v_lshl_add_u64 v[20:21], v[22:23], 2, s[10:11]
	global_load_dword v23, v[30:31], off
	v_lshl_add_u64 v[30:31], v[10:11], 2, s[8:9]
	v_add_u32_e32 v10, -1, v8
	v_lshl_add_u64 v[32:33], v[10:11], 2, s[8:9]
	v_add_u32_e32 v10, 2, v22
	global_load_dword v20, v[20:21], off
	s_waitcnt vmcnt(4)
	v_mov_b32_e32 v19, v17
	global_load_dword v28, v[28:29], off
	s_nop 0
	global_load_dword v34, v[30:31], off
	global_load_dword v35, v[32:33], off
	v_lshl_add_u64 v[30:31], v[10:11], 2, s[10:11]
	v_add_u32_e32 v10, -6, v8
	v_lshl_add_u64 v[32:33], v[10:11], 2, s[8:9]
	v_add_u32_e32 v10, -3, v8
	global_load_dword v30, v[30:31], off
	v_lshl_add_u64 v[36:37], v[10:11], 2, s[8:9]
	global_load_dword v17, v[32:33], off
	global_load_dword v38, v[36:37], off
	;; [unrolled: 1-line block ×3, first 2 shown]
	v_mov_b32_e32 v18, v14
	v_mov_b32_e32 v22, v15
	v_add_u32_e32 v8, 0xc0, v8
	s_waitcnt vmcnt(7)
	v_pk_fma_f32 v[6:7], v[18:19], v[20:21], v[6:7] op_sel_hi:[1,0,1]
	v_pk_fma_f32 v[0:1], v[26:27], v[20:21], v[0:1] op_sel_hi:[1,0,1]
	s_waitcnt vmcnt(6)
	v_pk_fma_f32 v[6:7], v[22:23], v[28:29], v[6:7] op_sel_hi:[1,0,1]
	s_waitcnt vmcnt(4)
	;; [unrolled: 2-line block ×4, first 2 shown]
	v_pk_fma_f32 v[0:1], v[38:39], v[30:31], v[0:1] op_sel_hi:[1,0,1]
	s_andn2_b64 exec, exec, s[2:3]
	s_cbranch_execnz .LBB12_15
; %bb.16:
	s_or_b64 exec, exec, s[2:3]
.LBB12_17:
	s_or_b64 exec, exec, s[4:5]
.LBB12_18:
	v_mov_b32_dpp v4, v6 row_shr:1 row_mask:0xf bank_mask:0xf
	v_mov_b32_dpp v5, v7 row_shr:1 row_mask:0xf bank_mask:0xf
	v_mov_b32_dpp v8, v0 row_shr:1 row_mask:0xf bank_mask:0xf
	v_mov_b32_dpp v9, v1 row_shr:1 row_mask:0xf bank_mask:0xf
	v_pk_add_f32 v[4:5], v[6:7], v[4:5]
	v_pk_add_f32 v[0:1], v[0:1], v[8:9]
	v_cmp_eq_u32_e32 vcc, 15, v3
	v_mov_b32_dpp v6, v4 row_shr:2 row_mask:0xf bank_mask:0xf
	v_mov_b32_dpp v7, v5 row_shr:2 row_mask:0xf bank_mask:0xf
	;; [unrolled: 1-line block ×4, first 2 shown]
	v_pk_add_f32 v[4:5], v[4:5], v[6:7]
	v_pk_add_f32 v[0:1], v[0:1], v[8:9]
	s_nop 0
	v_mov_b32_dpp v6, v4 row_shr:4 row_mask:0xf bank_mask:0xe
	v_mov_b32_dpp v7, v5 row_shr:4 row_mask:0xf bank_mask:0xe
	;; [unrolled: 1-line block ×4, first 2 shown]
	v_pk_add_f32 v[4:5], v[4:5], v[6:7]
	v_pk_add_f32 v[0:1], v[0:1], v[8:9]
	s_nop 0
	v_mov_b32_dpp v6, v4 row_shr:8 row_mask:0xf bank_mask:0xc
	v_mov_b32_dpp v7, v5 row_shr:8 row_mask:0xf bank_mask:0xc
	;; [unrolled: 1-line block ×4, first 2 shown]
	s_and_b64 exec, exec, vcc
	s_cbranch_execz .LBB12_22
; %bb.19:
	s_load_dwordx2 s[0:1], s[0:1], 0x38
	v_cmp_eq_f32_e64 s[2:3], s12, 0
	v_pk_add_f32 v[4:5], v[4:5], v[6:7]
	v_pk_add_f32 v[0:1], v[0:1], v[8:9]
	s_and_b64 vcc, exec, s[2:3]
	v_lshlrev_b32_e32 v2, 2, v2
	s_cbranch_vccz .LBB12_23
; %bb.20:
	v_ashrrev_i32_e32 v3, 31, v2
	s_waitcnt lgkmcnt(0)
	v_lshl_add_u64 v[10:11], v[2:3], 2, s[0:1]
	v_pk_mul_f32 v[6:7], s[14:15], v[4:5] op_sel_hi:[0,1]
	v_pk_mul_f32 v[8:9], s[14:15], v[0:1] op_sel_hi:[0,1]
	global_store_dwordx4 v[10:11], v[6:9], off
	s_cbranch_execnz .LBB12_22
.LBB12_21:
	v_ashrrev_i32_e32 v3, 31, v2
	s_waitcnt lgkmcnt(0)
	v_lshl_add_u64 v[10:11], v[2:3], 2, s[0:1]
	global_load_dwordx4 v[6:9], v[10:11], off
	v_pk_mul_f32 v[2:3], s[14:15], v[4:5] op_sel_hi:[0,1]
	v_pk_mul_f32 v[4:5], s[14:15], v[0:1] op_sel_hi:[0,1]
	s_waitcnt vmcnt(0)
	v_pk_fma_f32 v[0:1], s[12:13], v[6:7], v[2:3] op_sel_hi:[0,1,1]
	v_pk_fma_f32 v[2:3], s[12:13], v[8:9], v[4:5] op_sel_hi:[0,1,1]
	global_store_dwordx4 v[10:11], v[0:3], off
.LBB12_22:
	s_endpgm
.LBB12_23:
	s_branch .LBB12_21
	.section	.rodata,"a",@progbits
	.p2align	6, 0x0
	.amdhsa_kernel _ZN9rocsparseL19gebsrmvn_4xn_kernelILj128ELj3ELj16EfEEvi20rocsparse_direction_NS_24const_host_device_scalarIT2_EEPKiS6_PKS3_S8_S4_PS3_21rocsparse_index_base_b
		.amdhsa_group_segment_fixed_size 0
		.amdhsa_private_segment_fixed_size 0
		.amdhsa_kernarg_size 72
		.amdhsa_user_sgpr_count 2
		.amdhsa_user_sgpr_dispatch_ptr 0
		.amdhsa_user_sgpr_queue_ptr 0
		.amdhsa_user_sgpr_kernarg_segment_ptr 1
		.amdhsa_user_sgpr_dispatch_id 0
		.amdhsa_user_sgpr_kernarg_preload_length 0
		.amdhsa_user_sgpr_kernarg_preload_offset 0
		.amdhsa_user_sgpr_private_segment_size 0
		.amdhsa_uses_dynamic_stack 0
		.amdhsa_enable_private_segment 0
		.amdhsa_system_sgpr_workgroup_id_x 1
		.amdhsa_system_sgpr_workgroup_id_y 0
		.amdhsa_system_sgpr_workgroup_id_z 0
		.amdhsa_system_sgpr_workgroup_info 0
		.amdhsa_system_vgpr_workitem_id 0
		.amdhsa_next_free_vgpr 40
		.amdhsa_next_free_sgpr 20
		.amdhsa_accum_offset 40
		.amdhsa_reserve_vcc 1
		.amdhsa_float_round_mode_32 0
		.amdhsa_float_round_mode_16_64 0
		.amdhsa_float_denorm_mode_32 3
		.amdhsa_float_denorm_mode_16_64 3
		.amdhsa_dx10_clamp 1
		.amdhsa_ieee_mode 1
		.amdhsa_fp16_overflow 0
		.amdhsa_tg_split 0
		.amdhsa_exception_fp_ieee_invalid_op 0
		.amdhsa_exception_fp_denorm_src 0
		.amdhsa_exception_fp_ieee_div_zero 0
		.amdhsa_exception_fp_ieee_overflow 0
		.amdhsa_exception_fp_ieee_underflow 0
		.amdhsa_exception_fp_ieee_inexact 0
		.amdhsa_exception_int_div_zero 0
	.end_amdhsa_kernel
	.section	.text._ZN9rocsparseL19gebsrmvn_4xn_kernelILj128ELj3ELj16EfEEvi20rocsparse_direction_NS_24const_host_device_scalarIT2_EEPKiS6_PKS3_S8_S4_PS3_21rocsparse_index_base_b,"axG",@progbits,_ZN9rocsparseL19gebsrmvn_4xn_kernelILj128ELj3ELj16EfEEvi20rocsparse_direction_NS_24const_host_device_scalarIT2_EEPKiS6_PKS3_S8_S4_PS3_21rocsparse_index_base_b,comdat
.Lfunc_end12:
	.size	_ZN9rocsparseL19gebsrmvn_4xn_kernelILj128ELj3ELj16EfEEvi20rocsparse_direction_NS_24const_host_device_scalarIT2_EEPKiS6_PKS3_S8_S4_PS3_21rocsparse_index_base_b, .Lfunc_end12-_ZN9rocsparseL19gebsrmvn_4xn_kernelILj128ELj3ELj16EfEEvi20rocsparse_direction_NS_24const_host_device_scalarIT2_EEPKiS6_PKS3_S8_S4_PS3_21rocsparse_index_base_b
                                        ; -- End function
	.set _ZN9rocsparseL19gebsrmvn_4xn_kernelILj128ELj3ELj16EfEEvi20rocsparse_direction_NS_24const_host_device_scalarIT2_EEPKiS6_PKS3_S8_S4_PS3_21rocsparse_index_base_b.num_vgpr, 40
	.set _ZN9rocsparseL19gebsrmvn_4xn_kernelILj128ELj3ELj16EfEEvi20rocsparse_direction_NS_24const_host_device_scalarIT2_EEPKiS6_PKS3_S8_S4_PS3_21rocsparse_index_base_b.num_agpr, 0
	.set _ZN9rocsparseL19gebsrmvn_4xn_kernelILj128ELj3ELj16EfEEvi20rocsparse_direction_NS_24const_host_device_scalarIT2_EEPKiS6_PKS3_S8_S4_PS3_21rocsparse_index_base_b.numbered_sgpr, 20
	.set _ZN9rocsparseL19gebsrmvn_4xn_kernelILj128ELj3ELj16EfEEvi20rocsparse_direction_NS_24const_host_device_scalarIT2_EEPKiS6_PKS3_S8_S4_PS3_21rocsparse_index_base_b.num_named_barrier, 0
	.set _ZN9rocsparseL19gebsrmvn_4xn_kernelILj128ELj3ELj16EfEEvi20rocsparse_direction_NS_24const_host_device_scalarIT2_EEPKiS6_PKS3_S8_S4_PS3_21rocsparse_index_base_b.private_seg_size, 0
	.set _ZN9rocsparseL19gebsrmvn_4xn_kernelILj128ELj3ELj16EfEEvi20rocsparse_direction_NS_24const_host_device_scalarIT2_EEPKiS6_PKS3_S8_S4_PS3_21rocsparse_index_base_b.uses_vcc, 1
	.set _ZN9rocsparseL19gebsrmvn_4xn_kernelILj128ELj3ELj16EfEEvi20rocsparse_direction_NS_24const_host_device_scalarIT2_EEPKiS6_PKS3_S8_S4_PS3_21rocsparse_index_base_b.uses_flat_scratch, 0
	.set _ZN9rocsparseL19gebsrmvn_4xn_kernelILj128ELj3ELj16EfEEvi20rocsparse_direction_NS_24const_host_device_scalarIT2_EEPKiS6_PKS3_S8_S4_PS3_21rocsparse_index_base_b.has_dyn_sized_stack, 0
	.set _ZN9rocsparseL19gebsrmvn_4xn_kernelILj128ELj3ELj16EfEEvi20rocsparse_direction_NS_24const_host_device_scalarIT2_EEPKiS6_PKS3_S8_S4_PS3_21rocsparse_index_base_b.has_recursion, 0
	.set _ZN9rocsparseL19gebsrmvn_4xn_kernelILj128ELj3ELj16EfEEvi20rocsparse_direction_NS_24const_host_device_scalarIT2_EEPKiS6_PKS3_S8_S4_PS3_21rocsparse_index_base_b.has_indirect_call, 0
	.section	.AMDGPU.csdata,"",@progbits
; Kernel info:
; codeLenInByte = 1364
; TotalNumSgprs: 26
; NumVgprs: 40
; NumAgprs: 0
; TotalNumVgprs: 40
; ScratchSize: 0
; MemoryBound: 0
; FloatMode: 240
; IeeeMode: 1
; LDSByteSize: 0 bytes/workgroup (compile time only)
; SGPRBlocks: 3
; VGPRBlocks: 4
; NumSGPRsForWavesPerEU: 26
; NumVGPRsForWavesPerEU: 40
; AccumOffset: 40
; Occupancy: 8
; WaveLimiterHint : 1
; COMPUTE_PGM_RSRC2:SCRATCH_EN: 0
; COMPUTE_PGM_RSRC2:USER_SGPR: 2
; COMPUTE_PGM_RSRC2:TRAP_HANDLER: 0
; COMPUTE_PGM_RSRC2:TGID_X_EN: 1
; COMPUTE_PGM_RSRC2:TGID_Y_EN: 0
; COMPUTE_PGM_RSRC2:TGID_Z_EN: 0
; COMPUTE_PGM_RSRC2:TIDIG_COMP_CNT: 0
; COMPUTE_PGM_RSRC3_GFX90A:ACCUM_OFFSET: 9
; COMPUTE_PGM_RSRC3_GFX90A:TG_SPLIT: 0
	.section	.text._ZN9rocsparseL19gebsrmvn_4xn_kernelILj128ELj3ELj32EfEEvi20rocsparse_direction_NS_24const_host_device_scalarIT2_EEPKiS6_PKS3_S8_S4_PS3_21rocsparse_index_base_b,"axG",@progbits,_ZN9rocsparseL19gebsrmvn_4xn_kernelILj128ELj3ELj32EfEEvi20rocsparse_direction_NS_24const_host_device_scalarIT2_EEPKiS6_PKS3_S8_S4_PS3_21rocsparse_index_base_b,comdat
	.globl	_ZN9rocsparseL19gebsrmvn_4xn_kernelILj128ELj3ELj32EfEEvi20rocsparse_direction_NS_24const_host_device_scalarIT2_EEPKiS6_PKS3_S8_S4_PS3_21rocsparse_index_base_b ; -- Begin function _ZN9rocsparseL19gebsrmvn_4xn_kernelILj128ELj3ELj32EfEEvi20rocsparse_direction_NS_24const_host_device_scalarIT2_EEPKiS6_PKS3_S8_S4_PS3_21rocsparse_index_base_b
	.p2align	8
	.type	_ZN9rocsparseL19gebsrmvn_4xn_kernelILj128ELj3ELj32EfEEvi20rocsparse_direction_NS_24const_host_device_scalarIT2_EEPKiS6_PKS3_S8_S4_PS3_21rocsparse_index_base_b,@function
_ZN9rocsparseL19gebsrmvn_4xn_kernelILj128ELj3ELj32EfEEvi20rocsparse_direction_NS_24const_host_device_scalarIT2_EEPKiS6_PKS3_S8_S4_PS3_21rocsparse_index_base_b: ; @_ZN9rocsparseL19gebsrmvn_4xn_kernelILj128ELj3ELj32EfEEvi20rocsparse_direction_NS_24const_host_device_scalarIT2_EEPKiS6_PKS3_S8_S4_PS3_21rocsparse_index_base_b
; %bb.0:
	s_load_dwordx2 s[16:17], s[0:1], 0x40
	s_load_dwordx2 s[14:15], s[0:1], 0x8
	;; [unrolled: 1-line block ×3, first 2 shown]
	s_waitcnt lgkmcnt(0)
	s_bitcmp1_b32 s17, 0
	s_cselect_b64 s[6:7], -1, 0
	s_xor_b64 s[4:5], s[6:7], -1
	s_and_b64 vcc, exec, s[6:7]
	s_cbranch_vccnz .LBB13_2
; %bb.1:
	s_load_dword s14, s[14:15], 0x0
.LBB13_2:
	s_andn2_b64 vcc, exec, s[4:5]
	s_cbranch_vccnz .LBB13_4
; %bb.3:
	s_load_dword s12, s[12:13], 0x0
.LBB13_4:
	s_waitcnt lgkmcnt(0)
	v_cmp_eq_f32_e64 s[4:5], s14, 0
	v_cmp_eq_f32_e64 s[6:7], s12, 1.0
	s_and_b64 s[4:5], s[4:5], s[6:7]
	s_and_b64 vcc, exec, s[4:5]
	s_cbranch_vccnz .LBB13_22
; %bb.5:
	s_load_dwordx2 s[18:19], s[0:1], 0x0
	v_lshrrev_b32_e32 v1, 5, v0
	v_lshl_or_b32 v2, s2, 2, v1
	s_waitcnt lgkmcnt(0)
	v_cmp_gt_i32_e32 vcc, s18, v2
	s_and_saveexec_b64 s[2:3], vcc
	s_cbranch_execz .LBB13_22
; %bb.6:
	s_load_dwordx8 s[4:11], s[0:1], 0x10
	v_ashrrev_i32_e32 v3, 31, v2
	s_cmp_lg_u32 s19, 0
	s_waitcnt lgkmcnt(0)
	v_lshl_add_u64 v[4:5], v[2:3], 2, s[4:5]
	global_load_dwordx2 v[4:5], v[4:5], off
	v_and_b32_e32 v3, 31, v0
	s_waitcnt vmcnt(0)
	v_subrev_u32_e32 v0, s16, v4
	v_subrev_u32_e32 v12, s16, v5
	v_add_u32_e32 v4, v0, v3
	v_cmp_lt_i32_e64 s[2:3], v4, v12
	s_cbranch_scc0 .LBB13_12
; %bb.7:
	v_mov_b32_e32 v1, 0
	v_mov_b32_e32 v0, v1
	v_mov_b32_e32 v7, v1
	v_mov_b32_e32 v6, v1
	s_and_saveexec_b64 s[4:5], s[2:3]
	s_cbranch_execz .LBB13_11
; %bb.8:
	v_mov_b32_e32 v9, 0
	v_mul_lo_u32 v8, v4, 12
	s_mov_b64 s[18:19], 0
	v_mov_b32_e32 v10, v4
	v_mov_b32_e32 v6, v9
	;; [unrolled: 1-line block ×5, first 2 shown]
.LBB13_9:                               ; =>This Inner Loop Header: Depth=1
	v_ashrrev_i32_e32 v11, 31, v10
	v_lshl_add_u64 v[14:15], v[10:11], 2, s[6:7]
	global_load_dword v5, v[14:15], off
	v_add_u32_e32 v18, 4, v8
	v_mov_b32_e32 v19, v9
	v_lshl_add_u64 v[14:15], v[8:9], 2, s[8:9]
	v_mov_b32_e32 v27, v9
	v_add_u32_e32 v20, 8, v8
	v_mov_b32_e32 v21, v9
	v_lshl_add_u64 v[32:33], v[18:19], 2, s[8:9]
	global_load_dwordx4 v[14:17], v[14:15], off
	v_lshl_add_u64 v[34:35], v[20:21], 2, s[8:9]
	global_load_dwordx4 v[18:21], v[32:33], off
	global_load_dwordx4 v[22:25], v[34:35], off
	v_mov_b32_e32 v29, v9
	v_mov_b32_e32 v31, v9
	v_add_u32_e32 v10, 32, v10
	v_cmp_ge_i32_e32 vcc, v10, v12
	v_add_u32_e32 v8, 0x180, v8
	s_or_b64 s[18:19], vcc, s[18:19]
	s_waitcnt vmcnt(3)
	v_subrev_u32_e32 v5, s16, v5
	v_lshl_add_u32 v26, v5, 1, v5
	v_lshl_add_u64 v[32:33], v[26:27], 2, s[10:11]
	v_add_u32_e32 v28, 1, v26
	v_add_u32_e32 v30, 2, v26
	global_load_dword v26, v[32:33], off
	v_lshl_add_u64 v[28:29], v[28:29], 2, s[10:11]
	v_lshl_add_u64 v[30:31], v[30:31], 2, s[10:11]
	global_load_dword v32, v[28:29], off
	global_load_dword v34, v[30:31], off
	s_waitcnt vmcnt(2)
	v_pk_fma_f32 v[6:7], v[14:15], v[26:27], v[6:7] op_sel_hi:[1,0,1]
	v_pk_fma_f32 v[0:1], v[16:17], v[26:27], v[0:1] op_sel_hi:[1,0,1]
	s_waitcnt vmcnt(1)
	v_pk_fma_f32 v[6:7], v[18:19], v[32:33], v[6:7] op_sel_hi:[1,0,1]
	v_pk_fma_f32 v[0:1], v[20:21], v[32:33], v[0:1] op_sel_hi:[1,0,1]
	;; [unrolled: 3-line block ×3, first 2 shown]
	s_andn2_b64 exec, exec, s[18:19]
	s_cbranch_execnz .LBB13_9
; %bb.10:
	s_or_b64 exec, exec, s[18:19]
.LBB13_11:
	s_or_b64 exec, exec, s[4:5]
	s_cbranch_execz .LBB13_13
	s_branch .LBB13_18
.LBB13_12:
                                        ; implicit-def: $vgpr1
                                        ; implicit-def: $vgpr7
.LBB13_13:
	v_mov_b32_e32 v1, 0
	v_mov_b32_e32 v0, v1
	;; [unrolled: 1-line block ×4, first 2 shown]
	s_and_saveexec_b64 s[4:5], s[2:3]
	s_cbranch_execz .LBB13_17
; %bb.14:
	v_mad_u64_u32 v[8:9], s[2:3], v4, 12, 11
	v_mov_b32_e32 v11, 0
	s_mov_b64 s[2:3], 0
	v_mov_b32_e32 v6, v11
	v_mov_b32_e32 v1, 0
	;; [unrolled: 1-line block ×4, first 2 shown]
.LBB13_15:                              ; =>This Inner Loop Header: Depth=1
	v_ashrrev_i32_e32 v5, 31, v4
	v_add_u32_e32 v10, -11, v8
	v_lshl_add_u64 v[18:19], v[4:5], 2, s[6:7]
	v_lshl_add_u64 v[20:21], v[10:11], 2, s[8:9]
	global_load_dword v5, v[18:19], off
	global_load_dwordx4 v[14:17], v[20:21], off
	v_add_u32_e32 v18, -5, v8
	v_add_u32_e32 v20, -2, v8
	v_mov_b32_e32 v19, v11
	v_mov_b32_e32 v21, v11
	;; [unrolled: 1-line block ×3, first 2 shown]
	v_lshl_add_u64 v[18:19], v[18:19], 2, s[8:9]
	v_lshl_add_u64 v[20:21], v[20:21], 2, s[8:9]
	global_load_dword v26, v[18:19], off
	global_load_dword v27, v[20:21], off
	v_mov_b32_e32 v9, v11
	v_lshl_add_u64 v[24:25], v[8:9], 2, s[8:9]
	v_add_u32_e32 v4, 32, v4
	v_cmp_ge_i32_e32 vcc, v4, v12
	s_or_b64 s[2:3], vcc, s[2:3]
	s_waitcnt vmcnt(3)
	v_subrev_u32_e32 v5, s16, v5
	v_lshl_add_u32 v22, v5, 1, v5
	v_add_u32_e32 v10, 1, v22
	v_lshl_add_u64 v[28:29], v[10:11], 2, s[10:11]
	v_add_u32_e32 v10, -7, v8
	v_lshl_add_u64 v[30:31], v[10:11], 2, s[8:9]
	v_add_u32_e32 v10, -4, v8
	v_lshl_add_u64 v[20:21], v[22:23], 2, s[10:11]
	global_load_dword v23, v[30:31], off
	v_lshl_add_u64 v[30:31], v[10:11], 2, s[8:9]
	v_add_u32_e32 v10, -1, v8
	v_lshl_add_u64 v[32:33], v[10:11], 2, s[8:9]
	v_add_u32_e32 v10, 2, v22
	global_load_dword v20, v[20:21], off
	s_waitcnt vmcnt(4)
	v_mov_b32_e32 v19, v17
	global_load_dword v28, v[28:29], off
	s_nop 0
	global_load_dword v34, v[30:31], off
	global_load_dword v35, v[32:33], off
	v_lshl_add_u64 v[30:31], v[10:11], 2, s[10:11]
	v_add_u32_e32 v10, -6, v8
	v_lshl_add_u64 v[32:33], v[10:11], 2, s[8:9]
	v_add_u32_e32 v10, -3, v8
	global_load_dword v30, v[30:31], off
	v_lshl_add_u64 v[36:37], v[10:11], 2, s[8:9]
	global_load_dword v17, v[32:33], off
	global_load_dword v38, v[36:37], off
	;; [unrolled: 1-line block ×3, first 2 shown]
	v_mov_b32_e32 v18, v14
	v_mov_b32_e32 v22, v15
	v_add_u32_e32 v8, 0x180, v8
	s_waitcnt vmcnt(7)
	v_pk_fma_f32 v[6:7], v[18:19], v[20:21], v[6:7] op_sel_hi:[1,0,1]
	v_pk_fma_f32 v[0:1], v[26:27], v[20:21], v[0:1] op_sel_hi:[1,0,1]
	s_waitcnt vmcnt(6)
	v_pk_fma_f32 v[6:7], v[22:23], v[28:29], v[6:7] op_sel_hi:[1,0,1]
	s_waitcnt vmcnt(4)
	;; [unrolled: 2-line block ×4, first 2 shown]
	v_pk_fma_f32 v[0:1], v[38:39], v[30:31], v[0:1] op_sel_hi:[1,0,1]
	s_andn2_b64 exec, exec, s[2:3]
	s_cbranch_execnz .LBB13_15
; %bb.16:
	s_or_b64 exec, exec, s[2:3]
.LBB13_17:
	s_or_b64 exec, exec, s[4:5]
.LBB13_18:
	v_mov_b32_dpp v4, v6 row_shr:1 row_mask:0xf bank_mask:0xf
	v_mov_b32_dpp v5, v7 row_shr:1 row_mask:0xf bank_mask:0xf
	;; [unrolled: 1-line block ×4, first 2 shown]
	v_pk_add_f32 v[4:5], v[6:7], v[4:5]
	v_pk_add_f32 v[0:1], v[0:1], v[8:9]
	v_cmp_eq_u32_e32 vcc, 31, v3
	v_mov_b32_dpp v6, v4 row_shr:2 row_mask:0xf bank_mask:0xf
	v_mov_b32_dpp v7, v5 row_shr:2 row_mask:0xf bank_mask:0xf
	v_mov_b32_dpp v8, v0 row_shr:2 row_mask:0xf bank_mask:0xf
	v_mov_b32_dpp v9, v1 row_shr:2 row_mask:0xf bank_mask:0xf
	v_pk_add_f32 v[4:5], v[4:5], v[6:7]
	v_pk_add_f32 v[0:1], v[0:1], v[8:9]
	s_nop 0
	v_mov_b32_dpp v6, v4 row_shr:4 row_mask:0xf bank_mask:0xe
	v_mov_b32_dpp v7, v5 row_shr:4 row_mask:0xf bank_mask:0xe
	v_mov_b32_dpp v8, v0 row_shr:4 row_mask:0xf bank_mask:0xe
	v_mov_b32_dpp v9, v1 row_shr:4 row_mask:0xf bank_mask:0xe
	v_pk_add_f32 v[4:5], v[4:5], v[6:7]
	v_pk_add_f32 v[0:1], v[0:1], v[8:9]
	s_nop 0
	;; [unrolled: 7-line block ×3, first 2 shown]
	v_mov_b32_dpp v6, v4 row_bcast:15 row_mask:0xa bank_mask:0xf
	v_mov_b32_dpp v7, v5 row_bcast:15 row_mask:0xa bank_mask:0xf
	;; [unrolled: 1-line block ×4, first 2 shown]
	s_and_b64 exec, exec, vcc
	s_cbranch_execz .LBB13_22
; %bb.19:
	s_load_dwordx2 s[0:1], s[0:1], 0x38
	v_cmp_eq_f32_e64 s[2:3], s12, 0
	v_pk_add_f32 v[4:5], v[4:5], v[6:7]
	v_pk_add_f32 v[0:1], v[0:1], v[8:9]
	s_and_b64 vcc, exec, s[2:3]
	v_lshlrev_b32_e32 v2, 2, v2
	s_cbranch_vccz .LBB13_23
; %bb.20:
	v_ashrrev_i32_e32 v3, 31, v2
	s_waitcnt lgkmcnt(0)
	v_lshl_add_u64 v[10:11], v[2:3], 2, s[0:1]
	v_pk_mul_f32 v[6:7], s[14:15], v[4:5] op_sel_hi:[0,1]
	v_pk_mul_f32 v[8:9], s[14:15], v[0:1] op_sel_hi:[0,1]
	global_store_dwordx4 v[10:11], v[6:9], off
	s_cbranch_execnz .LBB13_22
.LBB13_21:
	v_ashrrev_i32_e32 v3, 31, v2
	s_waitcnt lgkmcnt(0)
	v_lshl_add_u64 v[10:11], v[2:3], 2, s[0:1]
	global_load_dwordx4 v[6:9], v[10:11], off
	v_pk_mul_f32 v[2:3], s[14:15], v[4:5] op_sel_hi:[0,1]
	v_pk_mul_f32 v[4:5], s[14:15], v[0:1] op_sel_hi:[0,1]
	s_waitcnt vmcnt(0)
	v_pk_fma_f32 v[0:1], s[12:13], v[6:7], v[2:3] op_sel_hi:[0,1,1]
	v_pk_fma_f32 v[2:3], s[12:13], v[8:9], v[4:5] op_sel_hi:[0,1,1]
	global_store_dwordx4 v[10:11], v[0:3], off
.LBB13_22:
	s_endpgm
.LBB13_23:
	s_branch .LBB13_21
	.section	.rodata,"a",@progbits
	.p2align	6, 0x0
	.amdhsa_kernel _ZN9rocsparseL19gebsrmvn_4xn_kernelILj128ELj3ELj32EfEEvi20rocsparse_direction_NS_24const_host_device_scalarIT2_EEPKiS6_PKS3_S8_S4_PS3_21rocsparse_index_base_b
		.amdhsa_group_segment_fixed_size 0
		.amdhsa_private_segment_fixed_size 0
		.amdhsa_kernarg_size 72
		.amdhsa_user_sgpr_count 2
		.amdhsa_user_sgpr_dispatch_ptr 0
		.amdhsa_user_sgpr_queue_ptr 0
		.amdhsa_user_sgpr_kernarg_segment_ptr 1
		.amdhsa_user_sgpr_dispatch_id 0
		.amdhsa_user_sgpr_kernarg_preload_length 0
		.amdhsa_user_sgpr_kernarg_preload_offset 0
		.amdhsa_user_sgpr_private_segment_size 0
		.amdhsa_uses_dynamic_stack 0
		.amdhsa_enable_private_segment 0
		.amdhsa_system_sgpr_workgroup_id_x 1
		.amdhsa_system_sgpr_workgroup_id_y 0
		.amdhsa_system_sgpr_workgroup_id_z 0
		.amdhsa_system_sgpr_workgroup_info 0
		.amdhsa_system_vgpr_workitem_id 0
		.amdhsa_next_free_vgpr 40
		.amdhsa_next_free_sgpr 20
		.amdhsa_accum_offset 40
		.amdhsa_reserve_vcc 1
		.amdhsa_float_round_mode_32 0
		.amdhsa_float_round_mode_16_64 0
		.amdhsa_float_denorm_mode_32 3
		.amdhsa_float_denorm_mode_16_64 3
		.amdhsa_dx10_clamp 1
		.amdhsa_ieee_mode 1
		.amdhsa_fp16_overflow 0
		.amdhsa_tg_split 0
		.amdhsa_exception_fp_ieee_invalid_op 0
		.amdhsa_exception_fp_denorm_src 0
		.amdhsa_exception_fp_ieee_div_zero 0
		.amdhsa_exception_fp_ieee_overflow 0
		.amdhsa_exception_fp_ieee_underflow 0
		.amdhsa_exception_fp_ieee_inexact 0
		.amdhsa_exception_int_div_zero 0
	.end_amdhsa_kernel
	.section	.text._ZN9rocsparseL19gebsrmvn_4xn_kernelILj128ELj3ELj32EfEEvi20rocsparse_direction_NS_24const_host_device_scalarIT2_EEPKiS6_PKS3_S8_S4_PS3_21rocsparse_index_base_b,"axG",@progbits,_ZN9rocsparseL19gebsrmvn_4xn_kernelILj128ELj3ELj32EfEEvi20rocsparse_direction_NS_24const_host_device_scalarIT2_EEPKiS6_PKS3_S8_S4_PS3_21rocsparse_index_base_b,comdat
.Lfunc_end13:
	.size	_ZN9rocsparseL19gebsrmvn_4xn_kernelILj128ELj3ELj32EfEEvi20rocsparse_direction_NS_24const_host_device_scalarIT2_EEPKiS6_PKS3_S8_S4_PS3_21rocsparse_index_base_b, .Lfunc_end13-_ZN9rocsparseL19gebsrmvn_4xn_kernelILj128ELj3ELj32EfEEvi20rocsparse_direction_NS_24const_host_device_scalarIT2_EEPKiS6_PKS3_S8_S4_PS3_21rocsparse_index_base_b
                                        ; -- End function
	.set _ZN9rocsparseL19gebsrmvn_4xn_kernelILj128ELj3ELj32EfEEvi20rocsparse_direction_NS_24const_host_device_scalarIT2_EEPKiS6_PKS3_S8_S4_PS3_21rocsparse_index_base_b.num_vgpr, 40
	.set _ZN9rocsparseL19gebsrmvn_4xn_kernelILj128ELj3ELj32EfEEvi20rocsparse_direction_NS_24const_host_device_scalarIT2_EEPKiS6_PKS3_S8_S4_PS3_21rocsparse_index_base_b.num_agpr, 0
	.set _ZN9rocsparseL19gebsrmvn_4xn_kernelILj128ELj3ELj32EfEEvi20rocsparse_direction_NS_24const_host_device_scalarIT2_EEPKiS6_PKS3_S8_S4_PS3_21rocsparse_index_base_b.numbered_sgpr, 20
	.set _ZN9rocsparseL19gebsrmvn_4xn_kernelILj128ELj3ELj32EfEEvi20rocsparse_direction_NS_24const_host_device_scalarIT2_EEPKiS6_PKS3_S8_S4_PS3_21rocsparse_index_base_b.num_named_barrier, 0
	.set _ZN9rocsparseL19gebsrmvn_4xn_kernelILj128ELj3ELj32EfEEvi20rocsparse_direction_NS_24const_host_device_scalarIT2_EEPKiS6_PKS3_S8_S4_PS3_21rocsparse_index_base_b.private_seg_size, 0
	.set _ZN9rocsparseL19gebsrmvn_4xn_kernelILj128ELj3ELj32EfEEvi20rocsparse_direction_NS_24const_host_device_scalarIT2_EEPKiS6_PKS3_S8_S4_PS3_21rocsparse_index_base_b.uses_vcc, 1
	.set _ZN9rocsparseL19gebsrmvn_4xn_kernelILj128ELj3ELj32EfEEvi20rocsparse_direction_NS_24const_host_device_scalarIT2_EEPKiS6_PKS3_S8_S4_PS3_21rocsparse_index_base_b.uses_flat_scratch, 0
	.set _ZN9rocsparseL19gebsrmvn_4xn_kernelILj128ELj3ELj32EfEEvi20rocsparse_direction_NS_24const_host_device_scalarIT2_EEPKiS6_PKS3_S8_S4_PS3_21rocsparse_index_base_b.has_dyn_sized_stack, 0
	.set _ZN9rocsparseL19gebsrmvn_4xn_kernelILj128ELj3ELj32EfEEvi20rocsparse_direction_NS_24const_host_device_scalarIT2_EEPKiS6_PKS3_S8_S4_PS3_21rocsparse_index_base_b.has_recursion, 0
	.set _ZN9rocsparseL19gebsrmvn_4xn_kernelILj128ELj3ELj32EfEEvi20rocsparse_direction_NS_24const_host_device_scalarIT2_EEPKiS6_PKS3_S8_S4_PS3_21rocsparse_index_base_b.has_indirect_call, 0
	.section	.AMDGPU.csdata,"",@progbits
; Kernel info:
; codeLenInByte = 1416
; TotalNumSgprs: 26
; NumVgprs: 40
; NumAgprs: 0
; TotalNumVgprs: 40
; ScratchSize: 0
; MemoryBound: 0
; FloatMode: 240
; IeeeMode: 1
; LDSByteSize: 0 bytes/workgroup (compile time only)
; SGPRBlocks: 3
; VGPRBlocks: 4
; NumSGPRsForWavesPerEU: 26
; NumVGPRsForWavesPerEU: 40
; AccumOffset: 40
; Occupancy: 8
; WaveLimiterHint : 1
; COMPUTE_PGM_RSRC2:SCRATCH_EN: 0
; COMPUTE_PGM_RSRC2:USER_SGPR: 2
; COMPUTE_PGM_RSRC2:TRAP_HANDLER: 0
; COMPUTE_PGM_RSRC2:TGID_X_EN: 1
; COMPUTE_PGM_RSRC2:TGID_Y_EN: 0
; COMPUTE_PGM_RSRC2:TGID_Z_EN: 0
; COMPUTE_PGM_RSRC2:TIDIG_COMP_CNT: 0
; COMPUTE_PGM_RSRC3_GFX90A:ACCUM_OFFSET: 9
; COMPUTE_PGM_RSRC3_GFX90A:TG_SPLIT: 0
	.section	.text._ZN9rocsparseL19gebsrmvn_4xn_kernelILj128ELj3ELj64EfEEvi20rocsparse_direction_NS_24const_host_device_scalarIT2_EEPKiS6_PKS3_S8_S4_PS3_21rocsparse_index_base_b,"axG",@progbits,_ZN9rocsparseL19gebsrmvn_4xn_kernelILj128ELj3ELj64EfEEvi20rocsparse_direction_NS_24const_host_device_scalarIT2_EEPKiS6_PKS3_S8_S4_PS3_21rocsparse_index_base_b,comdat
	.globl	_ZN9rocsparseL19gebsrmvn_4xn_kernelILj128ELj3ELj64EfEEvi20rocsparse_direction_NS_24const_host_device_scalarIT2_EEPKiS6_PKS3_S8_S4_PS3_21rocsparse_index_base_b ; -- Begin function _ZN9rocsparseL19gebsrmvn_4xn_kernelILj128ELj3ELj64EfEEvi20rocsparse_direction_NS_24const_host_device_scalarIT2_EEPKiS6_PKS3_S8_S4_PS3_21rocsparse_index_base_b
	.p2align	8
	.type	_ZN9rocsparseL19gebsrmvn_4xn_kernelILj128ELj3ELj64EfEEvi20rocsparse_direction_NS_24const_host_device_scalarIT2_EEPKiS6_PKS3_S8_S4_PS3_21rocsparse_index_base_b,@function
_ZN9rocsparseL19gebsrmvn_4xn_kernelILj128ELj3ELj64EfEEvi20rocsparse_direction_NS_24const_host_device_scalarIT2_EEPKiS6_PKS3_S8_S4_PS3_21rocsparse_index_base_b: ; @_ZN9rocsparseL19gebsrmvn_4xn_kernelILj128ELj3ELj64EfEEvi20rocsparse_direction_NS_24const_host_device_scalarIT2_EEPKiS6_PKS3_S8_S4_PS3_21rocsparse_index_base_b
; %bb.0:
	s_load_dwordx2 s[16:17], s[0:1], 0x40
	s_load_dwordx2 s[14:15], s[0:1], 0x8
	s_load_dwordx2 s[12:13], s[0:1], 0x30
	s_waitcnt lgkmcnt(0)
	s_bitcmp1_b32 s17, 0
	s_cselect_b64 s[6:7], -1, 0
	s_xor_b64 s[4:5], s[6:7], -1
	s_and_b64 vcc, exec, s[6:7]
	s_cbranch_vccnz .LBB14_2
; %bb.1:
	s_load_dword s14, s[14:15], 0x0
.LBB14_2:
	s_andn2_b64 vcc, exec, s[4:5]
	s_cbranch_vccnz .LBB14_4
; %bb.3:
	s_load_dword s12, s[12:13], 0x0
.LBB14_4:
	s_waitcnt lgkmcnt(0)
	v_cmp_eq_f32_e64 s[4:5], s14, 0
	v_cmp_eq_f32_e64 s[6:7], s12, 1.0
	s_and_b64 s[4:5], s[4:5], s[6:7]
	s_and_b64 vcc, exec, s[4:5]
	s_cbranch_vccnz .LBB14_22
; %bb.5:
	s_load_dwordx2 s[18:19], s[0:1], 0x0
	v_lshrrev_b32_e32 v1, 6, v0
	v_lshl_or_b32 v2, s2, 1, v1
	s_waitcnt lgkmcnt(0)
	v_cmp_gt_i32_e32 vcc, s18, v2
	s_and_saveexec_b64 s[2:3], vcc
	s_cbranch_execz .LBB14_22
; %bb.6:
	s_load_dwordx8 s[4:11], s[0:1], 0x10
	v_ashrrev_i32_e32 v3, 31, v2
	s_cmp_lg_u32 s19, 0
	s_waitcnt lgkmcnt(0)
	v_lshl_add_u64 v[4:5], v[2:3], 2, s[4:5]
	global_load_dwordx2 v[4:5], v[4:5], off
	v_and_b32_e32 v3, 63, v0
	s_waitcnt vmcnt(0)
	v_subrev_u32_e32 v0, s16, v4
	v_subrev_u32_e32 v12, s16, v5
	v_add_u32_e32 v4, v0, v3
	v_cmp_lt_i32_e64 s[2:3], v4, v12
	s_cbranch_scc0 .LBB14_12
; %bb.7:
	v_mov_b32_e32 v1, 0
	v_mov_b32_e32 v0, v1
	;; [unrolled: 1-line block ×4, first 2 shown]
	s_and_saveexec_b64 s[4:5], s[2:3]
	s_cbranch_execz .LBB14_11
; %bb.8:
	v_mov_b32_e32 v9, 0
	v_mul_lo_u32 v8, v4, 12
	s_mov_b64 s[18:19], 0
	v_mov_b32_e32 v10, v4
	v_mov_b32_e32 v0, v9
	;; [unrolled: 1-line block ×5, first 2 shown]
.LBB14_9:                               ; =>This Inner Loop Header: Depth=1
	v_ashrrev_i32_e32 v11, 31, v10
	v_lshl_add_u64 v[14:15], v[10:11], 2, s[6:7]
	global_load_dword v5, v[14:15], off
	v_add_u32_e32 v18, 4, v8
	v_mov_b32_e32 v19, v9
	v_lshl_add_u64 v[14:15], v[8:9], 2, s[8:9]
	v_mov_b32_e32 v27, v9
	v_add_u32_e32 v20, 8, v8
	v_mov_b32_e32 v21, v9
	v_lshl_add_u64 v[32:33], v[18:19], 2, s[8:9]
	global_load_dwordx4 v[14:17], v[14:15], off
	v_lshl_add_u64 v[34:35], v[20:21], 2, s[8:9]
	global_load_dwordx4 v[18:21], v[32:33], off
	global_load_dwordx4 v[22:25], v[34:35], off
	v_mov_b32_e32 v29, v9
	v_mov_b32_e32 v31, v9
	v_add_u32_e32 v10, 64, v10
	v_cmp_ge_i32_e32 vcc, v10, v12
	v_add_u32_e32 v8, 0x300, v8
	s_or_b64 s[18:19], vcc, s[18:19]
	s_waitcnt vmcnt(3)
	v_subrev_u32_e32 v5, s16, v5
	v_lshl_add_u32 v26, v5, 1, v5
	v_lshl_add_u64 v[32:33], v[26:27], 2, s[10:11]
	v_add_u32_e32 v28, 1, v26
	v_add_u32_e32 v30, 2, v26
	global_load_dword v26, v[32:33], off
	v_lshl_add_u64 v[28:29], v[28:29], 2, s[10:11]
	v_lshl_add_u64 v[30:31], v[30:31], 2, s[10:11]
	global_load_dword v32, v[28:29], off
	global_load_dword v34, v[30:31], off
	s_waitcnt vmcnt(2)
	v_pk_fma_f32 v[6:7], v[14:15], v[26:27], v[6:7] op_sel_hi:[1,0,1]
	v_pk_fma_f32 v[0:1], v[16:17], v[26:27], v[0:1] op_sel_hi:[1,0,1]
	s_waitcnt vmcnt(1)
	v_pk_fma_f32 v[6:7], v[18:19], v[32:33], v[6:7] op_sel_hi:[1,0,1]
	v_pk_fma_f32 v[0:1], v[20:21], v[32:33], v[0:1] op_sel_hi:[1,0,1]
	;; [unrolled: 3-line block ×3, first 2 shown]
	s_andn2_b64 exec, exec, s[18:19]
	s_cbranch_execnz .LBB14_9
; %bb.10:
	s_or_b64 exec, exec, s[18:19]
.LBB14_11:
	s_or_b64 exec, exec, s[4:5]
	s_cbranch_execz .LBB14_13
	s_branch .LBB14_18
.LBB14_12:
                                        ; implicit-def: $vgpr1
                                        ; implicit-def: $vgpr7
.LBB14_13:
	v_mov_b32_e32 v1, 0
	v_mov_b32_e32 v0, v1
	;; [unrolled: 1-line block ×4, first 2 shown]
	s_and_saveexec_b64 s[4:5], s[2:3]
	s_cbranch_execz .LBB14_17
; %bb.14:
	v_mad_u64_u32 v[8:9], s[2:3], v4, 12, 11
	v_mov_b32_e32 v11, 0
	s_mov_b64 s[2:3], 0
	v_mov_b32_e32 v0, v11
	v_mov_b32_e32 v1, v11
	;; [unrolled: 1-line block ×4, first 2 shown]
.LBB14_15:                              ; =>This Inner Loop Header: Depth=1
	v_ashrrev_i32_e32 v5, 31, v4
	v_add_u32_e32 v10, -11, v8
	v_lshl_add_u64 v[18:19], v[4:5], 2, s[6:7]
	v_lshl_add_u64 v[20:21], v[10:11], 2, s[8:9]
	global_load_dword v5, v[18:19], off
	global_load_dwordx4 v[14:17], v[20:21], off
	v_add_u32_e32 v18, -5, v8
	v_add_u32_e32 v20, -2, v8
	v_mov_b32_e32 v19, v11
	v_mov_b32_e32 v21, v11
	;; [unrolled: 1-line block ×3, first 2 shown]
	v_lshl_add_u64 v[18:19], v[18:19], 2, s[8:9]
	v_lshl_add_u64 v[20:21], v[20:21], 2, s[8:9]
	global_load_dword v26, v[18:19], off
	global_load_dword v27, v[20:21], off
	v_mov_b32_e32 v9, v11
	v_lshl_add_u64 v[24:25], v[8:9], 2, s[8:9]
	v_add_u32_e32 v4, 64, v4
	v_cmp_ge_i32_e32 vcc, v4, v12
	s_or_b64 s[2:3], vcc, s[2:3]
	s_waitcnt vmcnt(3)
	v_subrev_u32_e32 v5, s16, v5
	v_lshl_add_u32 v22, v5, 1, v5
	v_add_u32_e32 v10, 1, v22
	v_lshl_add_u64 v[28:29], v[10:11], 2, s[10:11]
	v_add_u32_e32 v10, -7, v8
	v_lshl_add_u64 v[30:31], v[10:11], 2, s[8:9]
	v_add_u32_e32 v10, -4, v8
	v_lshl_add_u64 v[20:21], v[22:23], 2, s[10:11]
	global_load_dword v23, v[30:31], off
	v_lshl_add_u64 v[30:31], v[10:11], 2, s[8:9]
	v_add_u32_e32 v10, -1, v8
	v_lshl_add_u64 v[32:33], v[10:11], 2, s[8:9]
	v_add_u32_e32 v10, 2, v22
	global_load_dword v20, v[20:21], off
	s_waitcnt vmcnt(4)
	v_mov_b32_e32 v19, v17
	global_load_dword v28, v[28:29], off
	s_nop 0
	global_load_dword v34, v[30:31], off
	global_load_dword v35, v[32:33], off
	v_lshl_add_u64 v[30:31], v[10:11], 2, s[10:11]
	v_add_u32_e32 v10, -6, v8
	v_lshl_add_u64 v[32:33], v[10:11], 2, s[8:9]
	v_add_u32_e32 v10, -3, v8
	global_load_dword v30, v[30:31], off
	v_lshl_add_u64 v[36:37], v[10:11], 2, s[8:9]
	global_load_dword v17, v[32:33], off
	global_load_dword v38, v[36:37], off
	global_load_dword v39, v[24:25], off
	v_mov_b32_e32 v18, v14
	v_mov_b32_e32 v22, v15
	v_add_u32_e32 v8, 0x300, v8
	s_waitcnt vmcnt(7)
	v_pk_fma_f32 v[6:7], v[18:19], v[20:21], v[6:7] op_sel_hi:[1,0,1]
	v_pk_fma_f32 v[0:1], v[26:27], v[20:21], v[0:1] op_sel_hi:[1,0,1]
	s_waitcnt vmcnt(6)
	v_pk_fma_f32 v[6:7], v[22:23], v[28:29], v[6:7] op_sel_hi:[1,0,1]
	s_waitcnt vmcnt(4)
	;; [unrolled: 2-line block ×4, first 2 shown]
	v_pk_fma_f32 v[0:1], v[38:39], v[30:31], v[0:1] op_sel_hi:[1,0,1]
	s_andn2_b64 exec, exec, s[2:3]
	s_cbranch_execnz .LBB14_15
; %bb.16:
	s_or_b64 exec, exec, s[2:3]
.LBB14_17:
	s_or_b64 exec, exec, s[4:5]
.LBB14_18:
	v_mov_b32_dpp v4, v6 row_shr:1 row_mask:0xf bank_mask:0xf
	v_mov_b32_dpp v5, v7 row_shr:1 row_mask:0xf bank_mask:0xf
	;; [unrolled: 1-line block ×4, first 2 shown]
	v_pk_add_f32 v[4:5], v[6:7], v[4:5]
	v_pk_add_f32 v[0:1], v[0:1], v[8:9]
	v_cmp_eq_u32_e32 vcc, 63, v3
	v_mov_b32_dpp v6, v4 row_shr:2 row_mask:0xf bank_mask:0xf
	v_mov_b32_dpp v7, v5 row_shr:2 row_mask:0xf bank_mask:0xf
	v_mov_b32_dpp v8, v0 row_shr:2 row_mask:0xf bank_mask:0xf
	v_mov_b32_dpp v9, v1 row_shr:2 row_mask:0xf bank_mask:0xf
	v_pk_add_f32 v[4:5], v[4:5], v[6:7]
	v_pk_add_f32 v[0:1], v[0:1], v[8:9]
	s_nop 0
	v_mov_b32_dpp v6, v4 row_shr:4 row_mask:0xf bank_mask:0xe
	v_mov_b32_dpp v7, v5 row_shr:4 row_mask:0xf bank_mask:0xe
	v_mov_b32_dpp v8, v0 row_shr:4 row_mask:0xf bank_mask:0xe
	v_mov_b32_dpp v9, v1 row_shr:4 row_mask:0xf bank_mask:0xe
	v_pk_add_f32 v[4:5], v[4:5], v[6:7]
	v_pk_add_f32 v[0:1], v[0:1], v[8:9]
	s_nop 0
	;; [unrolled: 7-line block ×3, first 2 shown]
	v_mov_b32_dpp v6, v4 row_bcast:15 row_mask:0xa bank_mask:0xf
	v_mov_b32_dpp v7, v5 row_bcast:15 row_mask:0xa bank_mask:0xf
	;; [unrolled: 1-line block ×4, first 2 shown]
	v_pk_add_f32 v[4:5], v[4:5], v[6:7]
	v_pk_add_f32 v[0:1], v[0:1], v[8:9]
	s_nop 0
	v_mov_b32_dpp v6, v4 row_bcast:31 row_mask:0xc bank_mask:0xf
	v_mov_b32_dpp v7, v5 row_bcast:31 row_mask:0xc bank_mask:0xf
	v_mov_b32_dpp v8, v0 row_bcast:31 row_mask:0xc bank_mask:0xf
	v_mov_b32_dpp v9, v1 row_bcast:31 row_mask:0xc bank_mask:0xf
	s_and_b64 exec, exec, vcc
	s_cbranch_execz .LBB14_22
; %bb.19:
	s_load_dwordx2 s[0:1], s[0:1], 0x38
	v_cmp_eq_f32_e64 s[2:3], s12, 0
	v_pk_add_f32 v[4:5], v[4:5], v[6:7]
	v_pk_add_f32 v[0:1], v[0:1], v[8:9]
	s_and_b64 vcc, exec, s[2:3]
	v_lshlrev_b32_e32 v2, 2, v2
	s_cbranch_vccz .LBB14_23
; %bb.20:
	v_ashrrev_i32_e32 v3, 31, v2
	s_waitcnt lgkmcnt(0)
	v_lshl_add_u64 v[10:11], v[2:3], 2, s[0:1]
	v_pk_mul_f32 v[6:7], s[14:15], v[4:5] op_sel_hi:[0,1]
	v_pk_mul_f32 v[8:9], s[14:15], v[0:1] op_sel_hi:[0,1]
	global_store_dwordx4 v[10:11], v[6:9], off
	s_cbranch_execnz .LBB14_22
.LBB14_21:
	v_ashrrev_i32_e32 v3, 31, v2
	s_waitcnt lgkmcnt(0)
	v_lshl_add_u64 v[10:11], v[2:3], 2, s[0:1]
	global_load_dwordx4 v[6:9], v[10:11], off
	v_pk_mul_f32 v[2:3], s[14:15], v[4:5] op_sel_hi:[0,1]
	v_pk_mul_f32 v[4:5], s[14:15], v[0:1] op_sel_hi:[0,1]
	s_waitcnt vmcnt(0)
	v_pk_fma_f32 v[0:1], s[12:13], v[6:7], v[2:3] op_sel_hi:[0,1,1]
	v_pk_fma_f32 v[2:3], s[12:13], v[8:9], v[4:5] op_sel_hi:[0,1,1]
	global_store_dwordx4 v[10:11], v[0:3], off
.LBB14_22:
	s_endpgm
.LBB14_23:
	s_branch .LBB14_21
	.section	.rodata,"a",@progbits
	.p2align	6, 0x0
	.amdhsa_kernel _ZN9rocsparseL19gebsrmvn_4xn_kernelILj128ELj3ELj64EfEEvi20rocsparse_direction_NS_24const_host_device_scalarIT2_EEPKiS6_PKS3_S8_S4_PS3_21rocsparse_index_base_b
		.amdhsa_group_segment_fixed_size 0
		.amdhsa_private_segment_fixed_size 0
		.amdhsa_kernarg_size 72
		.amdhsa_user_sgpr_count 2
		.amdhsa_user_sgpr_dispatch_ptr 0
		.amdhsa_user_sgpr_queue_ptr 0
		.amdhsa_user_sgpr_kernarg_segment_ptr 1
		.amdhsa_user_sgpr_dispatch_id 0
		.amdhsa_user_sgpr_kernarg_preload_length 0
		.amdhsa_user_sgpr_kernarg_preload_offset 0
		.amdhsa_user_sgpr_private_segment_size 0
		.amdhsa_uses_dynamic_stack 0
		.amdhsa_enable_private_segment 0
		.amdhsa_system_sgpr_workgroup_id_x 1
		.amdhsa_system_sgpr_workgroup_id_y 0
		.amdhsa_system_sgpr_workgroup_id_z 0
		.amdhsa_system_sgpr_workgroup_info 0
		.amdhsa_system_vgpr_workitem_id 0
		.amdhsa_next_free_vgpr 40
		.amdhsa_next_free_sgpr 20
		.amdhsa_accum_offset 40
		.amdhsa_reserve_vcc 1
		.amdhsa_float_round_mode_32 0
		.amdhsa_float_round_mode_16_64 0
		.amdhsa_float_denorm_mode_32 3
		.amdhsa_float_denorm_mode_16_64 3
		.amdhsa_dx10_clamp 1
		.amdhsa_ieee_mode 1
		.amdhsa_fp16_overflow 0
		.amdhsa_tg_split 0
		.amdhsa_exception_fp_ieee_invalid_op 0
		.amdhsa_exception_fp_denorm_src 0
		.amdhsa_exception_fp_ieee_div_zero 0
		.amdhsa_exception_fp_ieee_overflow 0
		.amdhsa_exception_fp_ieee_underflow 0
		.amdhsa_exception_fp_ieee_inexact 0
		.amdhsa_exception_int_div_zero 0
	.end_amdhsa_kernel
	.section	.text._ZN9rocsparseL19gebsrmvn_4xn_kernelILj128ELj3ELj64EfEEvi20rocsparse_direction_NS_24const_host_device_scalarIT2_EEPKiS6_PKS3_S8_S4_PS3_21rocsparse_index_base_b,"axG",@progbits,_ZN9rocsparseL19gebsrmvn_4xn_kernelILj128ELj3ELj64EfEEvi20rocsparse_direction_NS_24const_host_device_scalarIT2_EEPKiS6_PKS3_S8_S4_PS3_21rocsparse_index_base_b,comdat
.Lfunc_end14:
	.size	_ZN9rocsparseL19gebsrmvn_4xn_kernelILj128ELj3ELj64EfEEvi20rocsparse_direction_NS_24const_host_device_scalarIT2_EEPKiS6_PKS3_S8_S4_PS3_21rocsparse_index_base_b, .Lfunc_end14-_ZN9rocsparseL19gebsrmvn_4xn_kernelILj128ELj3ELj64EfEEvi20rocsparse_direction_NS_24const_host_device_scalarIT2_EEPKiS6_PKS3_S8_S4_PS3_21rocsparse_index_base_b
                                        ; -- End function
	.set _ZN9rocsparseL19gebsrmvn_4xn_kernelILj128ELj3ELj64EfEEvi20rocsparse_direction_NS_24const_host_device_scalarIT2_EEPKiS6_PKS3_S8_S4_PS3_21rocsparse_index_base_b.num_vgpr, 40
	.set _ZN9rocsparseL19gebsrmvn_4xn_kernelILj128ELj3ELj64EfEEvi20rocsparse_direction_NS_24const_host_device_scalarIT2_EEPKiS6_PKS3_S8_S4_PS3_21rocsparse_index_base_b.num_agpr, 0
	.set _ZN9rocsparseL19gebsrmvn_4xn_kernelILj128ELj3ELj64EfEEvi20rocsparse_direction_NS_24const_host_device_scalarIT2_EEPKiS6_PKS3_S8_S4_PS3_21rocsparse_index_base_b.numbered_sgpr, 20
	.set _ZN9rocsparseL19gebsrmvn_4xn_kernelILj128ELj3ELj64EfEEvi20rocsparse_direction_NS_24const_host_device_scalarIT2_EEPKiS6_PKS3_S8_S4_PS3_21rocsparse_index_base_b.num_named_barrier, 0
	.set _ZN9rocsparseL19gebsrmvn_4xn_kernelILj128ELj3ELj64EfEEvi20rocsparse_direction_NS_24const_host_device_scalarIT2_EEPKiS6_PKS3_S8_S4_PS3_21rocsparse_index_base_b.private_seg_size, 0
	.set _ZN9rocsparseL19gebsrmvn_4xn_kernelILj128ELj3ELj64EfEEvi20rocsparse_direction_NS_24const_host_device_scalarIT2_EEPKiS6_PKS3_S8_S4_PS3_21rocsparse_index_base_b.uses_vcc, 1
	.set _ZN9rocsparseL19gebsrmvn_4xn_kernelILj128ELj3ELj64EfEEvi20rocsparse_direction_NS_24const_host_device_scalarIT2_EEPKiS6_PKS3_S8_S4_PS3_21rocsparse_index_base_b.uses_flat_scratch, 0
	.set _ZN9rocsparseL19gebsrmvn_4xn_kernelILj128ELj3ELj64EfEEvi20rocsparse_direction_NS_24const_host_device_scalarIT2_EEPKiS6_PKS3_S8_S4_PS3_21rocsparse_index_base_b.has_dyn_sized_stack, 0
	.set _ZN9rocsparseL19gebsrmvn_4xn_kernelILj128ELj3ELj64EfEEvi20rocsparse_direction_NS_24const_host_device_scalarIT2_EEPKiS6_PKS3_S8_S4_PS3_21rocsparse_index_base_b.has_recursion, 0
	.set _ZN9rocsparseL19gebsrmvn_4xn_kernelILj128ELj3ELj64EfEEvi20rocsparse_direction_NS_24const_host_device_scalarIT2_EEPKiS6_PKS3_S8_S4_PS3_21rocsparse_index_base_b.has_indirect_call, 0
	.section	.AMDGPU.csdata,"",@progbits
; Kernel info:
; codeLenInByte = 1468
; TotalNumSgprs: 26
; NumVgprs: 40
; NumAgprs: 0
; TotalNumVgprs: 40
; ScratchSize: 0
; MemoryBound: 0
; FloatMode: 240
; IeeeMode: 1
; LDSByteSize: 0 bytes/workgroup (compile time only)
; SGPRBlocks: 3
; VGPRBlocks: 4
; NumSGPRsForWavesPerEU: 26
; NumVGPRsForWavesPerEU: 40
; AccumOffset: 40
; Occupancy: 8
; WaveLimiterHint : 1
; COMPUTE_PGM_RSRC2:SCRATCH_EN: 0
; COMPUTE_PGM_RSRC2:USER_SGPR: 2
; COMPUTE_PGM_RSRC2:TRAP_HANDLER: 0
; COMPUTE_PGM_RSRC2:TGID_X_EN: 1
; COMPUTE_PGM_RSRC2:TGID_Y_EN: 0
; COMPUTE_PGM_RSRC2:TGID_Z_EN: 0
; COMPUTE_PGM_RSRC2:TIDIG_COMP_CNT: 0
; COMPUTE_PGM_RSRC3_GFX90A:ACCUM_OFFSET: 9
; COMPUTE_PGM_RSRC3_GFX90A:TG_SPLIT: 0
	.section	.text._ZN9rocsparseL19gebsrmvn_4xn_kernelILj128ELj5ELj4EfEEvi20rocsparse_direction_NS_24const_host_device_scalarIT2_EEPKiS6_PKS3_S8_S4_PS3_21rocsparse_index_base_b,"axG",@progbits,_ZN9rocsparseL19gebsrmvn_4xn_kernelILj128ELj5ELj4EfEEvi20rocsparse_direction_NS_24const_host_device_scalarIT2_EEPKiS6_PKS3_S8_S4_PS3_21rocsparse_index_base_b,comdat
	.globl	_ZN9rocsparseL19gebsrmvn_4xn_kernelILj128ELj5ELj4EfEEvi20rocsparse_direction_NS_24const_host_device_scalarIT2_EEPKiS6_PKS3_S8_S4_PS3_21rocsparse_index_base_b ; -- Begin function _ZN9rocsparseL19gebsrmvn_4xn_kernelILj128ELj5ELj4EfEEvi20rocsparse_direction_NS_24const_host_device_scalarIT2_EEPKiS6_PKS3_S8_S4_PS3_21rocsparse_index_base_b
	.p2align	8
	.type	_ZN9rocsparseL19gebsrmvn_4xn_kernelILj128ELj5ELj4EfEEvi20rocsparse_direction_NS_24const_host_device_scalarIT2_EEPKiS6_PKS3_S8_S4_PS3_21rocsparse_index_base_b,@function
_ZN9rocsparseL19gebsrmvn_4xn_kernelILj128ELj5ELj4EfEEvi20rocsparse_direction_NS_24const_host_device_scalarIT2_EEPKiS6_PKS3_S8_S4_PS3_21rocsparse_index_base_b: ; @_ZN9rocsparseL19gebsrmvn_4xn_kernelILj128ELj5ELj4EfEEvi20rocsparse_direction_NS_24const_host_device_scalarIT2_EEPKiS6_PKS3_S8_S4_PS3_21rocsparse_index_base_b
; %bb.0:
	s_load_dwordx2 s[16:17], s[0:1], 0x40
	s_load_dwordx2 s[14:15], s[0:1], 0x8
	;; [unrolled: 1-line block ×3, first 2 shown]
	s_waitcnt lgkmcnt(0)
	s_bitcmp1_b32 s17, 0
	s_cselect_b64 s[6:7], -1, 0
	s_xor_b64 s[4:5], s[6:7], -1
	s_and_b64 vcc, exec, s[6:7]
	s_cbranch_vccnz .LBB15_2
; %bb.1:
	s_load_dword s14, s[14:15], 0x0
.LBB15_2:
	s_andn2_b64 vcc, exec, s[4:5]
	s_cbranch_vccnz .LBB15_4
; %bb.3:
	s_load_dword s12, s[12:13], 0x0
.LBB15_4:
	s_waitcnt lgkmcnt(0)
	v_cmp_eq_f32_e64 s[4:5], s14, 0
	v_cmp_eq_f32_e64 s[6:7], s12, 1.0
	s_and_b64 s[4:5], s[4:5], s[6:7]
	s_and_b64 vcc, exec, s[4:5]
	s_cbranch_vccnz .LBB15_22
; %bb.5:
	s_load_dwordx2 s[18:19], s[0:1], 0x0
	v_lshrrev_b32_e32 v1, 2, v0
	v_lshl_or_b32 v2, s2, 5, v1
	s_waitcnt lgkmcnt(0)
	v_cmp_gt_i32_e32 vcc, s18, v2
	s_and_saveexec_b64 s[2:3], vcc
	s_cbranch_execz .LBB15_22
; %bb.6:
	s_load_dwordx8 s[4:11], s[0:1], 0x10
	v_ashrrev_i32_e32 v3, 31, v2
	s_cmp_lg_u32 s19, 0
	s_waitcnt lgkmcnt(0)
	v_lshl_add_u64 v[4:5], v[2:3], 2, s[4:5]
	global_load_dwordx2 v[4:5], v[4:5], off
	v_and_b32_e32 v3, 3, v0
	s_waitcnt vmcnt(0)
	v_subrev_u32_e32 v0, s16, v4
	v_subrev_u32_e32 v14, s16, v5
	v_add_u32_e32 v0, v0, v3
	v_cmp_lt_i32_e64 s[2:3], v0, v14
	s_cbranch_scc0 .LBB15_12
; %bb.7:
	v_mov_b32_e32 v5, 0
	v_mov_b32_e32 v4, v5
	;; [unrolled: 1-line block ×4, first 2 shown]
	s_and_saveexec_b64 s[4:5], s[2:3]
	s_cbranch_execz .LBB15_11
; %bb.8:
	v_mad_u64_u32 v[8:9], s[18:19], v0, 20, 16
	v_mov_b32_e32 v11, 0
	s_mov_b64 s[18:19], 0
	v_mov_b32_e32 v12, v0
	v_mov_b32_e32 v6, v11
	;; [unrolled: 1-line block ×5, first 2 shown]
.LBB15_9:                               ; =>This Inner Loop Header: Depth=1
	v_ashrrev_i32_e32 v13, 31, v12
	v_lshl_add_u64 v[16:17], v[12:13], 2, s[6:7]
	global_load_dword v1, v[16:17], off
	v_add_u32_e32 v10, -16, v8
	v_mov_b32_e32 v9, v11
	v_mov_b32_e32 v37, v11
	v_lshl_add_u64 v[16:17], v[10:11], 2, s[8:9]
	v_add_u32_e32 v10, -12, v8
	v_lshl_add_u64 v[28:29], v[8:9], 2, s[8:9]
	global_load_dwordx4 v[16:19], v[16:17], off
	v_lshl_add_u64 v[30:31], v[10:11], 2, s[8:9]
	global_load_dwordx4 v[20:23], v[28:29], off
	global_load_dwordx4 v[24:27], v[30:31], off
	v_add_u32_e32 v12, 4, v12
	v_cmp_ge_i32_e32 vcc, v12, v14
	s_or_b64 s[18:19], vcc, s[18:19]
	s_waitcnt vmcnt(3)
	v_subrev_u32_e32 v1, s16, v1
	v_lshl_add_u32 v36, v1, 2, v1
	v_lshl_add_u64 v[28:29], v[36:37], 2, s[10:11]
	v_add_u32_e32 v10, 1, v36
	global_load_dword v38, v[28:29], off
	v_lshl_add_u64 v[28:29], v[10:11], 2, s[10:11]
	v_add_u32_e32 v10, -8, v8
	global_load_dword v40, v[28:29], off
	v_lshl_add_u64 v[28:29], v[10:11], 2, s[8:9]
	v_add_u32_e32 v10, 2, v36
	v_lshl_add_u64 v[32:33], v[10:11], 2, s[10:11]
	v_add_u32_e32 v10, -4, v8
	global_load_dword v42, v[32:33], off
	v_lshl_add_u64 v[32:33], v[10:11], 2, s[8:9]
	v_add_u32_e32 v10, 3, v36
	global_load_dwordx4 v[28:31], v[28:29], off
	v_lshl_add_u64 v[44:45], v[10:11], 2, s[10:11]
	v_add_u32_e32 v10, 4, v36
	global_load_dwordx4 v[32:35], v[32:33], off
	v_add_u32_e32 v8, 0x50, v8
	global_load_dword v36, v[44:45], off
	v_lshl_add_u64 v[44:45], v[10:11], 2, s[10:11]
	global_load_dword v10, v[44:45], off
	s_waitcnt vmcnt(6)
	v_pk_fma_f32 v[6:7], v[16:17], v[38:39], v[6:7] op_sel_hi:[1,0,1]
	v_pk_fma_f32 v[4:5], v[18:19], v[38:39], v[4:5] op_sel_hi:[1,0,1]
	s_waitcnt vmcnt(5)
	v_pk_fma_f32 v[6:7], v[24:25], v[40:41], v[6:7] op_sel_hi:[1,0,1]
	v_pk_fma_f32 v[4:5], v[26:27], v[40:41], v[4:5] op_sel_hi:[1,0,1]
	;; [unrolled: 3-line block ×5, first 2 shown]
	s_andn2_b64 exec, exec, s[18:19]
	s_cbranch_execnz .LBB15_9
; %bb.10:
	s_or_b64 exec, exec, s[18:19]
.LBB15_11:
	s_or_b64 exec, exec, s[4:5]
	s_cbranch_execz .LBB15_13
	s_branch .LBB15_18
.LBB15_12:
                                        ; implicit-def: $vgpr5
                                        ; implicit-def: $vgpr7
.LBB15_13:
	v_mov_b32_e32 v5, 0
	v_mov_b32_e32 v4, v5
	;; [unrolled: 1-line block ×4, first 2 shown]
	s_and_saveexec_b64 s[4:5], s[2:3]
	s_cbranch_execz .LBB15_17
; %bb.14:
	v_mad_u64_u32 v[8:9], s[2:3], v0, 20, 19
	v_mov_b32_e32 v11, 0
	s_mov_b64 s[2:3], 0
	v_mov_b32_e32 v6, v11
	v_mov_b32_e32 v7, v11
	;; [unrolled: 1-line block ×4, first 2 shown]
.LBB15_15:                              ; =>This Inner Loop Header: Depth=1
	v_ashrrev_i32_e32 v1, 31, v0
	v_lshl_add_u64 v[12:13], v[0:1], 2, s[6:7]
	global_load_dword v1, v[12:13], off
	v_subrev_u32_e32 v10, 19, v8
	v_add_u32_e32 v16, -9, v8
	v_mov_b32_e32 v17, v11
	v_add_u32_e32 v12, -14, v8
	v_add_u32_e32 v18, -4, v8
	v_mov_b32_e32 v13, v11
	v_mov_b32_e32 v19, v11
	v_lshl_add_u64 v[22:23], v[10:11], 2, s[8:9]
	v_lshl_add_u64 v[16:17], v[16:17], 2, s[8:9]
	v_lshl_add_u64 v[12:13], v[12:13], 2, s[8:9]
	v_lshl_add_u64 v[18:19], v[18:19], 2, s[8:9]
	global_load_dwordx4 v[50:53], v[22:23], off
	global_load_dword v27, v[12:13], off
	global_load_dword v28, v[16:17], off
	;; [unrolled: 1-line block ×3, first 2 shown]
	v_mov_b32_e32 v21, v11
	v_mov_b32_e32 v9, v11
	v_lshl_add_u64 v[24:25], v[8:9], 2, s[8:9]
	v_add_u32_e32 v0, 4, v0
	v_cmp_ge_i32_e32 vcc, v0, v14
	s_or_b64 s[2:3], vcc, s[2:3]
	s_waitcnt vmcnt(4)
	v_subrev_u32_e32 v1, s16, v1
	v_lshl_add_u32 v20, v1, 2, v1
	v_add_u32_e32 v10, 1, v20
	v_lshl_add_u64 v[16:17], v[10:11], 2, s[10:11]
	v_add_u32_e32 v10, -13, v8
	v_lshl_add_u64 v[18:19], v[10:11], 2, s[8:9]
	v_add_u32_e32 v10, -8, v8
	;; [unrolled: 2-line block ×3, first 2 shown]
	v_lshl_add_u64 v[12:13], v[20:21], 2, s[10:11]
	v_lshl_add_u64 v[30:31], v[10:11], 2, s[8:9]
	v_add_u32_e32 v10, 2, v20
	global_load_dword v12, v[12:13], off
	s_waitcnt vmcnt(4)
	v_mov_b32_e32 v26, v50
	global_load_dword v16, v[16:17], off
	v_mov_b32_e32 v40, v53
	global_load_dword v19, v[18:19], off
	s_nop 0
	global_load_dword v32, v[22:23], off
	global_load_dword v33, v[30:31], off
	v_lshl_add_u64 v[22:23], v[10:11], 2, s[10:11]
	v_add_u32_e32 v10, -12, v8
	v_lshl_add_u64 v[30:31], v[10:11], 2, s[8:9]
	v_add_u32_e32 v10, -7, v8
	global_load_dword v21, v[30:31], off
	v_lshl_add_u64 v[30:31], v[10:11], 2, s[8:9]
	v_add_u32_e32 v10, -2, v8
	v_lshl_add_u64 v[34:35], v[10:11], 2, s[8:9]
	v_add_u32_e32 v10, 3, v20
	global_load_dword v22, v[22:23], off
	s_nop 0
	global_load_dword v36, v[30:31], off
	global_load_dword v37, v[34:35], off
	v_lshl_add_u64 v[30:31], v[10:11], 2, s[10:11]
	v_add_u32_e32 v10, -11, v8
	v_lshl_add_u64 v[34:35], v[10:11], 2, s[8:9]
	v_add_u32_e32 v10, -6, v8
	v_lshl_add_u64 v[38:39], v[10:11], 2, s[8:9]
	v_add_u32_e32 v10, -1, v8
	global_load_dword v30, v[30:31], off
	s_nop 0
	global_load_dword v41, v[34:35], off
	global_load_dword v42, v[38:39], off
	v_lshl_add_u64 v[34:35], v[10:11], 2, s[8:9]
	v_add_u32_e32 v10, -15, v8
	v_lshl_add_u64 v[38:39], v[10:11], 2, s[8:9]
	v_add_u32_e32 v10, 4, v20
	global_load_dword v43, v[34:35], off
	global_load_dword v44, v[38:39], off
	v_lshl_add_u64 v[34:35], v[10:11], 2, s[10:11]
	v_add_u32_e32 v10, -10, v8
	v_lshl_add_u64 v[38:39], v[10:11], 2, s[8:9]
	v_add_u32_e32 v10, -5, v8
	global_load_dword v34, v[34:35], off
	v_lshl_add_u64 v[46:47], v[10:11], 2, s[8:9]
	global_load_dword v45, v[38:39], off
	global_load_dword v48, v[46:47], off
	;; [unrolled: 1-line block ×3, first 2 shown]
	v_mov_b32_e32 v18, v51
	v_mov_b32_e32 v20, v52
	v_add_u32_e32 v8, 0x50, v8
	s_waitcnt vmcnt(17)
	v_pk_fma_f32 v[6:7], v[26:27], v[12:13], v[6:7] op_sel_hi:[1,0,1]
	v_pk_fma_f32 v[4:5], v[28:29], v[12:13], v[4:5] op_sel_hi:[1,0,1]
	s_waitcnt vmcnt(15)
	v_pk_fma_f32 v[6:7], v[18:19], v[16:17], v[6:7] op_sel_hi:[1,0,1]
	s_waitcnt vmcnt(13)
	;; [unrolled: 2-line block ×8, first 2 shown]
	v_pk_fma_f32 v[4:5], v[48:49], v[34:35], v[4:5] op_sel_hi:[1,0,1]
	s_andn2_b64 exec, exec, s[2:3]
	s_cbranch_execnz .LBB15_15
; %bb.16:
	s_or_b64 exec, exec, s[2:3]
.LBB15_17:
	s_or_b64 exec, exec, s[4:5]
.LBB15_18:
	v_mov_b32_dpp v0, v6 row_shr:1 row_mask:0xf bank_mask:0xf
	v_mov_b32_dpp v1, v7 row_shr:1 row_mask:0xf bank_mask:0xf
	;; [unrolled: 1-line block ×4, first 2 shown]
	v_pk_add_f32 v[0:1], v[6:7], v[0:1]
	v_pk_add_f32 v[8:9], v[4:5], v[8:9]
	v_cmp_eq_u32_e32 vcc, 3, v3
	v_mov_b32_dpp v6, v0 row_shr:2 row_mask:0xf bank_mask:0xf
	v_mov_b32_dpp v7, v1 row_shr:2 row_mask:0xf bank_mask:0xf
	;; [unrolled: 1-line block ×4, first 2 shown]
	s_and_b64 exec, exec, vcc
	s_cbranch_execz .LBB15_22
; %bb.19:
	s_load_dwordx2 s[0:1], s[0:1], 0x38
	v_cmp_eq_f32_e64 s[2:3], s12, 0
	v_pk_add_f32 v[4:5], v[0:1], v[6:7]
	v_pk_add_f32 v[0:1], v[8:9], v[10:11]
	s_and_b64 vcc, exec, s[2:3]
	v_lshlrev_b32_e32 v2, 2, v2
	s_cbranch_vccz .LBB15_23
; %bb.20:
	v_ashrrev_i32_e32 v3, 31, v2
	s_waitcnt lgkmcnt(0)
	v_lshl_add_u64 v[10:11], v[2:3], 2, s[0:1]
	v_pk_mul_f32 v[6:7], s[14:15], v[4:5] op_sel_hi:[0,1]
	v_pk_mul_f32 v[8:9], s[14:15], v[0:1] op_sel_hi:[0,1]
	global_store_dwordx4 v[10:11], v[6:9], off
	s_cbranch_execnz .LBB15_22
.LBB15_21:
	v_ashrrev_i32_e32 v3, 31, v2
	s_waitcnt lgkmcnt(0)
	v_lshl_add_u64 v[10:11], v[2:3], 2, s[0:1]
	global_load_dwordx4 v[6:9], v[10:11], off
	v_pk_mul_f32 v[2:3], s[14:15], v[4:5] op_sel_hi:[0,1]
	v_pk_mul_f32 v[4:5], s[14:15], v[0:1] op_sel_hi:[0,1]
	s_waitcnt vmcnt(0)
	v_pk_fma_f32 v[0:1], s[12:13], v[6:7], v[2:3] op_sel_hi:[0,1,1]
	v_pk_fma_f32 v[2:3], s[12:13], v[8:9], v[4:5] op_sel_hi:[0,1,1]
	global_store_dwordx4 v[10:11], v[0:3], off
.LBB15_22:
	s_endpgm
.LBB15_23:
	s_branch .LBB15_21
	.section	.rodata,"a",@progbits
	.p2align	6, 0x0
	.amdhsa_kernel _ZN9rocsparseL19gebsrmvn_4xn_kernelILj128ELj5ELj4EfEEvi20rocsparse_direction_NS_24const_host_device_scalarIT2_EEPKiS6_PKS3_S8_S4_PS3_21rocsparse_index_base_b
		.amdhsa_group_segment_fixed_size 0
		.amdhsa_private_segment_fixed_size 0
		.amdhsa_kernarg_size 72
		.amdhsa_user_sgpr_count 2
		.amdhsa_user_sgpr_dispatch_ptr 0
		.amdhsa_user_sgpr_queue_ptr 0
		.amdhsa_user_sgpr_kernarg_segment_ptr 1
		.amdhsa_user_sgpr_dispatch_id 0
		.amdhsa_user_sgpr_kernarg_preload_length 0
		.amdhsa_user_sgpr_kernarg_preload_offset 0
		.amdhsa_user_sgpr_private_segment_size 0
		.amdhsa_uses_dynamic_stack 0
		.amdhsa_enable_private_segment 0
		.amdhsa_system_sgpr_workgroup_id_x 1
		.amdhsa_system_sgpr_workgroup_id_y 0
		.amdhsa_system_sgpr_workgroup_id_z 0
		.amdhsa_system_sgpr_workgroup_info 0
		.amdhsa_system_vgpr_workitem_id 0
		.amdhsa_next_free_vgpr 54
		.amdhsa_next_free_sgpr 20
		.amdhsa_accum_offset 56
		.amdhsa_reserve_vcc 1
		.amdhsa_float_round_mode_32 0
		.amdhsa_float_round_mode_16_64 0
		.amdhsa_float_denorm_mode_32 3
		.amdhsa_float_denorm_mode_16_64 3
		.amdhsa_dx10_clamp 1
		.amdhsa_ieee_mode 1
		.amdhsa_fp16_overflow 0
		.amdhsa_tg_split 0
		.amdhsa_exception_fp_ieee_invalid_op 0
		.amdhsa_exception_fp_denorm_src 0
		.amdhsa_exception_fp_ieee_div_zero 0
		.amdhsa_exception_fp_ieee_overflow 0
		.amdhsa_exception_fp_ieee_underflow 0
		.amdhsa_exception_fp_ieee_inexact 0
		.amdhsa_exception_int_div_zero 0
	.end_amdhsa_kernel
	.section	.text._ZN9rocsparseL19gebsrmvn_4xn_kernelILj128ELj5ELj4EfEEvi20rocsparse_direction_NS_24const_host_device_scalarIT2_EEPKiS6_PKS3_S8_S4_PS3_21rocsparse_index_base_b,"axG",@progbits,_ZN9rocsparseL19gebsrmvn_4xn_kernelILj128ELj5ELj4EfEEvi20rocsparse_direction_NS_24const_host_device_scalarIT2_EEPKiS6_PKS3_S8_S4_PS3_21rocsparse_index_base_b,comdat
.Lfunc_end15:
	.size	_ZN9rocsparseL19gebsrmvn_4xn_kernelILj128ELj5ELj4EfEEvi20rocsparse_direction_NS_24const_host_device_scalarIT2_EEPKiS6_PKS3_S8_S4_PS3_21rocsparse_index_base_b, .Lfunc_end15-_ZN9rocsparseL19gebsrmvn_4xn_kernelILj128ELj5ELj4EfEEvi20rocsparse_direction_NS_24const_host_device_scalarIT2_EEPKiS6_PKS3_S8_S4_PS3_21rocsparse_index_base_b
                                        ; -- End function
	.set _ZN9rocsparseL19gebsrmvn_4xn_kernelILj128ELj5ELj4EfEEvi20rocsparse_direction_NS_24const_host_device_scalarIT2_EEPKiS6_PKS3_S8_S4_PS3_21rocsparse_index_base_b.num_vgpr, 54
	.set _ZN9rocsparseL19gebsrmvn_4xn_kernelILj128ELj5ELj4EfEEvi20rocsparse_direction_NS_24const_host_device_scalarIT2_EEPKiS6_PKS3_S8_S4_PS3_21rocsparse_index_base_b.num_agpr, 0
	.set _ZN9rocsparseL19gebsrmvn_4xn_kernelILj128ELj5ELj4EfEEvi20rocsparse_direction_NS_24const_host_device_scalarIT2_EEPKiS6_PKS3_S8_S4_PS3_21rocsparse_index_base_b.numbered_sgpr, 20
	.set _ZN9rocsparseL19gebsrmvn_4xn_kernelILj128ELj5ELj4EfEEvi20rocsparse_direction_NS_24const_host_device_scalarIT2_EEPKiS6_PKS3_S8_S4_PS3_21rocsparse_index_base_b.num_named_barrier, 0
	.set _ZN9rocsparseL19gebsrmvn_4xn_kernelILj128ELj5ELj4EfEEvi20rocsparse_direction_NS_24const_host_device_scalarIT2_EEPKiS6_PKS3_S8_S4_PS3_21rocsparse_index_base_b.private_seg_size, 0
	.set _ZN9rocsparseL19gebsrmvn_4xn_kernelILj128ELj5ELj4EfEEvi20rocsparse_direction_NS_24const_host_device_scalarIT2_EEPKiS6_PKS3_S8_S4_PS3_21rocsparse_index_base_b.uses_vcc, 1
	.set _ZN9rocsparseL19gebsrmvn_4xn_kernelILj128ELj5ELj4EfEEvi20rocsparse_direction_NS_24const_host_device_scalarIT2_EEPKiS6_PKS3_S8_S4_PS3_21rocsparse_index_base_b.uses_flat_scratch, 0
	.set _ZN9rocsparseL19gebsrmvn_4xn_kernelILj128ELj5ELj4EfEEvi20rocsparse_direction_NS_24const_host_device_scalarIT2_EEPKiS6_PKS3_S8_S4_PS3_21rocsparse_index_base_b.has_dyn_sized_stack, 0
	.set _ZN9rocsparseL19gebsrmvn_4xn_kernelILj128ELj5ELj4EfEEvi20rocsparse_direction_NS_24const_host_device_scalarIT2_EEPKiS6_PKS3_S8_S4_PS3_21rocsparse_index_base_b.has_recursion, 0
	.set _ZN9rocsparseL19gebsrmvn_4xn_kernelILj128ELj5ELj4EfEEvi20rocsparse_direction_NS_24const_host_device_scalarIT2_EEPKiS6_PKS3_S8_S4_PS3_21rocsparse_index_base_b.has_indirect_call, 0
	.section	.AMDGPU.csdata,"",@progbits
; Kernel info:
; codeLenInByte = 1632
; TotalNumSgprs: 26
; NumVgprs: 54
; NumAgprs: 0
; TotalNumVgprs: 54
; ScratchSize: 0
; MemoryBound: 0
; FloatMode: 240
; IeeeMode: 1
; LDSByteSize: 0 bytes/workgroup (compile time only)
; SGPRBlocks: 3
; VGPRBlocks: 6
; NumSGPRsForWavesPerEU: 26
; NumVGPRsForWavesPerEU: 54
; AccumOffset: 56
; Occupancy: 8
; WaveLimiterHint : 1
; COMPUTE_PGM_RSRC2:SCRATCH_EN: 0
; COMPUTE_PGM_RSRC2:USER_SGPR: 2
; COMPUTE_PGM_RSRC2:TRAP_HANDLER: 0
; COMPUTE_PGM_RSRC2:TGID_X_EN: 1
; COMPUTE_PGM_RSRC2:TGID_Y_EN: 0
; COMPUTE_PGM_RSRC2:TGID_Z_EN: 0
; COMPUTE_PGM_RSRC2:TIDIG_COMP_CNT: 0
; COMPUTE_PGM_RSRC3_GFX90A:ACCUM_OFFSET: 13
; COMPUTE_PGM_RSRC3_GFX90A:TG_SPLIT: 0
	.section	.text._ZN9rocsparseL19gebsrmvn_4xn_kernelILj128ELj5ELj8EfEEvi20rocsparse_direction_NS_24const_host_device_scalarIT2_EEPKiS6_PKS3_S8_S4_PS3_21rocsparse_index_base_b,"axG",@progbits,_ZN9rocsparseL19gebsrmvn_4xn_kernelILj128ELj5ELj8EfEEvi20rocsparse_direction_NS_24const_host_device_scalarIT2_EEPKiS6_PKS3_S8_S4_PS3_21rocsparse_index_base_b,comdat
	.globl	_ZN9rocsparseL19gebsrmvn_4xn_kernelILj128ELj5ELj8EfEEvi20rocsparse_direction_NS_24const_host_device_scalarIT2_EEPKiS6_PKS3_S8_S4_PS3_21rocsparse_index_base_b ; -- Begin function _ZN9rocsparseL19gebsrmvn_4xn_kernelILj128ELj5ELj8EfEEvi20rocsparse_direction_NS_24const_host_device_scalarIT2_EEPKiS6_PKS3_S8_S4_PS3_21rocsparse_index_base_b
	.p2align	8
	.type	_ZN9rocsparseL19gebsrmvn_4xn_kernelILj128ELj5ELj8EfEEvi20rocsparse_direction_NS_24const_host_device_scalarIT2_EEPKiS6_PKS3_S8_S4_PS3_21rocsparse_index_base_b,@function
_ZN9rocsparseL19gebsrmvn_4xn_kernelILj128ELj5ELj8EfEEvi20rocsparse_direction_NS_24const_host_device_scalarIT2_EEPKiS6_PKS3_S8_S4_PS3_21rocsparse_index_base_b: ; @_ZN9rocsparseL19gebsrmvn_4xn_kernelILj128ELj5ELj8EfEEvi20rocsparse_direction_NS_24const_host_device_scalarIT2_EEPKiS6_PKS3_S8_S4_PS3_21rocsparse_index_base_b
; %bb.0:
	s_load_dwordx2 s[16:17], s[0:1], 0x40
	s_load_dwordx2 s[14:15], s[0:1], 0x8
	;; [unrolled: 1-line block ×3, first 2 shown]
	s_waitcnt lgkmcnt(0)
	s_bitcmp1_b32 s17, 0
	s_cselect_b64 s[6:7], -1, 0
	s_xor_b64 s[4:5], s[6:7], -1
	s_and_b64 vcc, exec, s[6:7]
	s_cbranch_vccnz .LBB16_2
; %bb.1:
	s_load_dword s14, s[14:15], 0x0
.LBB16_2:
	s_andn2_b64 vcc, exec, s[4:5]
	s_cbranch_vccnz .LBB16_4
; %bb.3:
	s_load_dword s12, s[12:13], 0x0
.LBB16_4:
	s_waitcnt lgkmcnt(0)
	v_cmp_eq_f32_e64 s[4:5], s14, 0
	v_cmp_eq_f32_e64 s[6:7], s12, 1.0
	s_and_b64 s[4:5], s[4:5], s[6:7]
	s_and_b64 vcc, exec, s[4:5]
	s_cbranch_vccnz .LBB16_22
; %bb.5:
	s_load_dwordx2 s[18:19], s[0:1], 0x0
	v_lshrrev_b32_e32 v1, 3, v0
	v_lshl_or_b32 v2, s2, 4, v1
	s_waitcnt lgkmcnt(0)
	v_cmp_gt_i32_e32 vcc, s18, v2
	s_and_saveexec_b64 s[2:3], vcc
	s_cbranch_execz .LBB16_22
; %bb.6:
	s_load_dwordx8 s[4:11], s[0:1], 0x10
	v_ashrrev_i32_e32 v3, 31, v2
	s_cmp_lg_u32 s19, 0
	s_waitcnt lgkmcnt(0)
	v_lshl_add_u64 v[4:5], v[2:3], 2, s[4:5]
	global_load_dwordx2 v[4:5], v[4:5], off
	v_and_b32_e32 v3, 7, v0
	s_waitcnt vmcnt(0)
	v_subrev_u32_e32 v0, s16, v4
	v_subrev_u32_e32 v14, s16, v5
	v_add_u32_e32 v4, v0, v3
	v_cmp_lt_i32_e64 s[2:3], v4, v14
	s_cbranch_scc0 .LBB16_12
; %bb.7:
	v_mov_b32_e32 v1, 0
	v_mov_b32_e32 v0, v1
	;; [unrolled: 1-line block ×4, first 2 shown]
	s_and_saveexec_b64 s[4:5], s[2:3]
	s_cbranch_execz .LBB16_11
; %bb.8:
	v_mad_u64_u32 v[8:9], s[18:19], v4, 20, 16
	v_mov_b32_e32 v11, 0
	s_mov_b64 s[18:19], 0
	v_mov_b32_e32 v12, v4
	v_mov_b32_e32 v6, v11
	;; [unrolled: 1-line block ×5, first 2 shown]
.LBB16_9:                               ; =>This Inner Loop Header: Depth=1
	v_ashrrev_i32_e32 v13, 31, v12
	v_lshl_add_u64 v[16:17], v[12:13], 2, s[6:7]
	global_load_dword v5, v[16:17], off
	v_add_u32_e32 v10, -16, v8
	v_mov_b32_e32 v9, v11
	v_mov_b32_e32 v37, v11
	v_lshl_add_u64 v[16:17], v[10:11], 2, s[8:9]
	v_add_u32_e32 v10, -12, v8
	v_lshl_add_u64 v[28:29], v[8:9], 2, s[8:9]
	global_load_dwordx4 v[16:19], v[16:17], off
	v_lshl_add_u64 v[30:31], v[10:11], 2, s[8:9]
	global_load_dwordx4 v[20:23], v[28:29], off
	global_load_dwordx4 v[24:27], v[30:31], off
	v_add_u32_e32 v12, 8, v12
	v_cmp_ge_i32_e32 vcc, v12, v14
	s_or_b64 s[18:19], vcc, s[18:19]
	s_waitcnt vmcnt(3)
	v_subrev_u32_e32 v5, s16, v5
	v_lshl_add_u32 v36, v5, 2, v5
	v_lshl_add_u64 v[28:29], v[36:37], 2, s[10:11]
	v_add_u32_e32 v10, 1, v36
	global_load_dword v38, v[28:29], off
	v_lshl_add_u64 v[28:29], v[10:11], 2, s[10:11]
	v_add_u32_e32 v10, -8, v8
	global_load_dword v40, v[28:29], off
	v_lshl_add_u64 v[28:29], v[10:11], 2, s[8:9]
	v_add_u32_e32 v10, 2, v36
	v_lshl_add_u64 v[32:33], v[10:11], 2, s[10:11]
	v_add_u32_e32 v10, -4, v8
	global_load_dword v42, v[32:33], off
	v_lshl_add_u64 v[32:33], v[10:11], 2, s[8:9]
	v_add_u32_e32 v10, 3, v36
	global_load_dwordx4 v[28:31], v[28:29], off
	v_lshl_add_u64 v[44:45], v[10:11], 2, s[10:11]
	v_add_u32_e32 v10, 4, v36
	global_load_dwordx4 v[32:35], v[32:33], off
	v_add_u32_e32 v8, 0xa0, v8
	global_load_dword v36, v[44:45], off
	v_lshl_add_u64 v[44:45], v[10:11], 2, s[10:11]
	global_load_dword v10, v[44:45], off
	s_waitcnt vmcnt(6)
	v_pk_fma_f32 v[6:7], v[16:17], v[38:39], v[6:7] op_sel_hi:[1,0,1]
	v_pk_fma_f32 v[0:1], v[18:19], v[38:39], v[0:1] op_sel_hi:[1,0,1]
	s_waitcnt vmcnt(5)
	v_pk_fma_f32 v[6:7], v[24:25], v[40:41], v[6:7] op_sel_hi:[1,0,1]
	v_pk_fma_f32 v[0:1], v[26:27], v[40:41], v[0:1] op_sel_hi:[1,0,1]
	;; [unrolled: 3-line block ×5, first 2 shown]
	s_andn2_b64 exec, exec, s[18:19]
	s_cbranch_execnz .LBB16_9
; %bb.10:
	s_or_b64 exec, exec, s[18:19]
.LBB16_11:
	s_or_b64 exec, exec, s[4:5]
	s_cbranch_execz .LBB16_13
	s_branch .LBB16_18
.LBB16_12:
                                        ; implicit-def: $vgpr1
                                        ; implicit-def: $vgpr7
.LBB16_13:
	v_mov_b32_e32 v1, 0
	v_mov_b32_e32 v0, v1
	;; [unrolled: 1-line block ×4, first 2 shown]
	s_and_saveexec_b64 s[4:5], s[2:3]
	s_cbranch_execz .LBB16_17
; %bb.14:
	v_mad_u64_u32 v[8:9], s[2:3], v4, 20, 19
	v_mov_b32_e32 v11, 0
	s_mov_b64 s[2:3], 0
	v_mov_b32_e32 v6, v11
	v_mov_b32_e32 v1, 0
	;; [unrolled: 1-line block ×4, first 2 shown]
.LBB16_15:                              ; =>This Inner Loop Header: Depth=1
	v_ashrrev_i32_e32 v5, 31, v4
	v_lshl_add_u64 v[12:13], v[4:5], 2, s[6:7]
	global_load_dword v5, v[12:13], off
	v_subrev_u32_e32 v10, 19, v8
	v_add_u32_e32 v16, -9, v8
	v_mov_b32_e32 v17, v11
	v_add_u32_e32 v12, -14, v8
	v_add_u32_e32 v18, -4, v8
	v_mov_b32_e32 v13, v11
	v_mov_b32_e32 v19, v11
	v_lshl_add_u64 v[22:23], v[10:11], 2, s[8:9]
	v_lshl_add_u64 v[16:17], v[16:17], 2, s[8:9]
	;; [unrolled: 1-line block ×4, first 2 shown]
	global_load_dwordx4 v[50:53], v[22:23], off
	global_load_dword v27, v[12:13], off
	global_load_dword v28, v[16:17], off
	;; [unrolled: 1-line block ×3, first 2 shown]
	v_mov_b32_e32 v21, v11
	v_mov_b32_e32 v9, v11
	v_lshl_add_u64 v[24:25], v[8:9], 2, s[8:9]
	v_add_u32_e32 v4, 8, v4
	v_cmp_ge_i32_e32 vcc, v4, v14
	s_or_b64 s[2:3], vcc, s[2:3]
	s_waitcnt vmcnt(4)
	v_subrev_u32_e32 v5, s16, v5
	v_lshl_add_u32 v20, v5, 2, v5
	v_add_u32_e32 v10, 1, v20
	v_lshl_add_u64 v[16:17], v[10:11], 2, s[10:11]
	v_add_u32_e32 v10, -13, v8
	v_lshl_add_u64 v[18:19], v[10:11], 2, s[8:9]
	v_add_u32_e32 v10, -8, v8
	;; [unrolled: 2-line block ×3, first 2 shown]
	v_lshl_add_u64 v[12:13], v[20:21], 2, s[10:11]
	v_lshl_add_u64 v[30:31], v[10:11], 2, s[8:9]
	v_add_u32_e32 v10, 2, v20
	global_load_dword v12, v[12:13], off
	s_waitcnt vmcnt(4)
	v_mov_b32_e32 v26, v50
	global_load_dword v16, v[16:17], off
	v_mov_b32_e32 v40, v53
	global_load_dword v19, v[18:19], off
	s_nop 0
	global_load_dword v32, v[22:23], off
	global_load_dword v33, v[30:31], off
	v_lshl_add_u64 v[22:23], v[10:11], 2, s[10:11]
	v_add_u32_e32 v10, -12, v8
	v_lshl_add_u64 v[30:31], v[10:11], 2, s[8:9]
	v_add_u32_e32 v10, -7, v8
	global_load_dword v21, v[30:31], off
	v_lshl_add_u64 v[30:31], v[10:11], 2, s[8:9]
	v_add_u32_e32 v10, -2, v8
	v_lshl_add_u64 v[34:35], v[10:11], 2, s[8:9]
	v_add_u32_e32 v10, 3, v20
	global_load_dword v22, v[22:23], off
	s_nop 0
	global_load_dword v36, v[30:31], off
	global_load_dword v37, v[34:35], off
	v_lshl_add_u64 v[30:31], v[10:11], 2, s[10:11]
	v_add_u32_e32 v10, -11, v8
	v_lshl_add_u64 v[34:35], v[10:11], 2, s[8:9]
	v_add_u32_e32 v10, -6, v8
	v_lshl_add_u64 v[38:39], v[10:11], 2, s[8:9]
	v_add_u32_e32 v10, -1, v8
	global_load_dword v30, v[30:31], off
	s_nop 0
	global_load_dword v41, v[34:35], off
	global_load_dword v42, v[38:39], off
	v_lshl_add_u64 v[34:35], v[10:11], 2, s[8:9]
	v_add_u32_e32 v10, -15, v8
	v_lshl_add_u64 v[38:39], v[10:11], 2, s[8:9]
	v_add_u32_e32 v10, 4, v20
	global_load_dword v43, v[34:35], off
	global_load_dword v44, v[38:39], off
	v_lshl_add_u64 v[34:35], v[10:11], 2, s[10:11]
	v_add_u32_e32 v10, -10, v8
	v_lshl_add_u64 v[38:39], v[10:11], 2, s[8:9]
	v_add_u32_e32 v10, -5, v8
	global_load_dword v34, v[34:35], off
	v_lshl_add_u64 v[46:47], v[10:11], 2, s[8:9]
	global_load_dword v45, v[38:39], off
	global_load_dword v48, v[46:47], off
	global_load_dword v49, v[24:25], off
	v_mov_b32_e32 v18, v51
	v_mov_b32_e32 v20, v52
	v_add_u32_e32 v8, 0xa0, v8
	s_waitcnt vmcnt(17)
	v_pk_fma_f32 v[6:7], v[26:27], v[12:13], v[6:7] op_sel_hi:[1,0,1]
	v_pk_fma_f32 v[0:1], v[28:29], v[12:13], v[0:1] op_sel_hi:[1,0,1]
	s_waitcnt vmcnt(15)
	v_pk_fma_f32 v[6:7], v[18:19], v[16:17], v[6:7] op_sel_hi:[1,0,1]
	s_waitcnt vmcnt(13)
	;; [unrolled: 2-line block ×8, first 2 shown]
	v_pk_fma_f32 v[0:1], v[48:49], v[34:35], v[0:1] op_sel_hi:[1,0,1]
	s_andn2_b64 exec, exec, s[2:3]
	s_cbranch_execnz .LBB16_15
; %bb.16:
	s_or_b64 exec, exec, s[2:3]
.LBB16_17:
	s_or_b64 exec, exec, s[4:5]
.LBB16_18:
	v_mov_b32_dpp v4, v6 row_shr:1 row_mask:0xf bank_mask:0xf
	v_mov_b32_dpp v5, v7 row_shr:1 row_mask:0xf bank_mask:0xf
	;; [unrolled: 1-line block ×4, first 2 shown]
	v_pk_add_f32 v[4:5], v[6:7], v[4:5]
	v_pk_add_f32 v[0:1], v[0:1], v[8:9]
	v_cmp_eq_u32_e32 vcc, 7, v3
	v_mov_b32_dpp v6, v4 row_shr:2 row_mask:0xf bank_mask:0xf
	v_mov_b32_dpp v7, v5 row_shr:2 row_mask:0xf bank_mask:0xf
	;; [unrolled: 1-line block ×4, first 2 shown]
	v_pk_add_f32 v[4:5], v[4:5], v[6:7]
	v_pk_add_f32 v[0:1], v[0:1], v[8:9]
	s_nop 0
	v_mov_b32_dpp v6, v4 row_shr:4 row_mask:0xf bank_mask:0xe
	v_mov_b32_dpp v7, v5 row_shr:4 row_mask:0xf bank_mask:0xe
	;; [unrolled: 1-line block ×4, first 2 shown]
	s_and_b64 exec, exec, vcc
	s_cbranch_execz .LBB16_22
; %bb.19:
	s_load_dwordx2 s[0:1], s[0:1], 0x38
	v_cmp_eq_f32_e64 s[2:3], s12, 0
	v_pk_add_f32 v[4:5], v[4:5], v[6:7]
	v_pk_add_f32 v[0:1], v[0:1], v[8:9]
	s_and_b64 vcc, exec, s[2:3]
	v_lshlrev_b32_e32 v2, 2, v2
	s_cbranch_vccz .LBB16_23
; %bb.20:
	v_ashrrev_i32_e32 v3, 31, v2
	s_waitcnt lgkmcnt(0)
	v_lshl_add_u64 v[10:11], v[2:3], 2, s[0:1]
	v_pk_mul_f32 v[6:7], s[14:15], v[4:5] op_sel_hi:[0,1]
	v_pk_mul_f32 v[8:9], s[14:15], v[0:1] op_sel_hi:[0,1]
	global_store_dwordx4 v[10:11], v[6:9], off
	s_cbranch_execnz .LBB16_22
.LBB16_21:
	v_ashrrev_i32_e32 v3, 31, v2
	s_waitcnt lgkmcnt(0)
	v_lshl_add_u64 v[10:11], v[2:3], 2, s[0:1]
	global_load_dwordx4 v[6:9], v[10:11], off
	v_pk_mul_f32 v[2:3], s[14:15], v[4:5] op_sel_hi:[0,1]
	v_pk_mul_f32 v[4:5], s[14:15], v[0:1] op_sel_hi:[0,1]
	s_waitcnt vmcnt(0)
	v_pk_fma_f32 v[0:1], s[12:13], v[6:7], v[2:3] op_sel_hi:[0,1,1]
	v_pk_fma_f32 v[2:3], s[12:13], v[8:9], v[4:5] op_sel_hi:[0,1,1]
	global_store_dwordx4 v[10:11], v[0:3], off
.LBB16_22:
	s_endpgm
.LBB16_23:
	s_branch .LBB16_21
	.section	.rodata,"a",@progbits
	.p2align	6, 0x0
	.amdhsa_kernel _ZN9rocsparseL19gebsrmvn_4xn_kernelILj128ELj5ELj8EfEEvi20rocsparse_direction_NS_24const_host_device_scalarIT2_EEPKiS6_PKS3_S8_S4_PS3_21rocsparse_index_base_b
		.amdhsa_group_segment_fixed_size 0
		.amdhsa_private_segment_fixed_size 0
		.amdhsa_kernarg_size 72
		.amdhsa_user_sgpr_count 2
		.amdhsa_user_sgpr_dispatch_ptr 0
		.amdhsa_user_sgpr_queue_ptr 0
		.amdhsa_user_sgpr_kernarg_segment_ptr 1
		.amdhsa_user_sgpr_dispatch_id 0
		.amdhsa_user_sgpr_kernarg_preload_length 0
		.amdhsa_user_sgpr_kernarg_preload_offset 0
		.amdhsa_user_sgpr_private_segment_size 0
		.amdhsa_uses_dynamic_stack 0
		.amdhsa_enable_private_segment 0
		.amdhsa_system_sgpr_workgroup_id_x 1
		.amdhsa_system_sgpr_workgroup_id_y 0
		.amdhsa_system_sgpr_workgroup_id_z 0
		.amdhsa_system_sgpr_workgroup_info 0
		.amdhsa_system_vgpr_workitem_id 0
		.amdhsa_next_free_vgpr 54
		.amdhsa_next_free_sgpr 20
		.amdhsa_accum_offset 56
		.amdhsa_reserve_vcc 1
		.amdhsa_float_round_mode_32 0
		.amdhsa_float_round_mode_16_64 0
		.amdhsa_float_denorm_mode_32 3
		.amdhsa_float_denorm_mode_16_64 3
		.amdhsa_dx10_clamp 1
		.amdhsa_ieee_mode 1
		.amdhsa_fp16_overflow 0
		.amdhsa_tg_split 0
		.amdhsa_exception_fp_ieee_invalid_op 0
		.amdhsa_exception_fp_denorm_src 0
		.amdhsa_exception_fp_ieee_div_zero 0
		.amdhsa_exception_fp_ieee_overflow 0
		.amdhsa_exception_fp_ieee_underflow 0
		.amdhsa_exception_fp_ieee_inexact 0
		.amdhsa_exception_int_div_zero 0
	.end_amdhsa_kernel
	.section	.text._ZN9rocsparseL19gebsrmvn_4xn_kernelILj128ELj5ELj8EfEEvi20rocsparse_direction_NS_24const_host_device_scalarIT2_EEPKiS6_PKS3_S8_S4_PS3_21rocsparse_index_base_b,"axG",@progbits,_ZN9rocsparseL19gebsrmvn_4xn_kernelILj128ELj5ELj8EfEEvi20rocsparse_direction_NS_24const_host_device_scalarIT2_EEPKiS6_PKS3_S8_S4_PS3_21rocsparse_index_base_b,comdat
.Lfunc_end16:
	.size	_ZN9rocsparseL19gebsrmvn_4xn_kernelILj128ELj5ELj8EfEEvi20rocsparse_direction_NS_24const_host_device_scalarIT2_EEPKiS6_PKS3_S8_S4_PS3_21rocsparse_index_base_b, .Lfunc_end16-_ZN9rocsparseL19gebsrmvn_4xn_kernelILj128ELj5ELj8EfEEvi20rocsparse_direction_NS_24const_host_device_scalarIT2_EEPKiS6_PKS3_S8_S4_PS3_21rocsparse_index_base_b
                                        ; -- End function
	.set _ZN9rocsparseL19gebsrmvn_4xn_kernelILj128ELj5ELj8EfEEvi20rocsparse_direction_NS_24const_host_device_scalarIT2_EEPKiS6_PKS3_S8_S4_PS3_21rocsparse_index_base_b.num_vgpr, 54
	.set _ZN9rocsparseL19gebsrmvn_4xn_kernelILj128ELj5ELj8EfEEvi20rocsparse_direction_NS_24const_host_device_scalarIT2_EEPKiS6_PKS3_S8_S4_PS3_21rocsparse_index_base_b.num_agpr, 0
	.set _ZN9rocsparseL19gebsrmvn_4xn_kernelILj128ELj5ELj8EfEEvi20rocsparse_direction_NS_24const_host_device_scalarIT2_EEPKiS6_PKS3_S8_S4_PS3_21rocsparse_index_base_b.numbered_sgpr, 20
	.set _ZN9rocsparseL19gebsrmvn_4xn_kernelILj128ELj5ELj8EfEEvi20rocsparse_direction_NS_24const_host_device_scalarIT2_EEPKiS6_PKS3_S8_S4_PS3_21rocsparse_index_base_b.num_named_barrier, 0
	.set _ZN9rocsparseL19gebsrmvn_4xn_kernelILj128ELj5ELj8EfEEvi20rocsparse_direction_NS_24const_host_device_scalarIT2_EEPKiS6_PKS3_S8_S4_PS3_21rocsparse_index_base_b.private_seg_size, 0
	.set _ZN9rocsparseL19gebsrmvn_4xn_kernelILj128ELj5ELj8EfEEvi20rocsparse_direction_NS_24const_host_device_scalarIT2_EEPKiS6_PKS3_S8_S4_PS3_21rocsparse_index_base_b.uses_vcc, 1
	.set _ZN9rocsparseL19gebsrmvn_4xn_kernelILj128ELj5ELj8EfEEvi20rocsparse_direction_NS_24const_host_device_scalarIT2_EEPKiS6_PKS3_S8_S4_PS3_21rocsparse_index_base_b.uses_flat_scratch, 0
	.set _ZN9rocsparseL19gebsrmvn_4xn_kernelILj128ELj5ELj8EfEEvi20rocsparse_direction_NS_24const_host_device_scalarIT2_EEPKiS6_PKS3_S8_S4_PS3_21rocsparse_index_base_b.has_dyn_sized_stack, 0
	.set _ZN9rocsparseL19gebsrmvn_4xn_kernelILj128ELj5ELj8EfEEvi20rocsparse_direction_NS_24const_host_device_scalarIT2_EEPKiS6_PKS3_S8_S4_PS3_21rocsparse_index_base_b.has_recursion, 0
	.set _ZN9rocsparseL19gebsrmvn_4xn_kernelILj128ELj5ELj8EfEEvi20rocsparse_direction_NS_24const_host_device_scalarIT2_EEPKiS6_PKS3_S8_S4_PS3_21rocsparse_index_base_b.has_indirect_call, 0
	.section	.AMDGPU.csdata,"",@progbits
; Kernel info:
; codeLenInByte = 1684
; TotalNumSgprs: 26
; NumVgprs: 54
; NumAgprs: 0
; TotalNumVgprs: 54
; ScratchSize: 0
; MemoryBound: 0
; FloatMode: 240
; IeeeMode: 1
; LDSByteSize: 0 bytes/workgroup (compile time only)
; SGPRBlocks: 3
; VGPRBlocks: 6
; NumSGPRsForWavesPerEU: 26
; NumVGPRsForWavesPerEU: 54
; AccumOffset: 56
; Occupancy: 8
; WaveLimiterHint : 1
; COMPUTE_PGM_RSRC2:SCRATCH_EN: 0
; COMPUTE_PGM_RSRC2:USER_SGPR: 2
; COMPUTE_PGM_RSRC2:TRAP_HANDLER: 0
; COMPUTE_PGM_RSRC2:TGID_X_EN: 1
; COMPUTE_PGM_RSRC2:TGID_Y_EN: 0
; COMPUTE_PGM_RSRC2:TGID_Z_EN: 0
; COMPUTE_PGM_RSRC2:TIDIG_COMP_CNT: 0
; COMPUTE_PGM_RSRC3_GFX90A:ACCUM_OFFSET: 13
; COMPUTE_PGM_RSRC3_GFX90A:TG_SPLIT: 0
	.section	.text._ZN9rocsparseL19gebsrmvn_4xn_kernelILj128ELj5ELj16EfEEvi20rocsparse_direction_NS_24const_host_device_scalarIT2_EEPKiS6_PKS3_S8_S4_PS3_21rocsparse_index_base_b,"axG",@progbits,_ZN9rocsparseL19gebsrmvn_4xn_kernelILj128ELj5ELj16EfEEvi20rocsparse_direction_NS_24const_host_device_scalarIT2_EEPKiS6_PKS3_S8_S4_PS3_21rocsparse_index_base_b,comdat
	.globl	_ZN9rocsparseL19gebsrmvn_4xn_kernelILj128ELj5ELj16EfEEvi20rocsparse_direction_NS_24const_host_device_scalarIT2_EEPKiS6_PKS3_S8_S4_PS3_21rocsparse_index_base_b ; -- Begin function _ZN9rocsparseL19gebsrmvn_4xn_kernelILj128ELj5ELj16EfEEvi20rocsparse_direction_NS_24const_host_device_scalarIT2_EEPKiS6_PKS3_S8_S4_PS3_21rocsparse_index_base_b
	.p2align	8
	.type	_ZN9rocsparseL19gebsrmvn_4xn_kernelILj128ELj5ELj16EfEEvi20rocsparse_direction_NS_24const_host_device_scalarIT2_EEPKiS6_PKS3_S8_S4_PS3_21rocsparse_index_base_b,@function
_ZN9rocsparseL19gebsrmvn_4xn_kernelILj128ELj5ELj16EfEEvi20rocsparse_direction_NS_24const_host_device_scalarIT2_EEPKiS6_PKS3_S8_S4_PS3_21rocsparse_index_base_b: ; @_ZN9rocsparseL19gebsrmvn_4xn_kernelILj128ELj5ELj16EfEEvi20rocsparse_direction_NS_24const_host_device_scalarIT2_EEPKiS6_PKS3_S8_S4_PS3_21rocsparse_index_base_b
; %bb.0:
	s_load_dwordx2 s[16:17], s[0:1], 0x40
	s_load_dwordx2 s[14:15], s[0:1], 0x8
	;; [unrolled: 1-line block ×3, first 2 shown]
	s_waitcnt lgkmcnt(0)
	s_bitcmp1_b32 s17, 0
	s_cselect_b64 s[6:7], -1, 0
	s_xor_b64 s[4:5], s[6:7], -1
	s_and_b64 vcc, exec, s[6:7]
	s_cbranch_vccnz .LBB17_2
; %bb.1:
	s_load_dword s14, s[14:15], 0x0
.LBB17_2:
	s_andn2_b64 vcc, exec, s[4:5]
	s_cbranch_vccnz .LBB17_4
; %bb.3:
	s_load_dword s12, s[12:13], 0x0
.LBB17_4:
	s_waitcnt lgkmcnt(0)
	v_cmp_eq_f32_e64 s[4:5], s14, 0
	v_cmp_eq_f32_e64 s[6:7], s12, 1.0
	s_and_b64 s[4:5], s[4:5], s[6:7]
	s_and_b64 vcc, exec, s[4:5]
	s_cbranch_vccnz .LBB17_22
; %bb.5:
	s_load_dwordx2 s[18:19], s[0:1], 0x0
	v_lshrrev_b32_e32 v1, 4, v0
	v_lshl_or_b32 v2, s2, 3, v1
	s_waitcnt lgkmcnt(0)
	v_cmp_gt_i32_e32 vcc, s18, v2
	s_and_saveexec_b64 s[2:3], vcc
	s_cbranch_execz .LBB17_22
; %bb.6:
	s_load_dwordx8 s[4:11], s[0:1], 0x10
	v_ashrrev_i32_e32 v3, 31, v2
	s_cmp_lg_u32 s19, 0
	s_waitcnt lgkmcnt(0)
	v_lshl_add_u64 v[4:5], v[2:3], 2, s[4:5]
	global_load_dwordx2 v[4:5], v[4:5], off
	v_and_b32_e32 v3, 15, v0
	s_waitcnt vmcnt(0)
	v_subrev_u32_e32 v0, s16, v4
	v_subrev_u32_e32 v14, s16, v5
	v_add_u32_e32 v4, v0, v3
	v_cmp_lt_i32_e64 s[2:3], v4, v14
	s_cbranch_scc0 .LBB17_12
; %bb.7:
	v_mov_b32_e32 v1, 0
	v_mov_b32_e32 v0, v1
	;; [unrolled: 1-line block ×4, first 2 shown]
	s_and_saveexec_b64 s[4:5], s[2:3]
	s_cbranch_execz .LBB17_11
; %bb.8:
	v_mad_u64_u32 v[8:9], s[18:19], v4, 20, 16
	v_mov_b32_e32 v11, 0
	s_mov_b64 s[18:19], 0
	v_mov_b32_e32 v12, v4
	v_mov_b32_e32 v0, v11
	;; [unrolled: 1-line block ×5, first 2 shown]
.LBB17_9:                               ; =>This Inner Loop Header: Depth=1
	v_ashrrev_i32_e32 v13, 31, v12
	v_lshl_add_u64 v[16:17], v[12:13], 2, s[6:7]
	global_load_dword v5, v[16:17], off
	v_add_u32_e32 v10, -16, v8
	v_mov_b32_e32 v9, v11
	v_mov_b32_e32 v37, v11
	v_lshl_add_u64 v[16:17], v[10:11], 2, s[8:9]
	v_add_u32_e32 v10, -12, v8
	v_lshl_add_u64 v[28:29], v[8:9], 2, s[8:9]
	global_load_dwordx4 v[16:19], v[16:17], off
	v_lshl_add_u64 v[30:31], v[10:11], 2, s[8:9]
	global_load_dwordx4 v[20:23], v[28:29], off
	global_load_dwordx4 v[24:27], v[30:31], off
	v_add_u32_e32 v12, 16, v12
	v_cmp_ge_i32_e32 vcc, v12, v14
	s_or_b64 s[18:19], vcc, s[18:19]
	s_waitcnt vmcnt(3)
	v_subrev_u32_e32 v5, s16, v5
	v_lshl_add_u32 v36, v5, 2, v5
	v_lshl_add_u64 v[28:29], v[36:37], 2, s[10:11]
	v_add_u32_e32 v10, 1, v36
	global_load_dword v38, v[28:29], off
	v_lshl_add_u64 v[28:29], v[10:11], 2, s[10:11]
	v_add_u32_e32 v10, -8, v8
	global_load_dword v40, v[28:29], off
	v_lshl_add_u64 v[28:29], v[10:11], 2, s[8:9]
	v_add_u32_e32 v10, 2, v36
	v_lshl_add_u64 v[32:33], v[10:11], 2, s[10:11]
	v_add_u32_e32 v10, -4, v8
	global_load_dword v42, v[32:33], off
	v_lshl_add_u64 v[32:33], v[10:11], 2, s[8:9]
	v_add_u32_e32 v10, 3, v36
	global_load_dwordx4 v[28:31], v[28:29], off
	v_lshl_add_u64 v[44:45], v[10:11], 2, s[10:11]
	v_add_u32_e32 v10, 4, v36
	global_load_dwordx4 v[32:35], v[32:33], off
	v_add_u32_e32 v8, 0x140, v8
	global_load_dword v36, v[44:45], off
	v_lshl_add_u64 v[44:45], v[10:11], 2, s[10:11]
	global_load_dword v10, v[44:45], off
	s_waitcnt vmcnt(6)
	v_pk_fma_f32 v[6:7], v[16:17], v[38:39], v[6:7] op_sel_hi:[1,0,1]
	v_pk_fma_f32 v[0:1], v[18:19], v[38:39], v[0:1] op_sel_hi:[1,0,1]
	s_waitcnt vmcnt(5)
	v_pk_fma_f32 v[6:7], v[24:25], v[40:41], v[6:7] op_sel_hi:[1,0,1]
	v_pk_fma_f32 v[0:1], v[26:27], v[40:41], v[0:1] op_sel_hi:[1,0,1]
	;; [unrolled: 3-line block ×5, first 2 shown]
	s_andn2_b64 exec, exec, s[18:19]
	s_cbranch_execnz .LBB17_9
; %bb.10:
	s_or_b64 exec, exec, s[18:19]
.LBB17_11:
	s_or_b64 exec, exec, s[4:5]
	s_cbranch_execz .LBB17_13
	s_branch .LBB17_18
.LBB17_12:
                                        ; implicit-def: $vgpr1
                                        ; implicit-def: $vgpr7
.LBB17_13:
	v_mov_b32_e32 v1, 0
	v_mov_b32_e32 v0, v1
	;; [unrolled: 1-line block ×4, first 2 shown]
	s_and_saveexec_b64 s[4:5], s[2:3]
	s_cbranch_execz .LBB17_17
; %bb.14:
	v_mad_u64_u32 v[8:9], s[2:3], v4, 20, 19
	v_mov_b32_e32 v11, 0
	s_mov_b64 s[2:3], 0
	v_mov_b32_e32 v0, v11
	v_mov_b32_e32 v1, v11
	v_mov_b32_e32 v6, v11
	v_mov_b32_e32 v7, v11
.LBB17_15:                              ; =>This Inner Loop Header: Depth=1
	v_ashrrev_i32_e32 v5, 31, v4
	v_lshl_add_u64 v[12:13], v[4:5], 2, s[6:7]
	global_load_dword v5, v[12:13], off
	v_subrev_u32_e32 v10, 19, v8
	v_add_u32_e32 v16, -9, v8
	v_mov_b32_e32 v17, v11
	v_add_u32_e32 v12, -14, v8
	v_add_u32_e32 v18, -4, v8
	v_mov_b32_e32 v13, v11
	v_mov_b32_e32 v19, v11
	v_lshl_add_u64 v[22:23], v[10:11], 2, s[8:9]
	v_lshl_add_u64 v[16:17], v[16:17], 2, s[8:9]
	;; [unrolled: 1-line block ×4, first 2 shown]
	global_load_dwordx4 v[50:53], v[22:23], off
	global_load_dword v27, v[12:13], off
	global_load_dword v28, v[16:17], off
	global_load_dword v29, v[18:19], off
	v_mov_b32_e32 v21, v11
	v_mov_b32_e32 v9, v11
	v_lshl_add_u64 v[24:25], v[8:9], 2, s[8:9]
	v_add_u32_e32 v4, 16, v4
	v_cmp_ge_i32_e32 vcc, v4, v14
	s_or_b64 s[2:3], vcc, s[2:3]
	s_waitcnt vmcnt(4)
	v_subrev_u32_e32 v5, s16, v5
	v_lshl_add_u32 v20, v5, 2, v5
	v_add_u32_e32 v10, 1, v20
	v_lshl_add_u64 v[16:17], v[10:11], 2, s[10:11]
	v_add_u32_e32 v10, -13, v8
	v_lshl_add_u64 v[18:19], v[10:11], 2, s[8:9]
	v_add_u32_e32 v10, -8, v8
	;; [unrolled: 2-line block ×3, first 2 shown]
	v_lshl_add_u64 v[12:13], v[20:21], 2, s[10:11]
	v_lshl_add_u64 v[30:31], v[10:11], 2, s[8:9]
	v_add_u32_e32 v10, 2, v20
	global_load_dword v12, v[12:13], off
	s_waitcnt vmcnt(4)
	v_mov_b32_e32 v26, v50
	global_load_dword v16, v[16:17], off
	v_mov_b32_e32 v40, v53
	global_load_dword v19, v[18:19], off
	s_nop 0
	global_load_dword v32, v[22:23], off
	global_load_dword v33, v[30:31], off
	v_lshl_add_u64 v[22:23], v[10:11], 2, s[10:11]
	v_add_u32_e32 v10, -12, v8
	v_lshl_add_u64 v[30:31], v[10:11], 2, s[8:9]
	v_add_u32_e32 v10, -7, v8
	global_load_dword v21, v[30:31], off
	v_lshl_add_u64 v[30:31], v[10:11], 2, s[8:9]
	v_add_u32_e32 v10, -2, v8
	v_lshl_add_u64 v[34:35], v[10:11], 2, s[8:9]
	v_add_u32_e32 v10, 3, v20
	global_load_dword v22, v[22:23], off
	s_nop 0
	global_load_dword v36, v[30:31], off
	global_load_dword v37, v[34:35], off
	v_lshl_add_u64 v[30:31], v[10:11], 2, s[10:11]
	v_add_u32_e32 v10, -11, v8
	v_lshl_add_u64 v[34:35], v[10:11], 2, s[8:9]
	v_add_u32_e32 v10, -6, v8
	;; [unrolled: 2-line block ×3, first 2 shown]
	global_load_dword v30, v[30:31], off
	s_nop 0
	global_load_dword v41, v[34:35], off
	global_load_dword v42, v[38:39], off
	v_lshl_add_u64 v[34:35], v[10:11], 2, s[8:9]
	v_add_u32_e32 v10, -15, v8
	v_lshl_add_u64 v[38:39], v[10:11], 2, s[8:9]
	v_add_u32_e32 v10, 4, v20
	global_load_dword v43, v[34:35], off
	global_load_dword v44, v[38:39], off
	v_lshl_add_u64 v[34:35], v[10:11], 2, s[10:11]
	v_add_u32_e32 v10, -10, v8
	v_lshl_add_u64 v[38:39], v[10:11], 2, s[8:9]
	v_add_u32_e32 v10, -5, v8
	global_load_dword v34, v[34:35], off
	v_lshl_add_u64 v[46:47], v[10:11], 2, s[8:9]
	global_load_dword v45, v[38:39], off
	global_load_dword v48, v[46:47], off
	;; [unrolled: 1-line block ×3, first 2 shown]
	v_mov_b32_e32 v18, v51
	v_mov_b32_e32 v20, v52
	v_add_u32_e32 v8, 0x140, v8
	s_waitcnt vmcnt(17)
	v_pk_fma_f32 v[6:7], v[26:27], v[12:13], v[6:7] op_sel_hi:[1,0,1]
	v_pk_fma_f32 v[0:1], v[28:29], v[12:13], v[0:1] op_sel_hi:[1,0,1]
	s_waitcnt vmcnt(15)
	v_pk_fma_f32 v[6:7], v[18:19], v[16:17], v[6:7] op_sel_hi:[1,0,1]
	s_waitcnt vmcnt(13)
	;; [unrolled: 2-line block ×8, first 2 shown]
	v_pk_fma_f32 v[0:1], v[48:49], v[34:35], v[0:1] op_sel_hi:[1,0,1]
	s_andn2_b64 exec, exec, s[2:3]
	s_cbranch_execnz .LBB17_15
; %bb.16:
	s_or_b64 exec, exec, s[2:3]
.LBB17_17:
	s_or_b64 exec, exec, s[4:5]
.LBB17_18:
	v_mov_b32_dpp v4, v6 row_shr:1 row_mask:0xf bank_mask:0xf
	v_mov_b32_dpp v5, v7 row_shr:1 row_mask:0xf bank_mask:0xf
	;; [unrolled: 1-line block ×4, first 2 shown]
	v_pk_add_f32 v[4:5], v[6:7], v[4:5]
	v_pk_add_f32 v[0:1], v[0:1], v[8:9]
	v_cmp_eq_u32_e32 vcc, 15, v3
	v_mov_b32_dpp v6, v4 row_shr:2 row_mask:0xf bank_mask:0xf
	v_mov_b32_dpp v7, v5 row_shr:2 row_mask:0xf bank_mask:0xf
	;; [unrolled: 1-line block ×4, first 2 shown]
	v_pk_add_f32 v[4:5], v[4:5], v[6:7]
	v_pk_add_f32 v[0:1], v[0:1], v[8:9]
	s_nop 0
	v_mov_b32_dpp v6, v4 row_shr:4 row_mask:0xf bank_mask:0xe
	v_mov_b32_dpp v7, v5 row_shr:4 row_mask:0xf bank_mask:0xe
	;; [unrolled: 1-line block ×4, first 2 shown]
	v_pk_add_f32 v[4:5], v[4:5], v[6:7]
	v_pk_add_f32 v[0:1], v[0:1], v[8:9]
	s_nop 0
	v_mov_b32_dpp v6, v4 row_shr:8 row_mask:0xf bank_mask:0xc
	v_mov_b32_dpp v7, v5 row_shr:8 row_mask:0xf bank_mask:0xc
	;; [unrolled: 1-line block ×4, first 2 shown]
	s_and_b64 exec, exec, vcc
	s_cbranch_execz .LBB17_22
; %bb.19:
	s_load_dwordx2 s[0:1], s[0:1], 0x38
	v_cmp_eq_f32_e64 s[2:3], s12, 0
	v_pk_add_f32 v[4:5], v[4:5], v[6:7]
	v_pk_add_f32 v[0:1], v[0:1], v[8:9]
	s_and_b64 vcc, exec, s[2:3]
	v_lshlrev_b32_e32 v2, 2, v2
	s_cbranch_vccz .LBB17_23
; %bb.20:
	v_ashrrev_i32_e32 v3, 31, v2
	s_waitcnt lgkmcnt(0)
	v_lshl_add_u64 v[10:11], v[2:3], 2, s[0:1]
	v_pk_mul_f32 v[6:7], s[14:15], v[4:5] op_sel_hi:[0,1]
	v_pk_mul_f32 v[8:9], s[14:15], v[0:1] op_sel_hi:[0,1]
	global_store_dwordx4 v[10:11], v[6:9], off
	s_cbranch_execnz .LBB17_22
.LBB17_21:
	v_ashrrev_i32_e32 v3, 31, v2
	s_waitcnt lgkmcnt(0)
	v_lshl_add_u64 v[10:11], v[2:3], 2, s[0:1]
	global_load_dwordx4 v[6:9], v[10:11], off
	v_pk_mul_f32 v[2:3], s[14:15], v[4:5] op_sel_hi:[0,1]
	v_pk_mul_f32 v[4:5], s[14:15], v[0:1] op_sel_hi:[0,1]
	s_waitcnt vmcnt(0)
	v_pk_fma_f32 v[0:1], s[12:13], v[6:7], v[2:3] op_sel_hi:[0,1,1]
	v_pk_fma_f32 v[2:3], s[12:13], v[8:9], v[4:5] op_sel_hi:[0,1,1]
	global_store_dwordx4 v[10:11], v[0:3], off
.LBB17_22:
	s_endpgm
.LBB17_23:
	s_branch .LBB17_21
	.section	.rodata,"a",@progbits
	.p2align	6, 0x0
	.amdhsa_kernel _ZN9rocsparseL19gebsrmvn_4xn_kernelILj128ELj5ELj16EfEEvi20rocsparse_direction_NS_24const_host_device_scalarIT2_EEPKiS6_PKS3_S8_S4_PS3_21rocsparse_index_base_b
		.amdhsa_group_segment_fixed_size 0
		.amdhsa_private_segment_fixed_size 0
		.amdhsa_kernarg_size 72
		.amdhsa_user_sgpr_count 2
		.amdhsa_user_sgpr_dispatch_ptr 0
		.amdhsa_user_sgpr_queue_ptr 0
		.amdhsa_user_sgpr_kernarg_segment_ptr 1
		.amdhsa_user_sgpr_dispatch_id 0
		.amdhsa_user_sgpr_kernarg_preload_length 0
		.amdhsa_user_sgpr_kernarg_preload_offset 0
		.amdhsa_user_sgpr_private_segment_size 0
		.amdhsa_uses_dynamic_stack 0
		.amdhsa_enable_private_segment 0
		.amdhsa_system_sgpr_workgroup_id_x 1
		.amdhsa_system_sgpr_workgroup_id_y 0
		.amdhsa_system_sgpr_workgroup_id_z 0
		.amdhsa_system_sgpr_workgroup_info 0
		.amdhsa_system_vgpr_workitem_id 0
		.amdhsa_next_free_vgpr 54
		.amdhsa_next_free_sgpr 20
		.amdhsa_accum_offset 56
		.amdhsa_reserve_vcc 1
		.amdhsa_float_round_mode_32 0
		.amdhsa_float_round_mode_16_64 0
		.amdhsa_float_denorm_mode_32 3
		.amdhsa_float_denorm_mode_16_64 3
		.amdhsa_dx10_clamp 1
		.amdhsa_ieee_mode 1
		.amdhsa_fp16_overflow 0
		.amdhsa_tg_split 0
		.amdhsa_exception_fp_ieee_invalid_op 0
		.amdhsa_exception_fp_denorm_src 0
		.amdhsa_exception_fp_ieee_div_zero 0
		.amdhsa_exception_fp_ieee_overflow 0
		.amdhsa_exception_fp_ieee_underflow 0
		.amdhsa_exception_fp_ieee_inexact 0
		.amdhsa_exception_int_div_zero 0
	.end_amdhsa_kernel
	.section	.text._ZN9rocsparseL19gebsrmvn_4xn_kernelILj128ELj5ELj16EfEEvi20rocsparse_direction_NS_24const_host_device_scalarIT2_EEPKiS6_PKS3_S8_S4_PS3_21rocsparse_index_base_b,"axG",@progbits,_ZN9rocsparseL19gebsrmvn_4xn_kernelILj128ELj5ELj16EfEEvi20rocsparse_direction_NS_24const_host_device_scalarIT2_EEPKiS6_PKS3_S8_S4_PS3_21rocsparse_index_base_b,comdat
.Lfunc_end17:
	.size	_ZN9rocsparseL19gebsrmvn_4xn_kernelILj128ELj5ELj16EfEEvi20rocsparse_direction_NS_24const_host_device_scalarIT2_EEPKiS6_PKS3_S8_S4_PS3_21rocsparse_index_base_b, .Lfunc_end17-_ZN9rocsparseL19gebsrmvn_4xn_kernelILj128ELj5ELj16EfEEvi20rocsparse_direction_NS_24const_host_device_scalarIT2_EEPKiS6_PKS3_S8_S4_PS3_21rocsparse_index_base_b
                                        ; -- End function
	.set _ZN9rocsparseL19gebsrmvn_4xn_kernelILj128ELj5ELj16EfEEvi20rocsparse_direction_NS_24const_host_device_scalarIT2_EEPKiS6_PKS3_S8_S4_PS3_21rocsparse_index_base_b.num_vgpr, 54
	.set _ZN9rocsparseL19gebsrmvn_4xn_kernelILj128ELj5ELj16EfEEvi20rocsparse_direction_NS_24const_host_device_scalarIT2_EEPKiS6_PKS3_S8_S4_PS3_21rocsparse_index_base_b.num_agpr, 0
	.set _ZN9rocsparseL19gebsrmvn_4xn_kernelILj128ELj5ELj16EfEEvi20rocsparse_direction_NS_24const_host_device_scalarIT2_EEPKiS6_PKS3_S8_S4_PS3_21rocsparse_index_base_b.numbered_sgpr, 20
	.set _ZN9rocsparseL19gebsrmvn_4xn_kernelILj128ELj5ELj16EfEEvi20rocsparse_direction_NS_24const_host_device_scalarIT2_EEPKiS6_PKS3_S8_S4_PS3_21rocsparse_index_base_b.num_named_barrier, 0
	.set _ZN9rocsparseL19gebsrmvn_4xn_kernelILj128ELj5ELj16EfEEvi20rocsparse_direction_NS_24const_host_device_scalarIT2_EEPKiS6_PKS3_S8_S4_PS3_21rocsparse_index_base_b.private_seg_size, 0
	.set _ZN9rocsparseL19gebsrmvn_4xn_kernelILj128ELj5ELj16EfEEvi20rocsparse_direction_NS_24const_host_device_scalarIT2_EEPKiS6_PKS3_S8_S4_PS3_21rocsparse_index_base_b.uses_vcc, 1
	.set _ZN9rocsparseL19gebsrmvn_4xn_kernelILj128ELj5ELj16EfEEvi20rocsparse_direction_NS_24const_host_device_scalarIT2_EEPKiS6_PKS3_S8_S4_PS3_21rocsparse_index_base_b.uses_flat_scratch, 0
	.set _ZN9rocsparseL19gebsrmvn_4xn_kernelILj128ELj5ELj16EfEEvi20rocsparse_direction_NS_24const_host_device_scalarIT2_EEPKiS6_PKS3_S8_S4_PS3_21rocsparse_index_base_b.has_dyn_sized_stack, 0
	.set _ZN9rocsparseL19gebsrmvn_4xn_kernelILj128ELj5ELj16EfEEvi20rocsparse_direction_NS_24const_host_device_scalarIT2_EEPKiS6_PKS3_S8_S4_PS3_21rocsparse_index_base_b.has_recursion, 0
	.set _ZN9rocsparseL19gebsrmvn_4xn_kernelILj128ELj5ELj16EfEEvi20rocsparse_direction_NS_24const_host_device_scalarIT2_EEPKiS6_PKS3_S8_S4_PS3_21rocsparse_index_base_b.has_indirect_call, 0
	.section	.AMDGPU.csdata,"",@progbits
; Kernel info:
; codeLenInByte = 1736
; TotalNumSgprs: 26
; NumVgprs: 54
; NumAgprs: 0
; TotalNumVgprs: 54
; ScratchSize: 0
; MemoryBound: 0
; FloatMode: 240
; IeeeMode: 1
; LDSByteSize: 0 bytes/workgroup (compile time only)
; SGPRBlocks: 3
; VGPRBlocks: 6
; NumSGPRsForWavesPerEU: 26
; NumVGPRsForWavesPerEU: 54
; AccumOffset: 56
; Occupancy: 8
; WaveLimiterHint : 1
; COMPUTE_PGM_RSRC2:SCRATCH_EN: 0
; COMPUTE_PGM_RSRC2:USER_SGPR: 2
; COMPUTE_PGM_RSRC2:TRAP_HANDLER: 0
; COMPUTE_PGM_RSRC2:TGID_X_EN: 1
; COMPUTE_PGM_RSRC2:TGID_Y_EN: 0
; COMPUTE_PGM_RSRC2:TGID_Z_EN: 0
; COMPUTE_PGM_RSRC2:TIDIG_COMP_CNT: 0
; COMPUTE_PGM_RSRC3_GFX90A:ACCUM_OFFSET: 13
; COMPUTE_PGM_RSRC3_GFX90A:TG_SPLIT: 0
	.section	.text._ZN9rocsparseL19gebsrmvn_4xn_kernelILj128ELj5ELj32EfEEvi20rocsparse_direction_NS_24const_host_device_scalarIT2_EEPKiS6_PKS3_S8_S4_PS3_21rocsparse_index_base_b,"axG",@progbits,_ZN9rocsparseL19gebsrmvn_4xn_kernelILj128ELj5ELj32EfEEvi20rocsparse_direction_NS_24const_host_device_scalarIT2_EEPKiS6_PKS3_S8_S4_PS3_21rocsparse_index_base_b,comdat
	.globl	_ZN9rocsparseL19gebsrmvn_4xn_kernelILj128ELj5ELj32EfEEvi20rocsparse_direction_NS_24const_host_device_scalarIT2_EEPKiS6_PKS3_S8_S4_PS3_21rocsparse_index_base_b ; -- Begin function _ZN9rocsparseL19gebsrmvn_4xn_kernelILj128ELj5ELj32EfEEvi20rocsparse_direction_NS_24const_host_device_scalarIT2_EEPKiS6_PKS3_S8_S4_PS3_21rocsparse_index_base_b
	.p2align	8
	.type	_ZN9rocsparseL19gebsrmvn_4xn_kernelILj128ELj5ELj32EfEEvi20rocsparse_direction_NS_24const_host_device_scalarIT2_EEPKiS6_PKS3_S8_S4_PS3_21rocsparse_index_base_b,@function
_ZN9rocsparseL19gebsrmvn_4xn_kernelILj128ELj5ELj32EfEEvi20rocsparse_direction_NS_24const_host_device_scalarIT2_EEPKiS6_PKS3_S8_S4_PS3_21rocsparse_index_base_b: ; @_ZN9rocsparseL19gebsrmvn_4xn_kernelILj128ELj5ELj32EfEEvi20rocsparse_direction_NS_24const_host_device_scalarIT2_EEPKiS6_PKS3_S8_S4_PS3_21rocsparse_index_base_b
; %bb.0:
	s_load_dwordx2 s[16:17], s[0:1], 0x40
	s_load_dwordx2 s[14:15], s[0:1], 0x8
	;; [unrolled: 1-line block ×3, first 2 shown]
	s_waitcnt lgkmcnt(0)
	s_bitcmp1_b32 s17, 0
	s_cselect_b64 s[6:7], -1, 0
	s_xor_b64 s[4:5], s[6:7], -1
	s_and_b64 vcc, exec, s[6:7]
	s_cbranch_vccnz .LBB18_2
; %bb.1:
	s_load_dword s14, s[14:15], 0x0
.LBB18_2:
	s_andn2_b64 vcc, exec, s[4:5]
	s_cbranch_vccnz .LBB18_4
; %bb.3:
	s_load_dword s12, s[12:13], 0x0
.LBB18_4:
	s_waitcnt lgkmcnt(0)
	v_cmp_eq_f32_e64 s[4:5], s14, 0
	v_cmp_eq_f32_e64 s[6:7], s12, 1.0
	s_and_b64 s[4:5], s[4:5], s[6:7]
	s_and_b64 vcc, exec, s[4:5]
	s_cbranch_vccnz .LBB18_22
; %bb.5:
	s_load_dwordx2 s[18:19], s[0:1], 0x0
	v_lshrrev_b32_e32 v1, 5, v0
	v_lshl_or_b32 v2, s2, 2, v1
	s_waitcnt lgkmcnt(0)
	v_cmp_gt_i32_e32 vcc, s18, v2
	s_and_saveexec_b64 s[2:3], vcc
	s_cbranch_execz .LBB18_22
; %bb.6:
	s_load_dwordx8 s[4:11], s[0:1], 0x10
	v_ashrrev_i32_e32 v3, 31, v2
	s_cmp_lg_u32 s19, 0
	s_waitcnt lgkmcnt(0)
	v_lshl_add_u64 v[4:5], v[2:3], 2, s[4:5]
	global_load_dwordx2 v[4:5], v[4:5], off
	v_and_b32_e32 v3, 31, v0
	s_waitcnt vmcnt(0)
	v_subrev_u32_e32 v0, s16, v4
	v_subrev_u32_e32 v14, s16, v5
	v_add_u32_e32 v4, v0, v3
	v_cmp_lt_i32_e64 s[2:3], v4, v14
	s_cbranch_scc0 .LBB18_12
; %bb.7:
	v_mov_b32_e32 v1, 0
	v_mov_b32_e32 v0, v1
	;; [unrolled: 1-line block ×4, first 2 shown]
	s_and_saveexec_b64 s[4:5], s[2:3]
	s_cbranch_execz .LBB18_11
; %bb.8:
	v_mad_u64_u32 v[8:9], s[18:19], v4, 20, 16
	v_mov_b32_e32 v11, 0
	s_mov_b64 s[18:19], 0
	v_mov_b32_e32 v12, v4
	v_mov_b32_e32 v0, v11
	;; [unrolled: 1-line block ×5, first 2 shown]
.LBB18_9:                               ; =>This Inner Loop Header: Depth=1
	v_ashrrev_i32_e32 v13, 31, v12
	v_lshl_add_u64 v[16:17], v[12:13], 2, s[6:7]
	global_load_dword v5, v[16:17], off
	v_add_u32_e32 v10, -16, v8
	v_mov_b32_e32 v9, v11
	v_mov_b32_e32 v37, v11
	v_lshl_add_u64 v[16:17], v[10:11], 2, s[8:9]
	v_add_u32_e32 v10, -12, v8
	v_lshl_add_u64 v[28:29], v[8:9], 2, s[8:9]
	global_load_dwordx4 v[16:19], v[16:17], off
	v_lshl_add_u64 v[30:31], v[10:11], 2, s[8:9]
	global_load_dwordx4 v[20:23], v[28:29], off
	global_load_dwordx4 v[24:27], v[30:31], off
	v_add_u32_e32 v12, 32, v12
	v_cmp_ge_i32_e32 vcc, v12, v14
	s_or_b64 s[18:19], vcc, s[18:19]
	s_waitcnt vmcnt(3)
	v_subrev_u32_e32 v5, s16, v5
	v_lshl_add_u32 v36, v5, 2, v5
	v_lshl_add_u64 v[28:29], v[36:37], 2, s[10:11]
	v_add_u32_e32 v10, 1, v36
	global_load_dword v38, v[28:29], off
	v_lshl_add_u64 v[28:29], v[10:11], 2, s[10:11]
	v_add_u32_e32 v10, -8, v8
	global_load_dword v40, v[28:29], off
	v_lshl_add_u64 v[28:29], v[10:11], 2, s[8:9]
	v_add_u32_e32 v10, 2, v36
	v_lshl_add_u64 v[32:33], v[10:11], 2, s[10:11]
	v_add_u32_e32 v10, -4, v8
	global_load_dword v42, v[32:33], off
	v_lshl_add_u64 v[32:33], v[10:11], 2, s[8:9]
	v_add_u32_e32 v10, 3, v36
	global_load_dwordx4 v[28:31], v[28:29], off
	v_lshl_add_u64 v[44:45], v[10:11], 2, s[10:11]
	v_add_u32_e32 v10, 4, v36
	global_load_dwordx4 v[32:35], v[32:33], off
	v_add_u32_e32 v8, 0x280, v8
	global_load_dword v36, v[44:45], off
	v_lshl_add_u64 v[44:45], v[10:11], 2, s[10:11]
	global_load_dword v10, v[44:45], off
	s_waitcnt vmcnt(6)
	v_pk_fma_f32 v[6:7], v[16:17], v[38:39], v[6:7] op_sel_hi:[1,0,1]
	v_pk_fma_f32 v[0:1], v[18:19], v[38:39], v[0:1] op_sel_hi:[1,0,1]
	s_waitcnt vmcnt(5)
	v_pk_fma_f32 v[6:7], v[24:25], v[40:41], v[6:7] op_sel_hi:[1,0,1]
	v_pk_fma_f32 v[0:1], v[26:27], v[40:41], v[0:1] op_sel_hi:[1,0,1]
	;; [unrolled: 3-line block ×5, first 2 shown]
	s_andn2_b64 exec, exec, s[18:19]
	s_cbranch_execnz .LBB18_9
; %bb.10:
	s_or_b64 exec, exec, s[18:19]
.LBB18_11:
	s_or_b64 exec, exec, s[4:5]
	s_cbranch_execz .LBB18_13
	s_branch .LBB18_18
.LBB18_12:
                                        ; implicit-def: $vgpr1
                                        ; implicit-def: $vgpr7
.LBB18_13:
	v_mov_b32_e32 v1, 0
	v_mov_b32_e32 v0, v1
	;; [unrolled: 1-line block ×4, first 2 shown]
	s_and_saveexec_b64 s[4:5], s[2:3]
	s_cbranch_execz .LBB18_17
; %bb.14:
	v_mad_u64_u32 v[8:9], s[2:3], v4, 20, 19
	v_mov_b32_e32 v11, 0
	s_mov_b64 s[2:3], 0
	v_mov_b32_e32 v0, v11
	v_mov_b32_e32 v1, v11
	;; [unrolled: 1-line block ×4, first 2 shown]
.LBB18_15:                              ; =>This Inner Loop Header: Depth=1
	v_ashrrev_i32_e32 v5, 31, v4
	v_lshl_add_u64 v[12:13], v[4:5], 2, s[6:7]
	global_load_dword v5, v[12:13], off
	v_subrev_u32_e32 v10, 19, v8
	v_add_u32_e32 v16, -9, v8
	v_mov_b32_e32 v17, v11
	v_add_u32_e32 v12, -14, v8
	v_add_u32_e32 v18, -4, v8
	v_mov_b32_e32 v13, v11
	v_mov_b32_e32 v19, v11
	v_lshl_add_u64 v[22:23], v[10:11], 2, s[8:9]
	v_lshl_add_u64 v[16:17], v[16:17], 2, s[8:9]
	;; [unrolled: 1-line block ×4, first 2 shown]
	global_load_dwordx4 v[50:53], v[22:23], off
	global_load_dword v27, v[12:13], off
	global_load_dword v28, v[16:17], off
	;; [unrolled: 1-line block ×3, first 2 shown]
	v_mov_b32_e32 v21, v11
	v_mov_b32_e32 v9, v11
	v_lshl_add_u64 v[24:25], v[8:9], 2, s[8:9]
	v_add_u32_e32 v4, 32, v4
	v_cmp_ge_i32_e32 vcc, v4, v14
	s_or_b64 s[2:3], vcc, s[2:3]
	s_waitcnt vmcnt(4)
	v_subrev_u32_e32 v5, s16, v5
	v_lshl_add_u32 v20, v5, 2, v5
	v_add_u32_e32 v10, 1, v20
	v_lshl_add_u64 v[16:17], v[10:11], 2, s[10:11]
	v_add_u32_e32 v10, -13, v8
	v_lshl_add_u64 v[18:19], v[10:11], 2, s[8:9]
	v_add_u32_e32 v10, -8, v8
	;; [unrolled: 2-line block ×3, first 2 shown]
	v_lshl_add_u64 v[12:13], v[20:21], 2, s[10:11]
	v_lshl_add_u64 v[30:31], v[10:11], 2, s[8:9]
	v_add_u32_e32 v10, 2, v20
	global_load_dword v12, v[12:13], off
	s_waitcnt vmcnt(4)
	v_mov_b32_e32 v26, v50
	global_load_dword v16, v[16:17], off
	v_mov_b32_e32 v40, v53
	global_load_dword v19, v[18:19], off
	s_nop 0
	global_load_dword v32, v[22:23], off
	global_load_dword v33, v[30:31], off
	v_lshl_add_u64 v[22:23], v[10:11], 2, s[10:11]
	v_add_u32_e32 v10, -12, v8
	v_lshl_add_u64 v[30:31], v[10:11], 2, s[8:9]
	v_add_u32_e32 v10, -7, v8
	global_load_dword v21, v[30:31], off
	v_lshl_add_u64 v[30:31], v[10:11], 2, s[8:9]
	v_add_u32_e32 v10, -2, v8
	v_lshl_add_u64 v[34:35], v[10:11], 2, s[8:9]
	v_add_u32_e32 v10, 3, v20
	global_load_dword v22, v[22:23], off
	s_nop 0
	global_load_dword v36, v[30:31], off
	global_load_dword v37, v[34:35], off
	v_lshl_add_u64 v[30:31], v[10:11], 2, s[10:11]
	v_add_u32_e32 v10, -11, v8
	v_lshl_add_u64 v[34:35], v[10:11], 2, s[8:9]
	v_add_u32_e32 v10, -6, v8
	;; [unrolled: 2-line block ×3, first 2 shown]
	global_load_dword v30, v[30:31], off
	s_nop 0
	global_load_dword v41, v[34:35], off
	global_load_dword v42, v[38:39], off
	v_lshl_add_u64 v[34:35], v[10:11], 2, s[8:9]
	v_add_u32_e32 v10, -15, v8
	v_lshl_add_u64 v[38:39], v[10:11], 2, s[8:9]
	v_add_u32_e32 v10, 4, v20
	global_load_dword v43, v[34:35], off
	global_load_dword v44, v[38:39], off
	v_lshl_add_u64 v[34:35], v[10:11], 2, s[10:11]
	v_add_u32_e32 v10, -10, v8
	v_lshl_add_u64 v[38:39], v[10:11], 2, s[8:9]
	v_add_u32_e32 v10, -5, v8
	global_load_dword v34, v[34:35], off
	v_lshl_add_u64 v[46:47], v[10:11], 2, s[8:9]
	global_load_dword v45, v[38:39], off
	global_load_dword v48, v[46:47], off
	;; [unrolled: 1-line block ×3, first 2 shown]
	v_mov_b32_e32 v18, v51
	v_mov_b32_e32 v20, v52
	v_add_u32_e32 v8, 0x280, v8
	s_waitcnt vmcnt(17)
	v_pk_fma_f32 v[6:7], v[26:27], v[12:13], v[6:7] op_sel_hi:[1,0,1]
	v_pk_fma_f32 v[0:1], v[28:29], v[12:13], v[0:1] op_sel_hi:[1,0,1]
	s_waitcnt vmcnt(15)
	v_pk_fma_f32 v[6:7], v[18:19], v[16:17], v[6:7] op_sel_hi:[1,0,1]
	s_waitcnt vmcnt(13)
	;; [unrolled: 2-line block ×8, first 2 shown]
	v_pk_fma_f32 v[0:1], v[48:49], v[34:35], v[0:1] op_sel_hi:[1,0,1]
	s_andn2_b64 exec, exec, s[2:3]
	s_cbranch_execnz .LBB18_15
; %bb.16:
	s_or_b64 exec, exec, s[2:3]
.LBB18_17:
	s_or_b64 exec, exec, s[4:5]
.LBB18_18:
	v_mov_b32_dpp v4, v6 row_shr:1 row_mask:0xf bank_mask:0xf
	v_mov_b32_dpp v5, v7 row_shr:1 row_mask:0xf bank_mask:0xf
	;; [unrolled: 1-line block ×4, first 2 shown]
	v_pk_add_f32 v[4:5], v[6:7], v[4:5]
	v_pk_add_f32 v[0:1], v[0:1], v[8:9]
	v_cmp_eq_u32_e32 vcc, 31, v3
	v_mov_b32_dpp v6, v4 row_shr:2 row_mask:0xf bank_mask:0xf
	v_mov_b32_dpp v7, v5 row_shr:2 row_mask:0xf bank_mask:0xf
	v_mov_b32_dpp v8, v0 row_shr:2 row_mask:0xf bank_mask:0xf
	v_mov_b32_dpp v9, v1 row_shr:2 row_mask:0xf bank_mask:0xf
	v_pk_add_f32 v[4:5], v[4:5], v[6:7]
	v_pk_add_f32 v[0:1], v[0:1], v[8:9]
	s_nop 0
	v_mov_b32_dpp v6, v4 row_shr:4 row_mask:0xf bank_mask:0xe
	v_mov_b32_dpp v7, v5 row_shr:4 row_mask:0xf bank_mask:0xe
	v_mov_b32_dpp v8, v0 row_shr:4 row_mask:0xf bank_mask:0xe
	v_mov_b32_dpp v9, v1 row_shr:4 row_mask:0xf bank_mask:0xe
	v_pk_add_f32 v[4:5], v[4:5], v[6:7]
	v_pk_add_f32 v[0:1], v[0:1], v[8:9]
	s_nop 0
	;; [unrolled: 7-line block ×3, first 2 shown]
	v_mov_b32_dpp v6, v4 row_bcast:15 row_mask:0xa bank_mask:0xf
	v_mov_b32_dpp v7, v5 row_bcast:15 row_mask:0xa bank_mask:0xf
	v_mov_b32_dpp v8, v0 row_bcast:15 row_mask:0xa bank_mask:0xf
	v_mov_b32_dpp v9, v1 row_bcast:15 row_mask:0xa bank_mask:0xf
	s_and_b64 exec, exec, vcc
	s_cbranch_execz .LBB18_22
; %bb.19:
	s_load_dwordx2 s[0:1], s[0:1], 0x38
	v_cmp_eq_f32_e64 s[2:3], s12, 0
	v_pk_add_f32 v[4:5], v[4:5], v[6:7]
	v_pk_add_f32 v[0:1], v[0:1], v[8:9]
	s_and_b64 vcc, exec, s[2:3]
	v_lshlrev_b32_e32 v2, 2, v2
	s_cbranch_vccz .LBB18_23
; %bb.20:
	v_ashrrev_i32_e32 v3, 31, v2
	s_waitcnt lgkmcnt(0)
	v_lshl_add_u64 v[10:11], v[2:3], 2, s[0:1]
	v_pk_mul_f32 v[6:7], s[14:15], v[4:5] op_sel_hi:[0,1]
	v_pk_mul_f32 v[8:9], s[14:15], v[0:1] op_sel_hi:[0,1]
	global_store_dwordx4 v[10:11], v[6:9], off
	s_cbranch_execnz .LBB18_22
.LBB18_21:
	v_ashrrev_i32_e32 v3, 31, v2
	s_waitcnt lgkmcnt(0)
	v_lshl_add_u64 v[10:11], v[2:3], 2, s[0:1]
	global_load_dwordx4 v[6:9], v[10:11], off
	v_pk_mul_f32 v[2:3], s[14:15], v[4:5] op_sel_hi:[0,1]
	v_pk_mul_f32 v[4:5], s[14:15], v[0:1] op_sel_hi:[0,1]
	s_waitcnt vmcnt(0)
	v_pk_fma_f32 v[0:1], s[12:13], v[6:7], v[2:3] op_sel_hi:[0,1,1]
	v_pk_fma_f32 v[2:3], s[12:13], v[8:9], v[4:5] op_sel_hi:[0,1,1]
	global_store_dwordx4 v[10:11], v[0:3], off
.LBB18_22:
	s_endpgm
.LBB18_23:
	s_branch .LBB18_21
	.section	.rodata,"a",@progbits
	.p2align	6, 0x0
	.amdhsa_kernel _ZN9rocsparseL19gebsrmvn_4xn_kernelILj128ELj5ELj32EfEEvi20rocsparse_direction_NS_24const_host_device_scalarIT2_EEPKiS6_PKS3_S8_S4_PS3_21rocsparse_index_base_b
		.amdhsa_group_segment_fixed_size 0
		.amdhsa_private_segment_fixed_size 0
		.amdhsa_kernarg_size 72
		.amdhsa_user_sgpr_count 2
		.amdhsa_user_sgpr_dispatch_ptr 0
		.amdhsa_user_sgpr_queue_ptr 0
		.amdhsa_user_sgpr_kernarg_segment_ptr 1
		.amdhsa_user_sgpr_dispatch_id 0
		.amdhsa_user_sgpr_kernarg_preload_length 0
		.amdhsa_user_sgpr_kernarg_preload_offset 0
		.amdhsa_user_sgpr_private_segment_size 0
		.amdhsa_uses_dynamic_stack 0
		.amdhsa_enable_private_segment 0
		.amdhsa_system_sgpr_workgroup_id_x 1
		.amdhsa_system_sgpr_workgroup_id_y 0
		.amdhsa_system_sgpr_workgroup_id_z 0
		.amdhsa_system_sgpr_workgroup_info 0
		.amdhsa_system_vgpr_workitem_id 0
		.amdhsa_next_free_vgpr 54
		.amdhsa_next_free_sgpr 20
		.amdhsa_accum_offset 56
		.amdhsa_reserve_vcc 1
		.amdhsa_float_round_mode_32 0
		.amdhsa_float_round_mode_16_64 0
		.amdhsa_float_denorm_mode_32 3
		.amdhsa_float_denorm_mode_16_64 3
		.amdhsa_dx10_clamp 1
		.amdhsa_ieee_mode 1
		.amdhsa_fp16_overflow 0
		.amdhsa_tg_split 0
		.amdhsa_exception_fp_ieee_invalid_op 0
		.amdhsa_exception_fp_denorm_src 0
		.amdhsa_exception_fp_ieee_div_zero 0
		.amdhsa_exception_fp_ieee_overflow 0
		.amdhsa_exception_fp_ieee_underflow 0
		.amdhsa_exception_fp_ieee_inexact 0
		.amdhsa_exception_int_div_zero 0
	.end_amdhsa_kernel
	.section	.text._ZN9rocsparseL19gebsrmvn_4xn_kernelILj128ELj5ELj32EfEEvi20rocsparse_direction_NS_24const_host_device_scalarIT2_EEPKiS6_PKS3_S8_S4_PS3_21rocsparse_index_base_b,"axG",@progbits,_ZN9rocsparseL19gebsrmvn_4xn_kernelILj128ELj5ELj32EfEEvi20rocsparse_direction_NS_24const_host_device_scalarIT2_EEPKiS6_PKS3_S8_S4_PS3_21rocsparse_index_base_b,comdat
.Lfunc_end18:
	.size	_ZN9rocsparseL19gebsrmvn_4xn_kernelILj128ELj5ELj32EfEEvi20rocsparse_direction_NS_24const_host_device_scalarIT2_EEPKiS6_PKS3_S8_S4_PS3_21rocsparse_index_base_b, .Lfunc_end18-_ZN9rocsparseL19gebsrmvn_4xn_kernelILj128ELj5ELj32EfEEvi20rocsparse_direction_NS_24const_host_device_scalarIT2_EEPKiS6_PKS3_S8_S4_PS3_21rocsparse_index_base_b
                                        ; -- End function
	.set _ZN9rocsparseL19gebsrmvn_4xn_kernelILj128ELj5ELj32EfEEvi20rocsparse_direction_NS_24const_host_device_scalarIT2_EEPKiS6_PKS3_S8_S4_PS3_21rocsparse_index_base_b.num_vgpr, 54
	.set _ZN9rocsparseL19gebsrmvn_4xn_kernelILj128ELj5ELj32EfEEvi20rocsparse_direction_NS_24const_host_device_scalarIT2_EEPKiS6_PKS3_S8_S4_PS3_21rocsparse_index_base_b.num_agpr, 0
	.set _ZN9rocsparseL19gebsrmvn_4xn_kernelILj128ELj5ELj32EfEEvi20rocsparse_direction_NS_24const_host_device_scalarIT2_EEPKiS6_PKS3_S8_S4_PS3_21rocsparse_index_base_b.numbered_sgpr, 20
	.set _ZN9rocsparseL19gebsrmvn_4xn_kernelILj128ELj5ELj32EfEEvi20rocsparse_direction_NS_24const_host_device_scalarIT2_EEPKiS6_PKS3_S8_S4_PS3_21rocsparse_index_base_b.num_named_barrier, 0
	.set _ZN9rocsparseL19gebsrmvn_4xn_kernelILj128ELj5ELj32EfEEvi20rocsparse_direction_NS_24const_host_device_scalarIT2_EEPKiS6_PKS3_S8_S4_PS3_21rocsparse_index_base_b.private_seg_size, 0
	.set _ZN9rocsparseL19gebsrmvn_4xn_kernelILj128ELj5ELj32EfEEvi20rocsparse_direction_NS_24const_host_device_scalarIT2_EEPKiS6_PKS3_S8_S4_PS3_21rocsparse_index_base_b.uses_vcc, 1
	.set _ZN9rocsparseL19gebsrmvn_4xn_kernelILj128ELj5ELj32EfEEvi20rocsparse_direction_NS_24const_host_device_scalarIT2_EEPKiS6_PKS3_S8_S4_PS3_21rocsparse_index_base_b.uses_flat_scratch, 0
	.set _ZN9rocsparseL19gebsrmvn_4xn_kernelILj128ELj5ELj32EfEEvi20rocsparse_direction_NS_24const_host_device_scalarIT2_EEPKiS6_PKS3_S8_S4_PS3_21rocsparse_index_base_b.has_dyn_sized_stack, 0
	.set _ZN9rocsparseL19gebsrmvn_4xn_kernelILj128ELj5ELj32EfEEvi20rocsparse_direction_NS_24const_host_device_scalarIT2_EEPKiS6_PKS3_S8_S4_PS3_21rocsparse_index_base_b.has_recursion, 0
	.set _ZN9rocsparseL19gebsrmvn_4xn_kernelILj128ELj5ELj32EfEEvi20rocsparse_direction_NS_24const_host_device_scalarIT2_EEPKiS6_PKS3_S8_S4_PS3_21rocsparse_index_base_b.has_indirect_call, 0
	.section	.AMDGPU.csdata,"",@progbits
; Kernel info:
; codeLenInByte = 1788
; TotalNumSgprs: 26
; NumVgprs: 54
; NumAgprs: 0
; TotalNumVgprs: 54
; ScratchSize: 0
; MemoryBound: 0
; FloatMode: 240
; IeeeMode: 1
; LDSByteSize: 0 bytes/workgroup (compile time only)
; SGPRBlocks: 3
; VGPRBlocks: 6
; NumSGPRsForWavesPerEU: 26
; NumVGPRsForWavesPerEU: 54
; AccumOffset: 56
; Occupancy: 8
; WaveLimiterHint : 1
; COMPUTE_PGM_RSRC2:SCRATCH_EN: 0
; COMPUTE_PGM_RSRC2:USER_SGPR: 2
; COMPUTE_PGM_RSRC2:TRAP_HANDLER: 0
; COMPUTE_PGM_RSRC2:TGID_X_EN: 1
; COMPUTE_PGM_RSRC2:TGID_Y_EN: 0
; COMPUTE_PGM_RSRC2:TGID_Z_EN: 0
; COMPUTE_PGM_RSRC2:TIDIG_COMP_CNT: 0
; COMPUTE_PGM_RSRC3_GFX90A:ACCUM_OFFSET: 13
; COMPUTE_PGM_RSRC3_GFX90A:TG_SPLIT: 0
	.section	.text._ZN9rocsparseL19gebsrmvn_4xn_kernelILj128ELj5ELj64EfEEvi20rocsparse_direction_NS_24const_host_device_scalarIT2_EEPKiS6_PKS3_S8_S4_PS3_21rocsparse_index_base_b,"axG",@progbits,_ZN9rocsparseL19gebsrmvn_4xn_kernelILj128ELj5ELj64EfEEvi20rocsparse_direction_NS_24const_host_device_scalarIT2_EEPKiS6_PKS3_S8_S4_PS3_21rocsparse_index_base_b,comdat
	.globl	_ZN9rocsparseL19gebsrmvn_4xn_kernelILj128ELj5ELj64EfEEvi20rocsparse_direction_NS_24const_host_device_scalarIT2_EEPKiS6_PKS3_S8_S4_PS3_21rocsparse_index_base_b ; -- Begin function _ZN9rocsparseL19gebsrmvn_4xn_kernelILj128ELj5ELj64EfEEvi20rocsparse_direction_NS_24const_host_device_scalarIT2_EEPKiS6_PKS3_S8_S4_PS3_21rocsparse_index_base_b
	.p2align	8
	.type	_ZN9rocsparseL19gebsrmvn_4xn_kernelILj128ELj5ELj64EfEEvi20rocsparse_direction_NS_24const_host_device_scalarIT2_EEPKiS6_PKS3_S8_S4_PS3_21rocsparse_index_base_b,@function
_ZN9rocsparseL19gebsrmvn_4xn_kernelILj128ELj5ELj64EfEEvi20rocsparse_direction_NS_24const_host_device_scalarIT2_EEPKiS6_PKS3_S8_S4_PS3_21rocsparse_index_base_b: ; @_ZN9rocsparseL19gebsrmvn_4xn_kernelILj128ELj5ELj64EfEEvi20rocsparse_direction_NS_24const_host_device_scalarIT2_EEPKiS6_PKS3_S8_S4_PS3_21rocsparse_index_base_b
; %bb.0:
	s_load_dwordx2 s[16:17], s[0:1], 0x40
	s_load_dwordx2 s[14:15], s[0:1], 0x8
	;; [unrolled: 1-line block ×3, first 2 shown]
	s_waitcnt lgkmcnt(0)
	s_bitcmp1_b32 s17, 0
	s_cselect_b64 s[6:7], -1, 0
	s_xor_b64 s[4:5], s[6:7], -1
	s_and_b64 vcc, exec, s[6:7]
	s_cbranch_vccnz .LBB19_2
; %bb.1:
	s_load_dword s14, s[14:15], 0x0
.LBB19_2:
	s_andn2_b64 vcc, exec, s[4:5]
	s_cbranch_vccnz .LBB19_4
; %bb.3:
	s_load_dword s12, s[12:13], 0x0
.LBB19_4:
	s_waitcnt lgkmcnt(0)
	v_cmp_eq_f32_e64 s[4:5], s14, 0
	v_cmp_eq_f32_e64 s[6:7], s12, 1.0
	s_and_b64 s[4:5], s[4:5], s[6:7]
	s_and_b64 vcc, exec, s[4:5]
	s_cbranch_vccnz .LBB19_22
; %bb.5:
	s_load_dwordx2 s[18:19], s[0:1], 0x0
	v_lshrrev_b32_e32 v1, 6, v0
	v_lshl_or_b32 v2, s2, 1, v1
	s_waitcnt lgkmcnt(0)
	v_cmp_gt_i32_e32 vcc, s18, v2
	s_and_saveexec_b64 s[2:3], vcc
	s_cbranch_execz .LBB19_22
; %bb.6:
	s_load_dwordx8 s[4:11], s[0:1], 0x10
	v_ashrrev_i32_e32 v3, 31, v2
	s_cmp_lg_u32 s19, 0
	s_waitcnt lgkmcnt(0)
	v_lshl_add_u64 v[4:5], v[2:3], 2, s[4:5]
	global_load_dwordx2 v[4:5], v[4:5], off
	v_and_b32_e32 v3, 63, v0
	s_waitcnt vmcnt(0)
	v_subrev_u32_e32 v0, s16, v4
	v_subrev_u32_e32 v14, s16, v5
	v_add_u32_e32 v4, v0, v3
	v_cmp_lt_i32_e64 s[2:3], v4, v14
	s_cbranch_scc0 .LBB19_12
; %bb.7:
	v_mov_b32_e32 v1, 0
	v_mov_b32_e32 v0, v1
	;; [unrolled: 1-line block ×4, first 2 shown]
	s_and_saveexec_b64 s[4:5], s[2:3]
	s_cbranch_execz .LBB19_11
; %bb.8:
	v_mad_u64_u32 v[8:9], s[18:19], v4, 20, 16
	v_mov_b32_e32 v11, 0
	s_mov_b64 s[18:19], 0
	v_mov_b32_e32 v12, v4
	v_mov_b32_e32 v0, v11
	;; [unrolled: 1-line block ×5, first 2 shown]
.LBB19_9:                               ; =>This Inner Loop Header: Depth=1
	v_ashrrev_i32_e32 v13, 31, v12
	v_lshl_add_u64 v[16:17], v[12:13], 2, s[6:7]
	global_load_dword v5, v[16:17], off
	v_add_u32_e32 v10, -16, v8
	v_mov_b32_e32 v9, v11
	v_mov_b32_e32 v37, v11
	v_lshl_add_u64 v[16:17], v[10:11], 2, s[8:9]
	v_add_u32_e32 v10, -12, v8
	v_lshl_add_u64 v[28:29], v[8:9], 2, s[8:9]
	global_load_dwordx4 v[16:19], v[16:17], off
	v_lshl_add_u64 v[30:31], v[10:11], 2, s[8:9]
	global_load_dwordx4 v[20:23], v[28:29], off
	global_load_dwordx4 v[24:27], v[30:31], off
	v_add_u32_e32 v12, 64, v12
	v_cmp_ge_i32_e32 vcc, v12, v14
	s_or_b64 s[18:19], vcc, s[18:19]
	s_waitcnt vmcnt(3)
	v_subrev_u32_e32 v5, s16, v5
	v_lshl_add_u32 v36, v5, 2, v5
	v_lshl_add_u64 v[28:29], v[36:37], 2, s[10:11]
	v_add_u32_e32 v10, 1, v36
	global_load_dword v38, v[28:29], off
	v_lshl_add_u64 v[28:29], v[10:11], 2, s[10:11]
	v_add_u32_e32 v10, -8, v8
	global_load_dword v40, v[28:29], off
	v_lshl_add_u64 v[28:29], v[10:11], 2, s[8:9]
	v_add_u32_e32 v10, 2, v36
	v_lshl_add_u64 v[32:33], v[10:11], 2, s[10:11]
	v_add_u32_e32 v10, -4, v8
	global_load_dword v42, v[32:33], off
	v_lshl_add_u64 v[32:33], v[10:11], 2, s[8:9]
	v_add_u32_e32 v10, 3, v36
	global_load_dwordx4 v[28:31], v[28:29], off
	v_lshl_add_u64 v[44:45], v[10:11], 2, s[10:11]
	v_add_u32_e32 v10, 4, v36
	global_load_dwordx4 v[32:35], v[32:33], off
	v_add_u32_e32 v8, 0x500, v8
	global_load_dword v36, v[44:45], off
	v_lshl_add_u64 v[44:45], v[10:11], 2, s[10:11]
	global_load_dword v10, v[44:45], off
	s_waitcnt vmcnt(6)
	v_pk_fma_f32 v[6:7], v[16:17], v[38:39], v[6:7] op_sel_hi:[1,0,1]
	v_pk_fma_f32 v[0:1], v[18:19], v[38:39], v[0:1] op_sel_hi:[1,0,1]
	s_waitcnt vmcnt(5)
	v_pk_fma_f32 v[6:7], v[24:25], v[40:41], v[6:7] op_sel_hi:[1,0,1]
	v_pk_fma_f32 v[0:1], v[26:27], v[40:41], v[0:1] op_sel_hi:[1,0,1]
	;; [unrolled: 3-line block ×5, first 2 shown]
	s_andn2_b64 exec, exec, s[18:19]
	s_cbranch_execnz .LBB19_9
; %bb.10:
	s_or_b64 exec, exec, s[18:19]
.LBB19_11:
	s_or_b64 exec, exec, s[4:5]
	s_cbranch_execz .LBB19_13
	s_branch .LBB19_18
.LBB19_12:
                                        ; implicit-def: $vgpr1
                                        ; implicit-def: $vgpr7
.LBB19_13:
	v_mov_b32_e32 v1, 0
	v_mov_b32_e32 v0, v1
	;; [unrolled: 1-line block ×4, first 2 shown]
	s_and_saveexec_b64 s[4:5], s[2:3]
	s_cbranch_execz .LBB19_17
; %bb.14:
	v_mad_u64_u32 v[8:9], s[2:3], v4, 20, 19
	v_mov_b32_e32 v11, 0
	s_mov_b64 s[2:3], 0
	v_mov_b32_e32 v0, v11
	v_mov_b32_e32 v1, v11
	;; [unrolled: 1-line block ×4, first 2 shown]
.LBB19_15:                              ; =>This Inner Loop Header: Depth=1
	v_ashrrev_i32_e32 v5, 31, v4
	v_lshl_add_u64 v[12:13], v[4:5], 2, s[6:7]
	global_load_dword v5, v[12:13], off
	v_subrev_u32_e32 v10, 19, v8
	v_add_u32_e32 v16, -9, v8
	v_mov_b32_e32 v17, v11
	v_add_u32_e32 v12, -14, v8
	v_add_u32_e32 v18, -4, v8
	v_mov_b32_e32 v13, v11
	v_mov_b32_e32 v19, v11
	v_lshl_add_u64 v[22:23], v[10:11], 2, s[8:9]
	v_lshl_add_u64 v[16:17], v[16:17], 2, s[8:9]
	;; [unrolled: 1-line block ×4, first 2 shown]
	global_load_dwordx4 v[50:53], v[22:23], off
	global_load_dword v27, v[12:13], off
	global_load_dword v28, v[16:17], off
	;; [unrolled: 1-line block ×3, first 2 shown]
	v_mov_b32_e32 v21, v11
	v_mov_b32_e32 v9, v11
	v_lshl_add_u64 v[24:25], v[8:9], 2, s[8:9]
	v_add_u32_e32 v4, 64, v4
	v_cmp_ge_i32_e32 vcc, v4, v14
	s_or_b64 s[2:3], vcc, s[2:3]
	s_waitcnt vmcnt(4)
	v_subrev_u32_e32 v5, s16, v5
	v_lshl_add_u32 v20, v5, 2, v5
	v_add_u32_e32 v10, 1, v20
	v_lshl_add_u64 v[16:17], v[10:11], 2, s[10:11]
	v_add_u32_e32 v10, -13, v8
	v_lshl_add_u64 v[18:19], v[10:11], 2, s[8:9]
	v_add_u32_e32 v10, -8, v8
	;; [unrolled: 2-line block ×3, first 2 shown]
	v_lshl_add_u64 v[12:13], v[20:21], 2, s[10:11]
	v_lshl_add_u64 v[30:31], v[10:11], 2, s[8:9]
	v_add_u32_e32 v10, 2, v20
	global_load_dword v12, v[12:13], off
	s_waitcnt vmcnt(4)
	v_mov_b32_e32 v26, v50
	global_load_dword v16, v[16:17], off
	v_mov_b32_e32 v40, v53
	global_load_dword v19, v[18:19], off
	s_nop 0
	global_load_dword v32, v[22:23], off
	global_load_dword v33, v[30:31], off
	v_lshl_add_u64 v[22:23], v[10:11], 2, s[10:11]
	v_add_u32_e32 v10, -12, v8
	v_lshl_add_u64 v[30:31], v[10:11], 2, s[8:9]
	v_add_u32_e32 v10, -7, v8
	global_load_dword v21, v[30:31], off
	v_lshl_add_u64 v[30:31], v[10:11], 2, s[8:9]
	v_add_u32_e32 v10, -2, v8
	v_lshl_add_u64 v[34:35], v[10:11], 2, s[8:9]
	v_add_u32_e32 v10, 3, v20
	global_load_dword v22, v[22:23], off
	s_nop 0
	global_load_dword v36, v[30:31], off
	global_load_dword v37, v[34:35], off
	v_lshl_add_u64 v[30:31], v[10:11], 2, s[10:11]
	v_add_u32_e32 v10, -11, v8
	v_lshl_add_u64 v[34:35], v[10:11], 2, s[8:9]
	v_add_u32_e32 v10, -6, v8
	;; [unrolled: 2-line block ×3, first 2 shown]
	global_load_dword v30, v[30:31], off
	s_nop 0
	global_load_dword v41, v[34:35], off
	global_load_dword v42, v[38:39], off
	v_lshl_add_u64 v[34:35], v[10:11], 2, s[8:9]
	v_add_u32_e32 v10, -15, v8
	v_lshl_add_u64 v[38:39], v[10:11], 2, s[8:9]
	v_add_u32_e32 v10, 4, v20
	global_load_dword v43, v[34:35], off
	global_load_dword v44, v[38:39], off
	v_lshl_add_u64 v[34:35], v[10:11], 2, s[10:11]
	v_add_u32_e32 v10, -10, v8
	v_lshl_add_u64 v[38:39], v[10:11], 2, s[8:9]
	v_add_u32_e32 v10, -5, v8
	global_load_dword v34, v[34:35], off
	v_lshl_add_u64 v[46:47], v[10:11], 2, s[8:9]
	global_load_dword v45, v[38:39], off
	global_load_dword v48, v[46:47], off
	;; [unrolled: 1-line block ×3, first 2 shown]
	v_mov_b32_e32 v18, v51
	v_mov_b32_e32 v20, v52
	v_add_u32_e32 v8, 0x500, v8
	s_waitcnt vmcnt(17)
	v_pk_fma_f32 v[6:7], v[26:27], v[12:13], v[6:7] op_sel_hi:[1,0,1]
	v_pk_fma_f32 v[0:1], v[28:29], v[12:13], v[0:1] op_sel_hi:[1,0,1]
	s_waitcnt vmcnt(15)
	v_pk_fma_f32 v[6:7], v[18:19], v[16:17], v[6:7] op_sel_hi:[1,0,1]
	s_waitcnt vmcnt(13)
	;; [unrolled: 2-line block ×8, first 2 shown]
	v_pk_fma_f32 v[0:1], v[48:49], v[34:35], v[0:1] op_sel_hi:[1,0,1]
	s_andn2_b64 exec, exec, s[2:3]
	s_cbranch_execnz .LBB19_15
; %bb.16:
	s_or_b64 exec, exec, s[2:3]
.LBB19_17:
	s_or_b64 exec, exec, s[4:5]
.LBB19_18:
	v_mov_b32_dpp v4, v6 row_shr:1 row_mask:0xf bank_mask:0xf
	v_mov_b32_dpp v5, v7 row_shr:1 row_mask:0xf bank_mask:0xf
	;; [unrolled: 1-line block ×4, first 2 shown]
	v_pk_add_f32 v[4:5], v[6:7], v[4:5]
	v_pk_add_f32 v[0:1], v[0:1], v[8:9]
	v_cmp_eq_u32_e32 vcc, 63, v3
	v_mov_b32_dpp v6, v4 row_shr:2 row_mask:0xf bank_mask:0xf
	v_mov_b32_dpp v7, v5 row_shr:2 row_mask:0xf bank_mask:0xf
	v_mov_b32_dpp v8, v0 row_shr:2 row_mask:0xf bank_mask:0xf
	v_mov_b32_dpp v9, v1 row_shr:2 row_mask:0xf bank_mask:0xf
	v_pk_add_f32 v[4:5], v[4:5], v[6:7]
	v_pk_add_f32 v[0:1], v[0:1], v[8:9]
	s_nop 0
	v_mov_b32_dpp v6, v4 row_shr:4 row_mask:0xf bank_mask:0xe
	v_mov_b32_dpp v7, v5 row_shr:4 row_mask:0xf bank_mask:0xe
	v_mov_b32_dpp v8, v0 row_shr:4 row_mask:0xf bank_mask:0xe
	v_mov_b32_dpp v9, v1 row_shr:4 row_mask:0xf bank_mask:0xe
	v_pk_add_f32 v[4:5], v[4:5], v[6:7]
	v_pk_add_f32 v[0:1], v[0:1], v[8:9]
	s_nop 0
	;; [unrolled: 7-line block ×3, first 2 shown]
	v_mov_b32_dpp v6, v4 row_bcast:15 row_mask:0xa bank_mask:0xf
	v_mov_b32_dpp v7, v5 row_bcast:15 row_mask:0xa bank_mask:0xf
	;; [unrolled: 1-line block ×4, first 2 shown]
	v_pk_add_f32 v[4:5], v[4:5], v[6:7]
	v_pk_add_f32 v[0:1], v[0:1], v[8:9]
	s_nop 0
	v_mov_b32_dpp v6, v4 row_bcast:31 row_mask:0xc bank_mask:0xf
	v_mov_b32_dpp v7, v5 row_bcast:31 row_mask:0xc bank_mask:0xf
	;; [unrolled: 1-line block ×4, first 2 shown]
	s_and_b64 exec, exec, vcc
	s_cbranch_execz .LBB19_22
; %bb.19:
	s_load_dwordx2 s[0:1], s[0:1], 0x38
	v_cmp_eq_f32_e64 s[2:3], s12, 0
	v_pk_add_f32 v[4:5], v[4:5], v[6:7]
	v_pk_add_f32 v[0:1], v[0:1], v[8:9]
	s_and_b64 vcc, exec, s[2:3]
	v_lshlrev_b32_e32 v2, 2, v2
	s_cbranch_vccz .LBB19_23
; %bb.20:
	v_ashrrev_i32_e32 v3, 31, v2
	s_waitcnt lgkmcnt(0)
	v_lshl_add_u64 v[10:11], v[2:3], 2, s[0:1]
	v_pk_mul_f32 v[6:7], s[14:15], v[4:5] op_sel_hi:[0,1]
	v_pk_mul_f32 v[8:9], s[14:15], v[0:1] op_sel_hi:[0,1]
	global_store_dwordx4 v[10:11], v[6:9], off
	s_cbranch_execnz .LBB19_22
.LBB19_21:
	v_ashrrev_i32_e32 v3, 31, v2
	s_waitcnt lgkmcnt(0)
	v_lshl_add_u64 v[10:11], v[2:3], 2, s[0:1]
	global_load_dwordx4 v[6:9], v[10:11], off
	v_pk_mul_f32 v[2:3], s[14:15], v[4:5] op_sel_hi:[0,1]
	v_pk_mul_f32 v[4:5], s[14:15], v[0:1] op_sel_hi:[0,1]
	s_waitcnt vmcnt(0)
	v_pk_fma_f32 v[0:1], s[12:13], v[6:7], v[2:3] op_sel_hi:[0,1,1]
	v_pk_fma_f32 v[2:3], s[12:13], v[8:9], v[4:5] op_sel_hi:[0,1,1]
	global_store_dwordx4 v[10:11], v[0:3], off
.LBB19_22:
	s_endpgm
.LBB19_23:
	s_branch .LBB19_21
	.section	.rodata,"a",@progbits
	.p2align	6, 0x0
	.amdhsa_kernel _ZN9rocsparseL19gebsrmvn_4xn_kernelILj128ELj5ELj64EfEEvi20rocsparse_direction_NS_24const_host_device_scalarIT2_EEPKiS6_PKS3_S8_S4_PS3_21rocsparse_index_base_b
		.amdhsa_group_segment_fixed_size 0
		.amdhsa_private_segment_fixed_size 0
		.amdhsa_kernarg_size 72
		.amdhsa_user_sgpr_count 2
		.amdhsa_user_sgpr_dispatch_ptr 0
		.amdhsa_user_sgpr_queue_ptr 0
		.amdhsa_user_sgpr_kernarg_segment_ptr 1
		.amdhsa_user_sgpr_dispatch_id 0
		.amdhsa_user_sgpr_kernarg_preload_length 0
		.amdhsa_user_sgpr_kernarg_preload_offset 0
		.amdhsa_user_sgpr_private_segment_size 0
		.amdhsa_uses_dynamic_stack 0
		.amdhsa_enable_private_segment 0
		.amdhsa_system_sgpr_workgroup_id_x 1
		.amdhsa_system_sgpr_workgroup_id_y 0
		.amdhsa_system_sgpr_workgroup_id_z 0
		.amdhsa_system_sgpr_workgroup_info 0
		.amdhsa_system_vgpr_workitem_id 0
		.amdhsa_next_free_vgpr 54
		.amdhsa_next_free_sgpr 20
		.amdhsa_accum_offset 56
		.amdhsa_reserve_vcc 1
		.amdhsa_float_round_mode_32 0
		.amdhsa_float_round_mode_16_64 0
		.amdhsa_float_denorm_mode_32 3
		.amdhsa_float_denorm_mode_16_64 3
		.amdhsa_dx10_clamp 1
		.amdhsa_ieee_mode 1
		.amdhsa_fp16_overflow 0
		.amdhsa_tg_split 0
		.amdhsa_exception_fp_ieee_invalid_op 0
		.amdhsa_exception_fp_denorm_src 0
		.amdhsa_exception_fp_ieee_div_zero 0
		.amdhsa_exception_fp_ieee_overflow 0
		.amdhsa_exception_fp_ieee_underflow 0
		.amdhsa_exception_fp_ieee_inexact 0
		.amdhsa_exception_int_div_zero 0
	.end_amdhsa_kernel
	.section	.text._ZN9rocsparseL19gebsrmvn_4xn_kernelILj128ELj5ELj64EfEEvi20rocsparse_direction_NS_24const_host_device_scalarIT2_EEPKiS6_PKS3_S8_S4_PS3_21rocsparse_index_base_b,"axG",@progbits,_ZN9rocsparseL19gebsrmvn_4xn_kernelILj128ELj5ELj64EfEEvi20rocsparse_direction_NS_24const_host_device_scalarIT2_EEPKiS6_PKS3_S8_S4_PS3_21rocsparse_index_base_b,comdat
.Lfunc_end19:
	.size	_ZN9rocsparseL19gebsrmvn_4xn_kernelILj128ELj5ELj64EfEEvi20rocsparse_direction_NS_24const_host_device_scalarIT2_EEPKiS6_PKS3_S8_S4_PS3_21rocsparse_index_base_b, .Lfunc_end19-_ZN9rocsparseL19gebsrmvn_4xn_kernelILj128ELj5ELj64EfEEvi20rocsparse_direction_NS_24const_host_device_scalarIT2_EEPKiS6_PKS3_S8_S4_PS3_21rocsparse_index_base_b
                                        ; -- End function
	.set _ZN9rocsparseL19gebsrmvn_4xn_kernelILj128ELj5ELj64EfEEvi20rocsparse_direction_NS_24const_host_device_scalarIT2_EEPKiS6_PKS3_S8_S4_PS3_21rocsparse_index_base_b.num_vgpr, 54
	.set _ZN9rocsparseL19gebsrmvn_4xn_kernelILj128ELj5ELj64EfEEvi20rocsparse_direction_NS_24const_host_device_scalarIT2_EEPKiS6_PKS3_S8_S4_PS3_21rocsparse_index_base_b.num_agpr, 0
	.set _ZN9rocsparseL19gebsrmvn_4xn_kernelILj128ELj5ELj64EfEEvi20rocsparse_direction_NS_24const_host_device_scalarIT2_EEPKiS6_PKS3_S8_S4_PS3_21rocsparse_index_base_b.numbered_sgpr, 20
	.set _ZN9rocsparseL19gebsrmvn_4xn_kernelILj128ELj5ELj64EfEEvi20rocsparse_direction_NS_24const_host_device_scalarIT2_EEPKiS6_PKS3_S8_S4_PS3_21rocsparse_index_base_b.num_named_barrier, 0
	.set _ZN9rocsparseL19gebsrmvn_4xn_kernelILj128ELj5ELj64EfEEvi20rocsparse_direction_NS_24const_host_device_scalarIT2_EEPKiS6_PKS3_S8_S4_PS3_21rocsparse_index_base_b.private_seg_size, 0
	.set _ZN9rocsparseL19gebsrmvn_4xn_kernelILj128ELj5ELj64EfEEvi20rocsparse_direction_NS_24const_host_device_scalarIT2_EEPKiS6_PKS3_S8_S4_PS3_21rocsparse_index_base_b.uses_vcc, 1
	.set _ZN9rocsparseL19gebsrmvn_4xn_kernelILj128ELj5ELj64EfEEvi20rocsparse_direction_NS_24const_host_device_scalarIT2_EEPKiS6_PKS3_S8_S4_PS3_21rocsparse_index_base_b.uses_flat_scratch, 0
	.set _ZN9rocsparseL19gebsrmvn_4xn_kernelILj128ELj5ELj64EfEEvi20rocsparse_direction_NS_24const_host_device_scalarIT2_EEPKiS6_PKS3_S8_S4_PS3_21rocsparse_index_base_b.has_dyn_sized_stack, 0
	.set _ZN9rocsparseL19gebsrmvn_4xn_kernelILj128ELj5ELj64EfEEvi20rocsparse_direction_NS_24const_host_device_scalarIT2_EEPKiS6_PKS3_S8_S4_PS3_21rocsparse_index_base_b.has_recursion, 0
	.set _ZN9rocsparseL19gebsrmvn_4xn_kernelILj128ELj5ELj64EfEEvi20rocsparse_direction_NS_24const_host_device_scalarIT2_EEPKiS6_PKS3_S8_S4_PS3_21rocsparse_index_base_b.has_indirect_call, 0
	.section	.AMDGPU.csdata,"",@progbits
; Kernel info:
; codeLenInByte = 1840
; TotalNumSgprs: 26
; NumVgprs: 54
; NumAgprs: 0
; TotalNumVgprs: 54
; ScratchSize: 0
; MemoryBound: 0
; FloatMode: 240
; IeeeMode: 1
; LDSByteSize: 0 bytes/workgroup (compile time only)
; SGPRBlocks: 3
; VGPRBlocks: 6
; NumSGPRsForWavesPerEU: 26
; NumVGPRsForWavesPerEU: 54
; AccumOffset: 56
; Occupancy: 8
; WaveLimiterHint : 1
; COMPUTE_PGM_RSRC2:SCRATCH_EN: 0
; COMPUTE_PGM_RSRC2:USER_SGPR: 2
; COMPUTE_PGM_RSRC2:TRAP_HANDLER: 0
; COMPUTE_PGM_RSRC2:TGID_X_EN: 1
; COMPUTE_PGM_RSRC2:TGID_Y_EN: 0
; COMPUTE_PGM_RSRC2:TGID_Z_EN: 0
; COMPUTE_PGM_RSRC2:TIDIG_COMP_CNT: 0
; COMPUTE_PGM_RSRC3_GFX90A:ACCUM_OFFSET: 13
; COMPUTE_PGM_RSRC3_GFX90A:TG_SPLIT: 0
	.section	.text._ZN9rocsparseL19gebsrmvn_4xn_kernelILj128ELj6ELj4EfEEvi20rocsparse_direction_NS_24const_host_device_scalarIT2_EEPKiS6_PKS3_S8_S4_PS3_21rocsparse_index_base_b,"axG",@progbits,_ZN9rocsparseL19gebsrmvn_4xn_kernelILj128ELj6ELj4EfEEvi20rocsparse_direction_NS_24const_host_device_scalarIT2_EEPKiS6_PKS3_S8_S4_PS3_21rocsparse_index_base_b,comdat
	.globl	_ZN9rocsparseL19gebsrmvn_4xn_kernelILj128ELj6ELj4EfEEvi20rocsparse_direction_NS_24const_host_device_scalarIT2_EEPKiS6_PKS3_S8_S4_PS3_21rocsparse_index_base_b ; -- Begin function _ZN9rocsparseL19gebsrmvn_4xn_kernelILj128ELj6ELj4EfEEvi20rocsparse_direction_NS_24const_host_device_scalarIT2_EEPKiS6_PKS3_S8_S4_PS3_21rocsparse_index_base_b
	.p2align	8
	.type	_ZN9rocsparseL19gebsrmvn_4xn_kernelILj128ELj6ELj4EfEEvi20rocsparse_direction_NS_24const_host_device_scalarIT2_EEPKiS6_PKS3_S8_S4_PS3_21rocsparse_index_base_b,@function
_ZN9rocsparseL19gebsrmvn_4xn_kernelILj128ELj6ELj4EfEEvi20rocsparse_direction_NS_24const_host_device_scalarIT2_EEPKiS6_PKS3_S8_S4_PS3_21rocsparse_index_base_b: ; @_ZN9rocsparseL19gebsrmvn_4xn_kernelILj128ELj6ELj4EfEEvi20rocsparse_direction_NS_24const_host_device_scalarIT2_EEPKiS6_PKS3_S8_S4_PS3_21rocsparse_index_base_b
; %bb.0:
	s_load_dwordx2 s[16:17], s[0:1], 0x40
	s_load_dwordx2 s[14:15], s[0:1], 0x8
	;; [unrolled: 1-line block ×3, first 2 shown]
	s_waitcnt lgkmcnt(0)
	s_bitcmp1_b32 s17, 0
	s_cselect_b64 s[6:7], -1, 0
	s_xor_b64 s[4:5], s[6:7], -1
	s_and_b64 vcc, exec, s[6:7]
	s_cbranch_vccnz .LBB20_2
; %bb.1:
	s_load_dword s14, s[14:15], 0x0
.LBB20_2:
	s_andn2_b64 vcc, exec, s[4:5]
	s_cbranch_vccnz .LBB20_4
; %bb.3:
	s_load_dword s12, s[12:13], 0x0
.LBB20_4:
	s_waitcnt lgkmcnt(0)
	v_cmp_eq_f32_e64 s[4:5], s14, 0
	v_cmp_eq_f32_e64 s[6:7], s12, 1.0
	s_and_b64 s[4:5], s[4:5], s[6:7]
	s_and_b64 vcc, exec, s[4:5]
	s_cbranch_vccnz .LBB20_22
; %bb.5:
	s_load_dwordx2 s[18:19], s[0:1], 0x0
	v_lshrrev_b32_e32 v1, 2, v0
	v_lshl_or_b32 v2, s2, 5, v1
	s_waitcnt lgkmcnt(0)
	v_cmp_gt_i32_e32 vcc, s18, v2
	s_and_saveexec_b64 s[2:3], vcc
	s_cbranch_execz .LBB20_22
; %bb.6:
	s_load_dwordx8 s[4:11], s[0:1], 0x10
	v_ashrrev_i32_e32 v3, 31, v2
	s_cmp_lg_u32 s19, 0
	s_waitcnt lgkmcnt(0)
	v_lshl_add_u64 v[4:5], v[2:3], 2, s[4:5]
	global_load_dwordx2 v[4:5], v[4:5], off
	v_and_b32_e32 v3, 3, v0
	s_waitcnt vmcnt(0)
	v_subrev_u32_e32 v0, s16, v4
	v_subrev_u32_e32 v14, s16, v5
	v_add_u32_e32 v0, v0, v3
	v_cmp_lt_i32_e64 s[2:3], v0, v14
	s_cbranch_scc0 .LBB20_12
; %bb.7:
	v_mov_b32_e32 v5, 0
	v_mov_b32_e32 v4, v5
	;; [unrolled: 1-line block ×4, first 2 shown]
	s_and_saveexec_b64 s[4:5], s[2:3]
	s_cbranch_execz .LBB20_11
; %bb.8:
	v_mad_u64_u32 v[8:9], s[18:19], v0, 24, 20
	v_mov_b32_e32 v11, 0
	s_mov_b64 s[18:19], 0
	v_mov_b32_e32 v12, v0
	v_mov_b32_e32 v6, v11
	;; [unrolled: 1-line block ×5, first 2 shown]
.LBB20_9:                               ; =>This Inner Loop Header: Depth=1
	v_ashrrev_i32_e32 v13, 31, v12
	v_lshl_add_u64 v[16:17], v[12:13], 2, s[6:7]
	global_load_dword v1, v[16:17], off
	v_subrev_u32_e32 v10, 20, v8
	v_mov_b32_e32 v29, v11
	v_lshl_add_u64 v[24:25], v[10:11], 2, s[8:9]
	v_add_u32_e32 v10, -12, v8
	global_load_dwordx4 v[16:19], v[24:25], off offset:16
	global_load_dwordx4 v[20:23], v[24:25], off
	v_lshl_add_u64 v[24:25], v[10:11], 2, s[8:9]
	global_load_dwordx4 v[24:27], v[24:25], off
	v_mov_b32_e32 v9, v11
	v_lshl_add_u64 v[40:41], v[8:9], 2, s[8:9]
	v_add_u32_e32 v12, 4, v12
	v_cmp_ge_i32_e32 vcc, v12, v14
	s_or_b64 s[18:19], vcc, s[18:19]
	s_waitcnt vmcnt(3)
	v_subrev_u32_e32 v1, s16, v1
	v_mul_lo_u32 v28, v1, 6
	v_lshl_add_u64 v[30:31], v[28:29], 2, s[10:11]
	v_add_u32_e32 v10, 2, v28
	global_load_dwordx2 v[42:43], v[30:31], off
	v_lshl_add_u64 v[30:31], v[10:11], 2, s[10:11]
	v_add_u32_e32 v10, -8, v8
	global_load_dwordx2 v[44:45], v[30:31], off
	v_lshl_add_u64 v[36:37], v[10:11], 2, s[8:9]
	v_add_u32_e32 v10, -4, v8
	v_lshl_add_u64 v[38:39], v[10:11], 2, s[8:9]
	v_add_u32_e32 v10, 4, v28
	global_load_dwordx4 v[28:31], v[36:37], off
	global_load_dwordx4 v[32:35], v[38:39], off
	v_lshl_add_u64 v[46:47], v[10:11], 2, s[10:11]
	global_load_dwordx2 v[48:49], v[46:47], off
	global_load_dwordx4 v[36:39], v[40:41], off
	v_add_u32_e32 v8, 0x60, v8
	s_waitcnt vmcnt(5)
	v_pk_fma_f32 v[6:7], v[20:21], v[42:43], v[6:7] op_sel_hi:[1,0,1]
	v_pk_fma_f32 v[4:5], v[22:23], v[42:43], v[4:5] op_sel_hi:[1,0,1]
	v_pk_fma_f32 v[6:7], v[16:17], v[42:43], v[6:7] op_sel:[0,1,0]
	v_pk_fma_f32 v[4:5], v[18:19], v[42:43], v[4:5] op_sel:[0,1,0]
	s_waitcnt vmcnt(4)
	v_pk_fma_f32 v[6:7], v[24:25], v[44:45], v[6:7] op_sel_hi:[1,0,1]
	v_pk_fma_f32 v[4:5], v[26:27], v[44:45], v[4:5] op_sel_hi:[1,0,1]
	s_waitcnt vmcnt(3)
	v_pk_fma_f32 v[6:7], v[28:29], v[44:45], v[6:7] op_sel:[0,1,0]
	v_pk_fma_f32 v[4:5], v[30:31], v[44:45], v[4:5] op_sel:[0,1,0]
	s_waitcnt vmcnt(1)
	v_pk_fma_f32 v[6:7], v[32:33], v[48:49], v[6:7] op_sel_hi:[1,0,1]
	v_pk_fma_f32 v[4:5], v[34:35], v[48:49], v[4:5] op_sel_hi:[1,0,1]
	s_waitcnt vmcnt(0)
	v_pk_fma_f32 v[6:7], v[36:37], v[48:49], v[6:7] op_sel:[0,1,0]
	v_pk_fma_f32 v[4:5], v[38:39], v[48:49], v[4:5] op_sel:[0,1,0]
	s_andn2_b64 exec, exec, s[18:19]
	s_cbranch_execnz .LBB20_9
; %bb.10:
	s_or_b64 exec, exec, s[18:19]
.LBB20_11:
	s_or_b64 exec, exec, s[4:5]
	s_cbranch_execz .LBB20_13
	s_branch .LBB20_18
.LBB20_12:
                                        ; implicit-def: $vgpr5
                                        ; implicit-def: $vgpr7
.LBB20_13:
	v_mov_b32_e32 v5, 0
	v_mov_b32_e32 v4, v5
	v_mov_b32_e32 v7, v5
	v_mov_b32_e32 v6, v5
	s_and_saveexec_b64 s[4:5], s[2:3]
	s_cbranch_execz .LBB20_17
; %bb.14:
	v_mad_u64_u32 v[8:9], s[2:3], v0, 24, 23
	v_mov_b32_e32 v11, 0
	s_mov_b64 s[2:3], 0
	v_mov_b32_e32 v6, v11
	v_mov_b32_e32 v5, 0
	;; [unrolled: 1-line block ×4, first 2 shown]
.LBB20_15:                              ; =>This Inner Loop Header: Depth=1
	v_ashrrev_i32_e32 v1, 31, v0
	v_lshl_add_u64 v[12:13], v[0:1], 2, s[6:7]
	global_load_dword v1, v[12:13], off
	v_subrev_u32_e32 v10, 23, v8
	v_add_u32_e32 v12, -11, v8
	v_mov_b32_e32 v13, v11
	v_add_u32_e32 v16, -5, v8
	v_mov_b32_e32 v17, v11
	v_lshl_add_u64 v[22:23], v[10:11], 2, s[8:9]
	v_lshl_add_u64 v[12:13], v[12:13], 2, s[8:9]
	v_add_u32_e32 v10, -10, v8
	v_lshl_add_u64 v[24:25], v[16:17], 2, s[8:9]
	global_load_dwordx4 v[16:19], v[22:23], off offset:16
	global_load_dwordx4 v[50:53], v[22:23], off
	global_load_dword v28, v[12:13], off
	global_load_dword v29, v[24:25], off
	v_lshl_add_u64 v[12:13], v[10:11], 2, s[8:9]
	v_add_u32_e32 v10, -4, v8
	v_lshl_add_u64 v[22:23], v[10:11], 2, s[8:9]
	global_load_dword v24, v[12:13], off
	global_load_dword v25, v[22:23], off
	v_mov_b32_e32 v21, v11
	v_mov_b32_e32 v9, v11
	v_lshl_add_u64 v[26:27], v[8:9], 2, s[8:9]
	v_add_u32_e32 v0, 4, v0
	v_cmp_ge_i32_e32 vcc, v0, v14
	s_or_b64 s[2:3], vcc, s[2:3]
	s_waitcnt vmcnt(6)
	v_subrev_u32_e32 v1, s16, v1
	v_mul_lo_u32 v20, v1, 6
	v_add_u32_e32 v10, 2, v20
	v_lshl_add_u64 v[22:23], v[10:11], 2, s[10:11]
	v_add_u32_e32 v10, -15, v8
	v_lshl_add_u64 v[30:31], v[10:11], 2, s[8:9]
	v_add_u32_e32 v10, -9, v8
	v_lshl_add_u64 v[12:13], v[20:21], 2, s[10:11]
	v_lshl_add_u64 v[32:33], v[10:11], 2, s[8:9]
	v_add_u32_e32 v10, -3, v8
	global_load_dwordx2 v[12:13], v[12:13], off
	s_waitcnt vmcnt(5)
	v_mov_b32_e32 v36, v53
	global_load_dwordx2 v[22:23], v[22:23], off
	s_nop 0
	global_load_dword v21, v[30:31], off
	global_load_dword v34, v[32:33], off
	v_lshl_add_u64 v[30:31], v[10:11], 2, s[8:9]
	v_add_u32_e32 v10, -14, v8
	v_lshl_add_u64 v[32:33], v[10:11], 2, s[8:9]
	v_add_u32_e32 v10, -8, v8
	global_load_dword v35, v[30:31], off
	global_load_dword v37, v[32:33], off
	v_lshl_add_u64 v[30:31], v[10:11], 2, s[8:9]
	v_add_u32_e32 v10, -2, v8
	v_lshl_add_u64 v[32:33], v[10:11], 2, s[8:9]
	v_add_u32_e32 v10, 4, v20
	global_load_dword v38, v[30:31], off
	global_load_dword v39, v[32:33], off
	v_lshl_add_u64 v[30:31], v[10:11], 2, s[10:11]
	v_add_u32_e32 v10, -13, v8
	v_lshl_add_u64 v[32:33], v[10:11], 2, s[8:9]
	v_add_u32_e32 v10, -7, v8
	;; [unrolled: 2-line block ×4, first 2 shown]
	global_load_dwordx2 v[30:31], v[30:31], off
	v_mov_b32_e32 v20, v52
	global_load_dword v33, v[32:33], off
	s_nop 0
	global_load_dword v44, v[40:41], off
	global_load_dword v45, v[42:43], off
	v_lshl_add_u64 v[40:41], v[10:11], 2, s[8:9]
	v_add_u32_e32 v10, -6, v8
	v_lshl_add_u64 v[42:43], v[10:11], 2, s[8:9]
	global_load_dword v47, v[40:41], off
	global_load_dword v48, v[42:43], off
	;; [unrolled: 1-line block ×3, first 2 shown]
	v_mov_b32_e32 v26, v50
	v_mov_b32_e32 v27, v18
	;; [unrolled: 1-line block ×5, first 2 shown]
	v_add_u32_e32 v8, 0x60, v8
	s_waitcnt vmcnt(14)
	v_pk_fma_f32 v[6:7], v[26:27], v[12:13], v[6:7] op_sel_hi:[1,0,1]
	v_pk_fma_f32 v[4:5], v[28:29], v[12:13], v[4:5] op_sel_hi:[1,0,1]
	v_pk_fma_f32 v[6:7], v[18:19], v[12:13], v[6:7] op_sel:[0,1,0]
	v_pk_fma_f32 v[4:5], v[24:25], v[12:13], v[4:5] op_sel:[0,1,0]
	s_waitcnt vmcnt(12)
	v_pk_fma_f32 v[6:7], v[20:21], v[22:23], v[6:7] op_sel_hi:[1,0,1]
	s_waitcnt vmcnt(10)
	v_pk_fma_f32 v[4:5], v[34:35], v[22:23], v[4:5] op_sel_hi:[1,0,1]
	s_waitcnt vmcnt(9)
	v_pk_fma_f32 v[6:7], v[36:37], v[22:23], v[6:7] op_sel:[0,1,0]
	s_waitcnt vmcnt(7)
	v_pk_fma_f32 v[4:5], v[38:39], v[22:23], v[4:5] op_sel:[0,1,0]
	s_waitcnt vmcnt(5)
	v_pk_fma_f32 v[6:7], v[32:33], v[30:31], v[6:7] op_sel_hi:[1,0,1]
	s_waitcnt vmcnt(3)
	v_pk_fma_f32 v[4:5], v[44:45], v[30:31], v[4:5] op_sel_hi:[1,0,1]
	s_waitcnt vmcnt(2)
	v_pk_fma_f32 v[6:7], v[46:47], v[30:31], v[6:7] op_sel:[0,1,0]
	s_waitcnt vmcnt(0)
	v_pk_fma_f32 v[4:5], v[48:49], v[30:31], v[4:5] op_sel:[0,1,0]
	s_andn2_b64 exec, exec, s[2:3]
	s_cbranch_execnz .LBB20_15
; %bb.16:
	s_or_b64 exec, exec, s[2:3]
.LBB20_17:
	s_or_b64 exec, exec, s[4:5]
.LBB20_18:
	v_mov_b32_dpp v0, v6 row_shr:1 row_mask:0xf bank_mask:0xf
	v_mov_b32_dpp v1, v7 row_shr:1 row_mask:0xf bank_mask:0xf
	v_mov_b32_dpp v8, v4 row_shr:1 row_mask:0xf bank_mask:0xf
	v_mov_b32_dpp v9, v5 row_shr:1 row_mask:0xf bank_mask:0xf
	v_pk_add_f32 v[0:1], v[6:7], v[0:1]
	v_pk_add_f32 v[8:9], v[4:5], v[8:9]
	v_cmp_eq_u32_e32 vcc, 3, v3
	v_mov_b32_dpp v6, v0 row_shr:2 row_mask:0xf bank_mask:0xf
	v_mov_b32_dpp v7, v1 row_shr:2 row_mask:0xf bank_mask:0xf
	;; [unrolled: 1-line block ×4, first 2 shown]
	s_and_b64 exec, exec, vcc
	s_cbranch_execz .LBB20_22
; %bb.19:
	s_load_dwordx2 s[0:1], s[0:1], 0x38
	v_cmp_eq_f32_e64 s[2:3], s12, 0
	v_pk_add_f32 v[4:5], v[0:1], v[6:7]
	v_pk_add_f32 v[0:1], v[8:9], v[10:11]
	s_and_b64 vcc, exec, s[2:3]
	v_lshlrev_b32_e32 v2, 2, v2
	s_cbranch_vccz .LBB20_23
; %bb.20:
	v_ashrrev_i32_e32 v3, 31, v2
	s_waitcnt lgkmcnt(0)
	v_lshl_add_u64 v[10:11], v[2:3], 2, s[0:1]
	v_pk_mul_f32 v[6:7], s[14:15], v[4:5] op_sel_hi:[0,1]
	v_pk_mul_f32 v[8:9], s[14:15], v[0:1] op_sel_hi:[0,1]
	global_store_dwordx4 v[10:11], v[6:9], off
	s_cbranch_execnz .LBB20_22
.LBB20_21:
	v_ashrrev_i32_e32 v3, 31, v2
	s_waitcnt lgkmcnt(0)
	v_lshl_add_u64 v[10:11], v[2:3], 2, s[0:1]
	global_load_dwordx4 v[6:9], v[10:11], off
	v_pk_mul_f32 v[2:3], s[14:15], v[4:5] op_sel_hi:[0,1]
	v_pk_mul_f32 v[4:5], s[14:15], v[0:1] op_sel_hi:[0,1]
	s_waitcnt vmcnt(0)
	v_pk_fma_f32 v[0:1], s[12:13], v[6:7], v[2:3] op_sel_hi:[0,1,1]
	v_pk_fma_f32 v[2:3], s[12:13], v[8:9], v[4:5] op_sel_hi:[0,1,1]
	global_store_dwordx4 v[10:11], v[0:3], off
.LBB20_22:
	s_endpgm
.LBB20_23:
	s_branch .LBB20_21
	.section	.rodata,"a",@progbits
	.p2align	6, 0x0
	.amdhsa_kernel _ZN9rocsparseL19gebsrmvn_4xn_kernelILj128ELj6ELj4EfEEvi20rocsparse_direction_NS_24const_host_device_scalarIT2_EEPKiS6_PKS3_S8_S4_PS3_21rocsparse_index_base_b
		.amdhsa_group_segment_fixed_size 0
		.amdhsa_private_segment_fixed_size 0
		.amdhsa_kernarg_size 72
		.amdhsa_user_sgpr_count 2
		.amdhsa_user_sgpr_dispatch_ptr 0
		.amdhsa_user_sgpr_queue_ptr 0
		.amdhsa_user_sgpr_kernarg_segment_ptr 1
		.amdhsa_user_sgpr_dispatch_id 0
		.amdhsa_user_sgpr_kernarg_preload_length 0
		.amdhsa_user_sgpr_kernarg_preload_offset 0
		.amdhsa_user_sgpr_private_segment_size 0
		.amdhsa_uses_dynamic_stack 0
		.amdhsa_enable_private_segment 0
		.amdhsa_system_sgpr_workgroup_id_x 1
		.amdhsa_system_sgpr_workgroup_id_y 0
		.amdhsa_system_sgpr_workgroup_id_z 0
		.amdhsa_system_sgpr_workgroup_info 0
		.amdhsa_system_vgpr_workitem_id 0
		.amdhsa_next_free_vgpr 54
		.amdhsa_next_free_sgpr 20
		.amdhsa_accum_offset 56
		.amdhsa_reserve_vcc 1
		.amdhsa_float_round_mode_32 0
		.amdhsa_float_round_mode_16_64 0
		.amdhsa_float_denorm_mode_32 3
		.amdhsa_float_denorm_mode_16_64 3
		.amdhsa_dx10_clamp 1
		.amdhsa_ieee_mode 1
		.amdhsa_fp16_overflow 0
		.amdhsa_tg_split 0
		.amdhsa_exception_fp_ieee_invalid_op 0
		.amdhsa_exception_fp_denorm_src 0
		.amdhsa_exception_fp_ieee_div_zero 0
		.amdhsa_exception_fp_ieee_overflow 0
		.amdhsa_exception_fp_ieee_underflow 0
		.amdhsa_exception_fp_ieee_inexact 0
		.amdhsa_exception_int_div_zero 0
	.end_amdhsa_kernel
	.section	.text._ZN9rocsparseL19gebsrmvn_4xn_kernelILj128ELj6ELj4EfEEvi20rocsparse_direction_NS_24const_host_device_scalarIT2_EEPKiS6_PKS3_S8_S4_PS3_21rocsparse_index_base_b,"axG",@progbits,_ZN9rocsparseL19gebsrmvn_4xn_kernelILj128ELj6ELj4EfEEvi20rocsparse_direction_NS_24const_host_device_scalarIT2_EEPKiS6_PKS3_S8_S4_PS3_21rocsparse_index_base_b,comdat
.Lfunc_end20:
	.size	_ZN9rocsparseL19gebsrmvn_4xn_kernelILj128ELj6ELj4EfEEvi20rocsparse_direction_NS_24const_host_device_scalarIT2_EEPKiS6_PKS3_S8_S4_PS3_21rocsparse_index_base_b, .Lfunc_end20-_ZN9rocsparseL19gebsrmvn_4xn_kernelILj128ELj6ELj4EfEEvi20rocsparse_direction_NS_24const_host_device_scalarIT2_EEPKiS6_PKS3_S8_S4_PS3_21rocsparse_index_base_b
                                        ; -- End function
	.set _ZN9rocsparseL19gebsrmvn_4xn_kernelILj128ELj6ELj4EfEEvi20rocsparse_direction_NS_24const_host_device_scalarIT2_EEPKiS6_PKS3_S8_S4_PS3_21rocsparse_index_base_b.num_vgpr, 54
	.set _ZN9rocsparseL19gebsrmvn_4xn_kernelILj128ELj6ELj4EfEEvi20rocsparse_direction_NS_24const_host_device_scalarIT2_EEPKiS6_PKS3_S8_S4_PS3_21rocsparse_index_base_b.num_agpr, 0
	.set _ZN9rocsparseL19gebsrmvn_4xn_kernelILj128ELj6ELj4EfEEvi20rocsparse_direction_NS_24const_host_device_scalarIT2_EEPKiS6_PKS3_S8_S4_PS3_21rocsparse_index_base_b.numbered_sgpr, 20
	.set _ZN9rocsparseL19gebsrmvn_4xn_kernelILj128ELj6ELj4EfEEvi20rocsparse_direction_NS_24const_host_device_scalarIT2_EEPKiS6_PKS3_S8_S4_PS3_21rocsparse_index_base_b.num_named_barrier, 0
	.set _ZN9rocsparseL19gebsrmvn_4xn_kernelILj128ELj6ELj4EfEEvi20rocsparse_direction_NS_24const_host_device_scalarIT2_EEPKiS6_PKS3_S8_S4_PS3_21rocsparse_index_base_b.private_seg_size, 0
	.set _ZN9rocsparseL19gebsrmvn_4xn_kernelILj128ELj6ELj4EfEEvi20rocsparse_direction_NS_24const_host_device_scalarIT2_EEPKiS6_PKS3_S8_S4_PS3_21rocsparse_index_base_b.uses_vcc, 1
	.set _ZN9rocsparseL19gebsrmvn_4xn_kernelILj128ELj6ELj4EfEEvi20rocsparse_direction_NS_24const_host_device_scalarIT2_EEPKiS6_PKS3_S8_S4_PS3_21rocsparse_index_base_b.uses_flat_scratch, 0
	.set _ZN9rocsparseL19gebsrmvn_4xn_kernelILj128ELj6ELj4EfEEvi20rocsparse_direction_NS_24const_host_device_scalarIT2_EEPKiS6_PKS3_S8_S4_PS3_21rocsparse_index_base_b.has_dyn_sized_stack, 0
	.set _ZN9rocsparseL19gebsrmvn_4xn_kernelILj128ELj6ELj4EfEEvi20rocsparse_direction_NS_24const_host_device_scalarIT2_EEPKiS6_PKS3_S8_S4_PS3_21rocsparse_index_base_b.has_recursion, 0
	.set _ZN9rocsparseL19gebsrmvn_4xn_kernelILj128ELj6ELj4EfEEvi20rocsparse_direction_NS_24const_host_device_scalarIT2_EEPKiS6_PKS3_S8_S4_PS3_21rocsparse_index_base_b.has_indirect_call, 0
	.section	.AMDGPU.csdata,"",@progbits
; Kernel info:
; codeLenInByte = 1604
; TotalNumSgprs: 26
; NumVgprs: 54
; NumAgprs: 0
; TotalNumVgprs: 54
; ScratchSize: 0
; MemoryBound: 0
; FloatMode: 240
; IeeeMode: 1
; LDSByteSize: 0 bytes/workgroup (compile time only)
; SGPRBlocks: 3
; VGPRBlocks: 6
; NumSGPRsForWavesPerEU: 26
; NumVGPRsForWavesPerEU: 54
; AccumOffset: 56
; Occupancy: 8
; WaveLimiterHint : 1
; COMPUTE_PGM_RSRC2:SCRATCH_EN: 0
; COMPUTE_PGM_RSRC2:USER_SGPR: 2
; COMPUTE_PGM_RSRC2:TRAP_HANDLER: 0
; COMPUTE_PGM_RSRC2:TGID_X_EN: 1
; COMPUTE_PGM_RSRC2:TGID_Y_EN: 0
; COMPUTE_PGM_RSRC2:TGID_Z_EN: 0
; COMPUTE_PGM_RSRC2:TIDIG_COMP_CNT: 0
; COMPUTE_PGM_RSRC3_GFX90A:ACCUM_OFFSET: 13
; COMPUTE_PGM_RSRC3_GFX90A:TG_SPLIT: 0
	.section	.text._ZN9rocsparseL19gebsrmvn_4xn_kernelILj128ELj6ELj8EfEEvi20rocsparse_direction_NS_24const_host_device_scalarIT2_EEPKiS6_PKS3_S8_S4_PS3_21rocsparse_index_base_b,"axG",@progbits,_ZN9rocsparseL19gebsrmvn_4xn_kernelILj128ELj6ELj8EfEEvi20rocsparse_direction_NS_24const_host_device_scalarIT2_EEPKiS6_PKS3_S8_S4_PS3_21rocsparse_index_base_b,comdat
	.globl	_ZN9rocsparseL19gebsrmvn_4xn_kernelILj128ELj6ELj8EfEEvi20rocsparse_direction_NS_24const_host_device_scalarIT2_EEPKiS6_PKS3_S8_S4_PS3_21rocsparse_index_base_b ; -- Begin function _ZN9rocsparseL19gebsrmvn_4xn_kernelILj128ELj6ELj8EfEEvi20rocsparse_direction_NS_24const_host_device_scalarIT2_EEPKiS6_PKS3_S8_S4_PS3_21rocsparse_index_base_b
	.p2align	8
	.type	_ZN9rocsparseL19gebsrmvn_4xn_kernelILj128ELj6ELj8EfEEvi20rocsparse_direction_NS_24const_host_device_scalarIT2_EEPKiS6_PKS3_S8_S4_PS3_21rocsparse_index_base_b,@function
_ZN9rocsparseL19gebsrmvn_4xn_kernelILj128ELj6ELj8EfEEvi20rocsparse_direction_NS_24const_host_device_scalarIT2_EEPKiS6_PKS3_S8_S4_PS3_21rocsparse_index_base_b: ; @_ZN9rocsparseL19gebsrmvn_4xn_kernelILj128ELj6ELj8EfEEvi20rocsparse_direction_NS_24const_host_device_scalarIT2_EEPKiS6_PKS3_S8_S4_PS3_21rocsparse_index_base_b
; %bb.0:
	s_load_dwordx2 s[16:17], s[0:1], 0x40
	s_load_dwordx2 s[14:15], s[0:1], 0x8
	;; [unrolled: 1-line block ×3, first 2 shown]
	s_waitcnt lgkmcnt(0)
	s_bitcmp1_b32 s17, 0
	s_cselect_b64 s[6:7], -1, 0
	s_xor_b64 s[4:5], s[6:7], -1
	s_and_b64 vcc, exec, s[6:7]
	s_cbranch_vccnz .LBB21_2
; %bb.1:
	s_load_dword s14, s[14:15], 0x0
.LBB21_2:
	s_andn2_b64 vcc, exec, s[4:5]
	s_cbranch_vccnz .LBB21_4
; %bb.3:
	s_load_dword s12, s[12:13], 0x0
.LBB21_4:
	s_waitcnt lgkmcnt(0)
	v_cmp_eq_f32_e64 s[4:5], s14, 0
	v_cmp_eq_f32_e64 s[6:7], s12, 1.0
	s_and_b64 s[4:5], s[4:5], s[6:7]
	s_and_b64 vcc, exec, s[4:5]
	s_cbranch_vccnz .LBB21_22
; %bb.5:
	s_load_dwordx2 s[18:19], s[0:1], 0x0
	v_lshrrev_b32_e32 v1, 3, v0
	v_lshl_or_b32 v2, s2, 4, v1
	s_waitcnt lgkmcnt(0)
	v_cmp_gt_i32_e32 vcc, s18, v2
	s_and_saveexec_b64 s[2:3], vcc
	s_cbranch_execz .LBB21_22
; %bb.6:
	s_load_dwordx8 s[4:11], s[0:1], 0x10
	v_ashrrev_i32_e32 v3, 31, v2
	s_cmp_lg_u32 s19, 0
	s_waitcnt lgkmcnt(0)
	v_lshl_add_u64 v[4:5], v[2:3], 2, s[4:5]
	global_load_dwordx2 v[4:5], v[4:5], off
	v_and_b32_e32 v3, 7, v0
	s_waitcnt vmcnt(0)
	v_subrev_u32_e32 v0, s16, v4
	v_subrev_u32_e32 v14, s16, v5
	v_add_u32_e32 v0, v0, v3
	v_cmp_lt_i32_e64 s[2:3], v0, v14
	s_cbranch_scc0 .LBB21_12
; %bb.7:
	v_mov_b32_e32 v5, 0
	v_mov_b32_e32 v4, v5
	;; [unrolled: 1-line block ×4, first 2 shown]
	s_and_saveexec_b64 s[4:5], s[2:3]
	s_cbranch_execz .LBB21_11
; %bb.8:
	v_mad_u64_u32 v[8:9], s[18:19], v0, 24, 20
	v_mov_b32_e32 v11, 0
	s_mov_b64 s[18:19], 0
	v_mov_b32_e32 v12, v0
	v_mov_b32_e32 v4, v11
	;; [unrolled: 1-line block ×5, first 2 shown]
.LBB21_9:                               ; =>This Inner Loop Header: Depth=1
	v_ashrrev_i32_e32 v13, 31, v12
	v_lshl_add_u64 v[16:17], v[12:13], 2, s[6:7]
	global_load_dword v1, v[16:17], off
	v_subrev_u32_e32 v10, 20, v8
	v_mov_b32_e32 v29, v11
	v_lshl_add_u64 v[24:25], v[10:11], 2, s[8:9]
	v_add_u32_e32 v10, -12, v8
	global_load_dwordx4 v[16:19], v[24:25], off offset:16
	global_load_dwordx4 v[20:23], v[24:25], off
	v_lshl_add_u64 v[24:25], v[10:11], 2, s[8:9]
	global_load_dwordx4 v[24:27], v[24:25], off
	v_mov_b32_e32 v9, v11
	v_lshl_add_u64 v[40:41], v[8:9], 2, s[8:9]
	v_add_u32_e32 v12, 8, v12
	v_cmp_ge_i32_e32 vcc, v12, v14
	s_or_b64 s[18:19], vcc, s[18:19]
	s_waitcnt vmcnt(3)
	v_subrev_u32_e32 v1, s16, v1
	v_mul_lo_u32 v28, v1, 6
	v_lshl_add_u64 v[30:31], v[28:29], 2, s[10:11]
	v_add_u32_e32 v10, 2, v28
	global_load_dwordx2 v[42:43], v[30:31], off
	v_lshl_add_u64 v[30:31], v[10:11], 2, s[10:11]
	v_add_u32_e32 v10, -8, v8
	global_load_dwordx2 v[44:45], v[30:31], off
	v_lshl_add_u64 v[36:37], v[10:11], 2, s[8:9]
	v_add_u32_e32 v10, -4, v8
	v_lshl_add_u64 v[38:39], v[10:11], 2, s[8:9]
	v_add_u32_e32 v10, 4, v28
	global_load_dwordx4 v[28:31], v[36:37], off
	global_load_dwordx4 v[32:35], v[38:39], off
	v_lshl_add_u64 v[46:47], v[10:11], 2, s[10:11]
	global_load_dwordx2 v[48:49], v[46:47], off
	global_load_dwordx4 v[36:39], v[40:41], off
	v_add_u32_e32 v8, 0xc0, v8
	s_waitcnt vmcnt(5)
	v_pk_fma_f32 v[6:7], v[20:21], v[42:43], v[6:7] op_sel_hi:[1,0,1]
	v_pk_fma_f32 v[4:5], v[22:23], v[42:43], v[4:5] op_sel_hi:[1,0,1]
	v_pk_fma_f32 v[6:7], v[16:17], v[42:43], v[6:7] op_sel:[0,1,0]
	v_pk_fma_f32 v[4:5], v[18:19], v[42:43], v[4:5] op_sel:[0,1,0]
	s_waitcnt vmcnt(4)
	v_pk_fma_f32 v[6:7], v[24:25], v[44:45], v[6:7] op_sel_hi:[1,0,1]
	v_pk_fma_f32 v[4:5], v[26:27], v[44:45], v[4:5] op_sel_hi:[1,0,1]
	s_waitcnt vmcnt(3)
	v_pk_fma_f32 v[6:7], v[28:29], v[44:45], v[6:7] op_sel:[0,1,0]
	v_pk_fma_f32 v[4:5], v[30:31], v[44:45], v[4:5] op_sel:[0,1,0]
	s_waitcnt vmcnt(1)
	v_pk_fma_f32 v[6:7], v[32:33], v[48:49], v[6:7] op_sel_hi:[1,0,1]
	v_pk_fma_f32 v[4:5], v[34:35], v[48:49], v[4:5] op_sel_hi:[1,0,1]
	s_waitcnt vmcnt(0)
	v_pk_fma_f32 v[6:7], v[36:37], v[48:49], v[6:7] op_sel:[0,1,0]
	v_pk_fma_f32 v[4:5], v[38:39], v[48:49], v[4:5] op_sel:[0,1,0]
	s_andn2_b64 exec, exec, s[18:19]
	s_cbranch_execnz .LBB21_9
; %bb.10:
	s_or_b64 exec, exec, s[18:19]
.LBB21_11:
	s_or_b64 exec, exec, s[4:5]
	s_cbranch_execz .LBB21_13
	s_branch .LBB21_18
.LBB21_12:
                                        ; implicit-def: $vgpr5
                                        ; implicit-def: $vgpr7
.LBB21_13:
	v_mov_b32_e32 v5, 0
	v_mov_b32_e32 v4, v5
	;; [unrolled: 1-line block ×4, first 2 shown]
	s_and_saveexec_b64 s[4:5], s[2:3]
	s_cbranch_execz .LBB21_17
; %bb.14:
	v_mad_u64_u32 v[8:9], s[2:3], v0, 24, 23
	v_mov_b32_e32 v11, 0
	s_mov_b64 s[2:3], 0
	v_mov_b32_e32 v4, v11
	v_mov_b32_e32 v5, v11
	;; [unrolled: 1-line block ×4, first 2 shown]
.LBB21_15:                              ; =>This Inner Loop Header: Depth=1
	v_ashrrev_i32_e32 v1, 31, v0
	v_lshl_add_u64 v[12:13], v[0:1], 2, s[6:7]
	global_load_dword v1, v[12:13], off
	v_subrev_u32_e32 v10, 23, v8
	v_add_u32_e32 v12, -11, v8
	v_mov_b32_e32 v13, v11
	v_add_u32_e32 v16, -5, v8
	v_mov_b32_e32 v17, v11
	v_lshl_add_u64 v[22:23], v[10:11], 2, s[8:9]
	v_lshl_add_u64 v[12:13], v[12:13], 2, s[8:9]
	v_add_u32_e32 v10, -10, v8
	v_lshl_add_u64 v[24:25], v[16:17], 2, s[8:9]
	global_load_dwordx4 v[16:19], v[22:23], off offset:16
	global_load_dwordx4 v[50:53], v[22:23], off
	global_load_dword v28, v[12:13], off
	global_load_dword v29, v[24:25], off
	v_lshl_add_u64 v[12:13], v[10:11], 2, s[8:9]
	v_add_u32_e32 v10, -4, v8
	v_lshl_add_u64 v[22:23], v[10:11], 2, s[8:9]
	global_load_dword v24, v[12:13], off
	global_load_dword v25, v[22:23], off
	v_mov_b32_e32 v21, v11
	v_mov_b32_e32 v9, v11
	v_lshl_add_u64 v[26:27], v[8:9], 2, s[8:9]
	v_add_u32_e32 v0, 8, v0
	v_cmp_ge_i32_e32 vcc, v0, v14
	s_or_b64 s[2:3], vcc, s[2:3]
	s_waitcnt vmcnt(6)
	v_subrev_u32_e32 v1, s16, v1
	v_mul_lo_u32 v20, v1, 6
	v_add_u32_e32 v10, 2, v20
	v_lshl_add_u64 v[22:23], v[10:11], 2, s[10:11]
	v_add_u32_e32 v10, -15, v8
	v_lshl_add_u64 v[30:31], v[10:11], 2, s[8:9]
	v_add_u32_e32 v10, -9, v8
	v_lshl_add_u64 v[12:13], v[20:21], 2, s[10:11]
	v_lshl_add_u64 v[32:33], v[10:11], 2, s[8:9]
	v_add_u32_e32 v10, -3, v8
	global_load_dwordx2 v[12:13], v[12:13], off
	s_waitcnt vmcnt(5)
	v_mov_b32_e32 v36, v53
	global_load_dwordx2 v[22:23], v[22:23], off
	s_nop 0
	global_load_dword v21, v[30:31], off
	global_load_dword v34, v[32:33], off
	v_lshl_add_u64 v[30:31], v[10:11], 2, s[8:9]
	v_add_u32_e32 v10, -14, v8
	v_lshl_add_u64 v[32:33], v[10:11], 2, s[8:9]
	v_add_u32_e32 v10, -8, v8
	global_load_dword v35, v[30:31], off
	global_load_dword v37, v[32:33], off
	v_lshl_add_u64 v[30:31], v[10:11], 2, s[8:9]
	v_add_u32_e32 v10, -2, v8
	v_lshl_add_u64 v[32:33], v[10:11], 2, s[8:9]
	v_add_u32_e32 v10, 4, v20
	global_load_dword v38, v[30:31], off
	global_load_dword v39, v[32:33], off
	v_lshl_add_u64 v[30:31], v[10:11], 2, s[10:11]
	v_add_u32_e32 v10, -13, v8
	v_lshl_add_u64 v[32:33], v[10:11], 2, s[8:9]
	v_add_u32_e32 v10, -7, v8
	;; [unrolled: 2-line block ×4, first 2 shown]
	global_load_dwordx2 v[30:31], v[30:31], off
	v_mov_b32_e32 v20, v52
	global_load_dword v33, v[32:33], off
	s_nop 0
	global_load_dword v44, v[40:41], off
	global_load_dword v45, v[42:43], off
	v_lshl_add_u64 v[40:41], v[10:11], 2, s[8:9]
	v_add_u32_e32 v10, -6, v8
	v_lshl_add_u64 v[42:43], v[10:11], 2, s[8:9]
	global_load_dword v47, v[40:41], off
	global_load_dword v48, v[42:43], off
	;; [unrolled: 1-line block ×3, first 2 shown]
	v_mov_b32_e32 v26, v50
	v_mov_b32_e32 v27, v18
	;; [unrolled: 1-line block ×5, first 2 shown]
	v_add_u32_e32 v8, 0xc0, v8
	s_waitcnt vmcnt(14)
	v_pk_fma_f32 v[6:7], v[26:27], v[12:13], v[6:7] op_sel_hi:[1,0,1]
	v_pk_fma_f32 v[4:5], v[28:29], v[12:13], v[4:5] op_sel_hi:[1,0,1]
	v_pk_fma_f32 v[6:7], v[18:19], v[12:13], v[6:7] op_sel:[0,1,0]
	v_pk_fma_f32 v[4:5], v[24:25], v[12:13], v[4:5] op_sel:[0,1,0]
	s_waitcnt vmcnt(12)
	v_pk_fma_f32 v[6:7], v[20:21], v[22:23], v[6:7] op_sel_hi:[1,0,1]
	s_waitcnt vmcnt(10)
	v_pk_fma_f32 v[4:5], v[34:35], v[22:23], v[4:5] op_sel_hi:[1,0,1]
	s_waitcnt vmcnt(9)
	v_pk_fma_f32 v[6:7], v[36:37], v[22:23], v[6:7] op_sel:[0,1,0]
	s_waitcnt vmcnt(7)
	v_pk_fma_f32 v[4:5], v[38:39], v[22:23], v[4:5] op_sel:[0,1,0]
	s_waitcnt vmcnt(5)
	v_pk_fma_f32 v[6:7], v[32:33], v[30:31], v[6:7] op_sel_hi:[1,0,1]
	s_waitcnt vmcnt(3)
	v_pk_fma_f32 v[4:5], v[44:45], v[30:31], v[4:5] op_sel_hi:[1,0,1]
	s_waitcnt vmcnt(2)
	v_pk_fma_f32 v[6:7], v[46:47], v[30:31], v[6:7] op_sel:[0,1,0]
	s_waitcnt vmcnt(0)
	v_pk_fma_f32 v[4:5], v[48:49], v[30:31], v[4:5] op_sel:[0,1,0]
	s_andn2_b64 exec, exec, s[2:3]
	s_cbranch_execnz .LBB21_15
; %bb.16:
	s_or_b64 exec, exec, s[2:3]
.LBB21_17:
	s_or_b64 exec, exec, s[4:5]
.LBB21_18:
	v_mov_b32_dpp v0, v6 row_shr:1 row_mask:0xf bank_mask:0xf
	v_mov_b32_dpp v1, v7 row_shr:1 row_mask:0xf bank_mask:0xf
	;; [unrolled: 1-line block ×4, first 2 shown]
	v_pk_add_f32 v[0:1], v[6:7], v[0:1]
	v_pk_add_f32 v[4:5], v[4:5], v[8:9]
	v_cmp_eq_u32_e32 vcc, 7, v3
	v_mov_b32_dpp v6, v0 row_shr:2 row_mask:0xf bank_mask:0xf
	v_mov_b32_dpp v7, v1 row_shr:2 row_mask:0xf bank_mask:0xf
	;; [unrolled: 1-line block ×4, first 2 shown]
	v_pk_add_f32 v[0:1], v[0:1], v[6:7]
	v_pk_add_f32 v[8:9], v[4:5], v[8:9]
	s_nop 0
	v_mov_b32_dpp v6, v0 row_shr:4 row_mask:0xf bank_mask:0xe
	v_mov_b32_dpp v7, v1 row_shr:4 row_mask:0xf bank_mask:0xe
	;; [unrolled: 1-line block ×4, first 2 shown]
	s_and_b64 exec, exec, vcc
	s_cbranch_execz .LBB21_22
; %bb.19:
	s_load_dwordx2 s[0:1], s[0:1], 0x38
	v_cmp_eq_f32_e64 s[2:3], s12, 0
	v_pk_add_f32 v[4:5], v[0:1], v[6:7]
	v_pk_add_f32 v[0:1], v[8:9], v[10:11]
	s_and_b64 vcc, exec, s[2:3]
	v_lshlrev_b32_e32 v2, 2, v2
	s_cbranch_vccz .LBB21_23
; %bb.20:
	v_ashrrev_i32_e32 v3, 31, v2
	s_waitcnt lgkmcnt(0)
	v_lshl_add_u64 v[10:11], v[2:3], 2, s[0:1]
	v_pk_mul_f32 v[6:7], s[14:15], v[4:5] op_sel_hi:[0,1]
	v_pk_mul_f32 v[8:9], s[14:15], v[0:1] op_sel_hi:[0,1]
	global_store_dwordx4 v[10:11], v[6:9], off
	s_cbranch_execnz .LBB21_22
.LBB21_21:
	v_ashrrev_i32_e32 v3, 31, v2
	s_waitcnt lgkmcnt(0)
	v_lshl_add_u64 v[10:11], v[2:3], 2, s[0:1]
	global_load_dwordx4 v[6:9], v[10:11], off
	v_pk_mul_f32 v[2:3], s[14:15], v[4:5] op_sel_hi:[0,1]
	v_pk_mul_f32 v[4:5], s[14:15], v[0:1] op_sel_hi:[0,1]
	s_waitcnt vmcnt(0)
	v_pk_fma_f32 v[0:1], s[12:13], v[6:7], v[2:3] op_sel_hi:[0,1,1]
	v_pk_fma_f32 v[2:3], s[12:13], v[8:9], v[4:5] op_sel_hi:[0,1,1]
	global_store_dwordx4 v[10:11], v[0:3], off
.LBB21_22:
	s_endpgm
.LBB21_23:
	s_branch .LBB21_21
	.section	.rodata,"a",@progbits
	.p2align	6, 0x0
	.amdhsa_kernel _ZN9rocsparseL19gebsrmvn_4xn_kernelILj128ELj6ELj8EfEEvi20rocsparse_direction_NS_24const_host_device_scalarIT2_EEPKiS6_PKS3_S8_S4_PS3_21rocsparse_index_base_b
		.amdhsa_group_segment_fixed_size 0
		.amdhsa_private_segment_fixed_size 0
		.amdhsa_kernarg_size 72
		.amdhsa_user_sgpr_count 2
		.amdhsa_user_sgpr_dispatch_ptr 0
		.amdhsa_user_sgpr_queue_ptr 0
		.amdhsa_user_sgpr_kernarg_segment_ptr 1
		.amdhsa_user_sgpr_dispatch_id 0
		.amdhsa_user_sgpr_kernarg_preload_length 0
		.amdhsa_user_sgpr_kernarg_preload_offset 0
		.amdhsa_user_sgpr_private_segment_size 0
		.amdhsa_uses_dynamic_stack 0
		.amdhsa_enable_private_segment 0
		.amdhsa_system_sgpr_workgroup_id_x 1
		.amdhsa_system_sgpr_workgroup_id_y 0
		.amdhsa_system_sgpr_workgroup_id_z 0
		.amdhsa_system_sgpr_workgroup_info 0
		.amdhsa_system_vgpr_workitem_id 0
		.amdhsa_next_free_vgpr 54
		.amdhsa_next_free_sgpr 20
		.amdhsa_accum_offset 56
		.amdhsa_reserve_vcc 1
		.amdhsa_float_round_mode_32 0
		.amdhsa_float_round_mode_16_64 0
		.amdhsa_float_denorm_mode_32 3
		.amdhsa_float_denorm_mode_16_64 3
		.amdhsa_dx10_clamp 1
		.amdhsa_ieee_mode 1
		.amdhsa_fp16_overflow 0
		.amdhsa_tg_split 0
		.amdhsa_exception_fp_ieee_invalid_op 0
		.amdhsa_exception_fp_denorm_src 0
		.amdhsa_exception_fp_ieee_div_zero 0
		.amdhsa_exception_fp_ieee_overflow 0
		.amdhsa_exception_fp_ieee_underflow 0
		.amdhsa_exception_fp_ieee_inexact 0
		.amdhsa_exception_int_div_zero 0
	.end_amdhsa_kernel
	.section	.text._ZN9rocsparseL19gebsrmvn_4xn_kernelILj128ELj6ELj8EfEEvi20rocsparse_direction_NS_24const_host_device_scalarIT2_EEPKiS6_PKS3_S8_S4_PS3_21rocsparse_index_base_b,"axG",@progbits,_ZN9rocsparseL19gebsrmvn_4xn_kernelILj128ELj6ELj8EfEEvi20rocsparse_direction_NS_24const_host_device_scalarIT2_EEPKiS6_PKS3_S8_S4_PS3_21rocsparse_index_base_b,comdat
.Lfunc_end21:
	.size	_ZN9rocsparseL19gebsrmvn_4xn_kernelILj128ELj6ELj8EfEEvi20rocsparse_direction_NS_24const_host_device_scalarIT2_EEPKiS6_PKS3_S8_S4_PS3_21rocsparse_index_base_b, .Lfunc_end21-_ZN9rocsparseL19gebsrmvn_4xn_kernelILj128ELj6ELj8EfEEvi20rocsparse_direction_NS_24const_host_device_scalarIT2_EEPKiS6_PKS3_S8_S4_PS3_21rocsparse_index_base_b
                                        ; -- End function
	.set _ZN9rocsparseL19gebsrmvn_4xn_kernelILj128ELj6ELj8EfEEvi20rocsparse_direction_NS_24const_host_device_scalarIT2_EEPKiS6_PKS3_S8_S4_PS3_21rocsparse_index_base_b.num_vgpr, 54
	.set _ZN9rocsparseL19gebsrmvn_4xn_kernelILj128ELj6ELj8EfEEvi20rocsparse_direction_NS_24const_host_device_scalarIT2_EEPKiS6_PKS3_S8_S4_PS3_21rocsparse_index_base_b.num_agpr, 0
	.set _ZN9rocsparseL19gebsrmvn_4xn_kernelILj128ELj6ELj8EfEEvi20rocsparse_direction_NS_24const_host_device_scalarIT2_EEPKiS6_PKS3_S8_S4_PS3_21rocsparse_index_base_b.numbered_sgpr, 20
	.set _ZN9rocsparseL19gebsrmvn_4xn_kernelILj128ELj6ELj8EfEEvi20rocsparse_direction_NS_24const_host_device_scalarIT2_EEPKiS6_PKS3_S8_S4_PS3_21rocsparse_index_base_b.num_named_barrier, 0
	.set _ZN9rocsparseL19gebsrmvn_4xn_kernelILj128ELj6ELj8EfEEvi20rocsparse_direction_NS_24const_host_device_scalarIT2_EEPKiS6_PKS3_S8_S4_PS3_21rocsparse_index_base_b.private_seg_size, 0
	.set _ZN9rocsparseL19gebsrmvn_4xn_kernelILj128ELj6ELj8EfEEvi20rocsparse_direction_NS_24const_host_device_scalarIT2_EEPKiS6_PKS3_S8_S4_PS3_21rocsparse_index_base_b.uses_vcc, 1
	.set _ZN9rocsparseL19gebsrmvn_4xn_kernelILj128ELj6ELj8EfEEvi20rocsparse_direction_NS_24const_host_device_scalarIT2_EEPKiS6_PKS3_S8_S4_PS3_21rocsparse_index_base_b.uses_flat_scratch, 0
	.set _ZN9rocsparseL19gebsrmvn_4xn_kernelILj128ELj6ELj8EfEEvi20rocsparse_direction_NS_24const_host_device_scalarIT2_EEPKiS6_PKS3_S8_S4_PS3_21rocsparse_index_base_b.has_dyn_sized_stack, 0
	.set _ZN9rocsparseL19gebsrmvn_4xn_kernelILj128ELj6ELj8EfEEvi20rocsparse_direction_NS_24const_host_device_scalarIT2_EEPKiS6_PKS3_S8_S4_PS3_21rocsparse_index_base_b.has_recursion, 0
	.set _ZN9rocsparseL19gebsrmvn_4xn_kernelILj128ELj6ELj8EfEEvi20rocsparse_direction_NS_24const_host_device_scalarIT2_EEPKiS6_PKS3_S8_S4_PS3_21rocsparse_index_base_b.has_indirect_call, 0
	.section	.AMDGPU.csdata,"",@progbits
; Kernel info:
; codeLenInByte = 1656
; TotalNumSgprs: 26
; NumVgprs: 54
; NumAgprs: 0
; TotalNumVgprs: 54
; ScratchSize: 0
; MemoryBound: 0
; FloatMode: 240
; IeeeMode: 1
; LDSByteSize: 0 bytes/workgroup (compile time only)
; SGPRBlocks: 3
; VGPRBlocks: 6
; NumSGPRsForWavesPerEU: 26
; NumVGPRsForWavesPerEU: 54
; AccumOffset: 56
; Occupancy: 8
; WaveLimiterHint : 1
; COMPUTE_PGM_RSRC2:SCRATCH_EN: 0
; COMPUTE_PGM_RSRC2:USER_SGPR: 2
; COMPUTE_PGM_RSRC2:TRAP_HANDLER: 0
; COMPUTE_PGM_RSRC2:TGID_X_EN: 1
; COMPUTE_PGM_RSRC2:TGID_Y_EN: 0
; COMPUTE_PGM_RSRC2:TGID_Z_EN: 0
; COMPUTE_PGM_RSRC2:TIDIG_COMP_CNT: 0
; COMPUTE_PGM_RSRC3_GFX90A:ACCUM_OFFSET: 13
; COMPUTE_PGM_RSRC3_GFX90A:TG_SPLIT: 0
	.section	.text._ZN9rocsparseL19gebsrmvn_4xn_kernelILj128ELj6ELj16EfEEvi20rocsparse_direction_NS_24const_host_device_scalarIT2_EEPKiS6_PKS3_S8_S4_PS3_21rocsparse_index_base_b,"axG",@progbits,_ZN9rocsparseL19gebsrmvn_4xn_kernelILj128ELj6ELj16EfEEvi20rocsparse_direction_NS_24const_host_device_scalarIT2_EEPKiS6_PKS3_S8_S4_PS3_21rocsparse_index_base_b,comdat
	.globl	_ZN9rocsparseL19gebsrmvn_4xn_kernelILj128ELj6ELj16EfEEvi20rocsparse_direction_NS_24const_host_device_scalarIT2_EEPKiS6_PKS3_S8_S4_PS3_21rocsparse_index_base_b ; -- Begin function _ZN9rocsparseL19gebsrmvn_4xn_kernelILj128ELj6ELj16EfEEvi20rocsparse_direction_NS_24const_host_device_scalarIT2_EEPKiS6_PKS3_S8_S4_PS3_21rocsparse_index_base_b
	.p2align	8
	.type	_ZN9rocsparseL19gebsrmvn_4xn_kernelILj128ELj6ELj16EfEEvi20rocsparse_direction_NS_24const_host_device_scalarIT2_EEPKiS6_PKS3_S8_S4_PS3_21rocsparse_index_base_b,@function
_ZN9rocsparseL19gebsrmvn_4xn_kernelILj128ELj6ELj16EfEEvi20rocsparse_direction_NS_24const_host_device_scalarIT2_EEPKiS6_PKS3_S8_S4_PS3_21rocsparse_index_base_b: ; @_ZN9rocsparseL19gebsrmvn_4xn_kernelILj128ELj6ELj16EfEEvi20rocsparse_direction_NS_24const_host_device_scalarIT2_EEPKiS6_PKS3_S8_S4_PS3_21rocsparse_index_base_b
; %bb.0:
	s_load_dwordx2 s[16:17], s[0:1], 0x40
	s_load_dwordx2 s[14:15], s[0:1], 0x8
	;; [unrolled: 1-line block ×3, first 2 shown]
	s_waitcnt lgkmcnt(0)
	s_bitcmp1_b32 s17, 0
	s_cselect_b64 s[6:7], -1, 0
	s_xor_b64 s[4:5], s[6:7], -1
	s_and_b64 vcc, exec, s[6:7]
	s_cbranch_vccnz .LBB22_2
; %bb.1:
	s_load_dword s14, s[14:15], 0x0
.LBB22_2:
	s_andn2_b64 vcc, exec, s[4:5]
	s_cbranch_vccnz .LBB22_4
; %bb.3:
	s_load_dword s12, s[12:13], 0x0
.LBB22_4:
	s_waitcnt lgkmcnt(0)
	v_cmp_eq_f32_e64 s[4:5], s14, 0
	v_cmp_eq_f32_e64 s[6:7], s12, 1.0
	s_and_b64 s[4:5], s[4:5], s[6:7]
	s_and_b64 vcc, exec, s[4:5]
	s_cbranch_vccnz .LBB22_22
; %bb.5:
	s_load_dwordx2 s[18:19], s[0:1], 0x0
	v_lshrrev_b32_e32 v1, 4, v0
	v_lshl_or_b32 v2, s2, 3, v1
	s_waitcnt lgkmcnt(0)
	v_cmp_gt_i32_e32 vcc, s18, v2
	s_and_saveexec_b64 s[2:3], vcc
	s_cbranch_execz .LBB22_22
; %bb.6:
	s_load_dwordx8 s[4:11], s[0:1], 0x10
	v_ashrrev_i32_e32 v3, 31, v2
	s_cmp_lg_u32 s19, 0
	s_waitcnt lgkmcnt(0)
	v_lshl_add_u64 v[4:5], v[2:3], 2, s[4:5]
	global_load_dwordx2 v[4:5], v[4:5], off
	v_and_b32_e32 v3, 15, v0
	s_waitcnt vmcnt(0)
	v_subrev_u32_e32 v0, s16, v4
	v_subrev_u32_e32 v14, s16, v5
	v_add_u32_e32 v4, v0, v3
	v_cmp_lt_i32_e64 s[2:3], v4, v14
	s_cbranch_scc0 .LBB22_12
; %bb.7:
	v_mov_b32_e32 v1, 0
	v_mov_b32_e32 v0, v1
	;; [unrolled: 1-line block ×4, first 2 shown]
	s_and_saveexec_b64 s[4:5], s[2:3]
	s_cbranch_execz .LBB22_11
; %bb.8:
	v_mad_u64_u32 v[8:9], s[18:19], v4, 24, 20
	v_mov_b32_e32 v11, 0
	s_mov_b64 s[18:19], 0
	v_mov_b32_e32 v12, v4
	v_mov_b32_e32 v0, v11
	v_mov_b32_e32 v1, v11
	v_mov_b32_e32 v6, v11
	v_mov_b32_e32 v7, v11
.LBB22_9:                               ; =>This Inner Loop Header: Depth=1
	v_ashrrev_i32_e32 v13, 31, v12
	v_lshl_add_u64 v[16:17], v[12:13], 2, s[6:7]
	global_load_dword v5, v[16:17], off
	v_subrev_u32_e32 v10, 20, v8
	v_mov_b32_e32 v29, v11
	v_lshl_add_u64 v[24:25], v[10:11], 2, s[8:9]
	v_add_u32_e32 v10, -12, v8
	global_load_dwordx4 v[16:19], v[24:25], off offset:16
	global_load_dwordx4 v[20:23], v[24:25], off
	v_lshl_add_u64 v[24:25], v[10:11], 2, s[8:9]
	global_load_dwordx4 v[24:27], v[24:25], off
	v_mov_b32_e32 v9, v11
	v_lshl_add_u64 v[40:41], v[8:9], 2, s[8:9]
	v_add_u32_e32 v12, 16, v12
	v_cmp_ge_i32_e32 vcc, v12, v14
	s_or_b64 s[18:19], vcc, s[18:19]
	s_waitcnt vmcnt(3)
	v_subrev_u32_e32 v5, s16, v5
	v_mul_lo_u32 v28, v5, 6
	v_lshl_add_u64 v[30:31], v[28:29], 2, s[10:11]
	v_add_u32_e32 v10, 2, v28
	global_load_dwordx2 v[42:43], v[30:31], off
	v_lshl_add_u64 v[30:31], v[10:11], 2, s[10:11]
	v_add_u32_e32 v10, -8, v8
	global_load_dwordx2 v[44:45], v[30:31], off
	v_lshl_add_u64 v[36:37], v[10:11], 2, s[8:9]
	v_add_u32_e32 v10, -4, v8
	v_lshl_add_u64 v[38:39], v[10:11], 2, s[8:9]
	v_add_u32_e32 v10, 4, v28
	global_load_dwordx4 v[28:31], v[36:37], off
	global_load_dwordx4 v[32:35], v[38:39], off
	v_lshl_add_u64 v[46:47], v[10:11], 2, s[10:11]
	global_load_dwordx2 v[48:49], v[46:47], off
	global_load_dwordx4 v[36:39], v[40:41], off
	v_add_u32_e32 v8, 0x180, v8
	s_waitcnt vmcnt(5)
	v_pk_fma_f32 v[6:7], v[20:21], v[42:43], v[6:7] op_sel_hi:[1,0,1]
	v_pk_fma_f32 v[0:1], v[22:23], v[42:43], v[0:1] op_sel_hi:[1,0,1]
	v_pk_fma_f32 v[6:7], v[16:17], v[42:43], v[6:7] op_sel:[0,1,0]
	v_pk_fma_f32 v[0:1], v[18:19], v[42:43], v[0:1] op_sel:[0,1,0]
	s_waitcnt vmcnt(4)
	v_pk_fma_f32 v[6:7], v[24:25], v[44:45], v[6:7] op_sel_hi:[1,0,1]
	v_pk_fma_f32 v[0:1], v[26:27], v[44:45], v[0:1] op_sel_hi:[1,0,1]
	s_waitcnt vmcnt(3)
	v_pk_fma_f32 v[6:7], v[28:29], v[44:45], v[6:7] op_sel:[0,1,0]
	v_pk_fma_f32 v[0:1], v[30:31], v[44:45], v[0:1] op_sel:[0,1,0]
	s_waitcnt vmcnt(1)
	v_pk_fma_f32 v[6:7], v[32:33], v[48:49], v[6:7] op_sel_hi:[1,0,1]
	v_pk_fma_f32 v[0:1], v[34:35], v[48:49], v[0:1] op_sel_hi:[1,0,1]
	s_waitcnt vmcnt(0)
	v_pk_fma_f32 v[6:7], v[36:37], v[48:49], v[6:7] op_sel:[0,1,0]
	v_pk_fma_f32 v[0:1], v[38:39], v[48:49], v[0:1] op_sel:[0,1,0]
	s_andn2_b64 exec, exec, s[18:19]
	s_cbranch_execnz .LBB22_9
; %bb.10:
	s_or_b64 exec, exec, s[18:19]
.LBB22_11:
	s_or_b64 exec, exec, s[4:5]
	s_cbranch_execz .LBB22_13
	s_branch .LBB22_18
.LBB22_12:
                                        ; implicit-def: $vgpr1
                                        ; implicit-def: $vgpr7
.LBB22_13:
	v_mov_b32_e32 v1, 0
	v_mov_b32_e32 v0, v1
	v_mov_b32_e32 v7, v1
	v_mov_b32_e32 v6, v1
	s_and_saveexec_b64 s[4:5], s[2:3]
	s_cbranch_execz .LBB22_17
; %bb.14:
	v_mad_u64_u32 v[8:9], s[2:3], v4, 24, 23
	v_mov_b32_e32 v11, 0
	s_mov_b64 s[2:3], 0
	v_mov_b32_e32 v0, v11
	v_mov_b32_e32 v1, v11
	;; [unrolled: 1-line block ×4, first 2 shown]
.LBB22_15:                              ; =>This Inner Loop Header: Depth=1
	v_ashrrev_i32_e32 v5, 31, v4
	v_lshl_add_u64 v[12:13], v[4:5], 2, s[6:7]
	global_load_dword v5, v[12:13], off
	v_subrev_u32_e32 v10, 23, v8
	v_add_u32_e32 v12, -11, v8
	v_mov_b32_e32 v13, v11
	v_add_u32_e32 v16, -5, v8
	v_mov_b32_e32 v17, v11
	v_lshl_add_u64 v[22:23], v[10:11], 2, s[8:9]
	v_lshl_add_u64 v[12:13], v[12:13], 2, s[8:9]
	v_add_u32_e32 v10, -10, v8
	v_lshl_add_u64 v[24:25], v[16:17], 2, s[8:9]
	global_load_dwordx4 v[16:19], v[22:23], off offset:16
	global_load_dwordx4 v[50:53], v[22:23], off
	global_load_dword v28, v[12:13], off
	global_load_dword v29, v[24:25], off
	v_lshl_add_u64 v[12:13], v[10:11], 2, s[8:9]
	v_add_u32_e32 v10, -4, v8
	v_lshl_add_u64 v[22:23], v[10:11], 2, s[8:9]
	global_load_dword v24, v[12:13], off
	global_load_dword v25, v[22:23], off
	v_mov_b32_e32 v21, v11
	v_mov_b32_e32 v9, v11
	v_lshl_add_u64 v[26:27], v[8:9], 2, s[8:9]
	v_add_u32_e32 v4, 16, v4
	v_cmp_ge_i32_e32 vcc, v4, v14
	s_or_b64 s[2:3], vcc, s[2:3]
	s_waitcnt vmcnt(6)
	v_subrev_u32_e32 v5, s16, v5
	v_mul_lo_u32 v20, v5, 6
	v_add_u32_e32 v10, 2, v20
	v_lshl_add_u64 v[22:23], v[10:11], 2, s[10:11]
	v_add_u32_e32 v10, -15, v8
	v_lshl_add_u64 v[30:31], v[10:11], 2, s[8:9]
	v_add_u32_e32 v10, -9, v8
	v_lshl_add_u64 v[12:13], v[20:21], 2, s[10:11]
	v_lshl_add_u64 v[32:33], v[10:11], 2, s[8:9]
	v_add_u32_e32 v10, -3, v8
	global_load_dwordx2 v[12:13], v[12:13], off
	s_waitcnt vmcnt(5)
	v_mov_b32_e32 v36, v53
	global_load_dwordx2 v[22:23], v[22:23], off
	s_nop 0
	global_load_dword v21, v[30:31], off
	global_load_dword v34, v[32:33], off
	v_lshl_add_u64 v[30:31], v[10:11], 2, s[8:9]
	v_add_u32_e32 v10, -14, v8
	v_lshl_add_u64 v[32:33], v[10:11], 2, s[8:9]
	v_add_u32_e32 v10, -8, v8
	global_load_dword v35, v[30:31], off
	global_load_dword v37, v[32:33], off
	v_lshl_add_u64 v[30:31], v[10:11], 2, s[8:9]
	v_add_u32_e32 v10, -2, v8
	v_lshl_add_u64 v[32:33], v[10:11], 2, s[8:9]
	v_add_u32_e32 v10, 4, v20
	global_load_dword v38, v[30:31], off
	global_load_dword v39, v[32:33], off
	v_lshl_add_u64 v[30:31], v[10:11], 2, s[10:11]
	v_add_u32_e32 v10, -13, v8
	v_lshl_add_u64 v[32:33], v[10:11], 2, s[8:9]
	v_add_u32_e32 v10, -7, v8
	v_lshl_add_u64 v[40:41], v[10:11], 2, s[8:9]
	v_add_u32_e32 v10, -1, v8
	v_lshl_add_u64 v[42:43], v[10:11], 2, s[8:9]
	v_add_u32_e32 v10, -12, v8
	global_load_dwordx2 v[30:31], v[30:31], off
	v_mov_b32_e32 v20, v52
	global_load_dword v33, v[32:33], off
	s_nop 0
	global_load_dword v44, v[40:41], off
	global_load_dword v45, v[42:43], off
	v_lshl_add_u64 v[40:41], v[10:11], 2, s[8:9]
	v_add_u32_e32 v10, -6, v8
	v_lshl_add_u64 v[42:43], v[10:11], 2, s[8:9]
	global_load_dword v47, v[40:41], off
	global_load_dword v48, v[42:43], off
	;; [unrolled: 1-line block ×3, first 2 shown]
	v_mov_b32_e32 v26, v50
	v_mov_b32_e32 v27, v18
	;; [unrolled: 1-line block ×5, first 2 shown]
	v_add_u32_e32 v8, 0x180, v8
	s_waitcnt vmcnt(14)
	v_pk_fma_f32 v[6:7], v[26:27], v[12:13], v[6:7] op_sel_hi:[1,0,1]
	v_pk_fma_f32 v[0:1], v[28:29], v[12:13], v[0:1] op_sel_hi:[1,0,1]
	v_pk_fma_f32 v[6:7], v[18:19], v[12:13], v[6:7] op_sel:[0,1,0]
	v_pk_fma_f32 v[0:1], v[24:25], v[12:13], v[0:1] op_sel:[0,1,0]
	s_waitcnt vmcnt(12)
	v_pk_fma_f32 v[6:7], v[20:21], v[22:23], v[6:7] op_sel_hi:[1,0,1]
	s_waitcnt vmcnt(10)
	v_pk_fma_f32 v[0:1], v[34:35], v[22:23], v[0:1] op_sel_hi:[1,0,1]
	s_waitcnt vmcnt(9)
	v_pk_fma_f32 v[6:7], v[36:37], v[22:23], v[6:7] op_sel:[0,1,0]
	s_waitcnt vmcnt(7)
	v_pk_fma_f32 v[0:1], v[38:39], v[22:23], v[0:1] op_sel:[0,1,0]
	s_waitcnt vmcnt(5)
	v_pk_fma_f32 v[6:7], v[32:33], v[30:31], v[6:7] op_sel_hi:[1,0,1]
	s_waitcnt vmcnt(3)
	v_pk_fma_f32 v[0:1], v[44:45], v[30:31], v[0:1] op_sel_hi:[1,0,1]
	s_waitcnt vmcnt(2)
	v_pk_fma_f32 v[6:7], v[46:47], v[30:31], v[6:7] op_sel:[0,1,0]
	s_waitcnt vmcnt(0)
	v_pk_fma_f32 v[0:1], v[48:49], v[30:31], v[0:1] op_sel:[0,1,0]
	s_andn2_b64 exec, exec, s[2:3]
	s_cbranch_execnz .LBB22_15
; %bb.16:
	s_or_b64 exec, exec, s[2:3]
.LBB22_17:
	s_or_b64 exec, exec, s[4:5]
.LBB22_18:
	v_mov_b32_dpp v4, v6 row_shr:1 row_mask:0xf bank_mask:0xf
	v_mov_b32_dpp v5, v7 row_shr:1 row_mask:0xf bank_mask:0xf
	;; [unrolled: 1-line block ×4, first 2 shown]
	v_pk_add_f32 v[4:5], v[6:7], v[4:5]
	v_pk_add_f32 v[0:1], v[0:1], v[8:9]
	v_cmp_eq_u32_e32 vcc, 15, v3
	v_mov_b32_dpp v6, v4 row_shr:2 row_mask:0xf bank_mask:0xf
	v_mov_b32_dpp v7, v5 row_shr:2 row_mask:0xf bank_mask:0xf
	v_mov_b32_dpp v8, v0 row_shr:2 row_mask:0xf bank_mask:0xf
	v_mov_b32_dpp v9, v1 row_shr:2 row_mask:0xf bank_mask:0xf
	v_pk_add_f32 v[4:5], v[4:5], v[6:7]
	v_pk_add_f32 v[0:1], v[0:1], v[8:9]
	s_nop 0
	v_mov_b32_dpp v6, v4 row_shr:4 row_mask:0xf bank_mask:0xe
	v_mov_b32_dpp v7, v5 row_shr:4 row_mask:0xf bank_mask:0xe
	;; [unrolled: 1-line block ×4, first 2 shown]
	v_pk_add_f32 v[4:5], v[4:5], v[6:7]
	v_pk_add_f32 v[0:1], v[0:1], v[8:9]
	s_nop 0
	v_mov_b32_dpp v6, v4 row_shr:8 row_mask:0xf bank_mask:0xc
	v_mov_b32_dpp v7, v5 row_shr:8 row_mask:0xf bank_mask:0xc
	;; [unrolled: 1-line block ×4, first 2 shown]
	s_and_b64 exec, exec, vcc
	s_cbranch_execz .LBB22_22
; %bb.19:
	s_load_dwordx2 s[0:1], s[0:1], 0x38
	v_cmp_eq_f32_e64 s[2:3], s12, 0
	v_pk_add_f32 v[4:5], v[4:5], v[6:7]
	v_pk_add_f32 v[0:1], v[0:1], v[8:9]
	s_and_b64 vcc, exec, s[2:3]
	v_lshlrev_b32_e32 v2, 2, v2
	s_cbranch_vccz .LBB22_23
; %bb.20:
	v_ashrrev_i32_e32 v3, 31, v2
	s_waitcnt lgkmcnt(0)
	v_lshl_add_u64 v[10:11], v[2:3], 2, s[0:1]
	v_pk_mul_f32 v[6:7], s[14:15], v[4:5] op_sel_hi:[0,1]
	v_pk_mul_f32 v[8:9], s[14:15], v[0:1] op_sel_hi:[0,1]
	global_store_dwordx4 v[10:11], v[6:9], off
	s_cbranch_execnz .LBB22_22
.LBB22_21:
	v_ashrrev_i32_e32 v3, 31, v2
	s_waitcnt lgkmcnt(0)
	v_lshl_add_u64 v[10:11], v[2:3], 2, s[0:1]
	global_load_dwordx4 v[6:9], v[10:11], off
	v_pk_mul_f32 v[2:3], s[14:15], v[4:5] op_sel_hi:[0,1]
	v_pk_mul_f32 v[4:5], s[14:15], v[0:1] op_sel_hi:[0,1]
	s_waitcnt vmcnt(0)
	v_pk_fma_f32 v[0:1], s[12:13], v[6:7], v[2:3] op_sel_hi:[0,1,1]
	v_pk_fma_f32 v[2:3], s[12:13], v[8:9], v[4:5] op_sel_hi:[0,1,1]
	global_store_dwordx4 v[10:11], v[0:3], off
.LBB22_22:
	s_endpgm
.LBB22_23:
	s_branch .LBB22_21
	.section	.rodata,"a",@progbits
	.p2align	6, 0x0
	.amdhsa_kernel _ZN9rocsparseL19gebsrmvn_4xn_kernelILj128ELj6ELj16EfEEvi20rocsparse_direction_NS_24const_host_device_scalarIT2_EEPKiS6_PKS3_S8_S4_PS3_21rocsparse_index_base_b
		.amdhsa_group_segment_fixed_size 0
		.amdhsa_private_segment_fixed_size 0
		.amdhsa_kernarg_size 72
		.amdhsa_user_sgpr_count 2
		.amdhsa_user_sgpr_dispatch_ptr 0
		.amdhsa_user_sgpr_queue_ptr 0
		.amdhsa_user_sgpr_kernarg_segment_ptr 1
		.amdhsa_user_sgpr_dispatch_id 0
		.amdhsa_user_sgpr_kernarg_preload_length 0
		.amdhsa_user_sgpr_kernarg_preload_offset 0
		.amdhsa_user_sgpr_private_segment_size 0
		.amdhsa_uses_dynamic_stack 0
		.amdhsa_enable_private_segment 0
		.amdhsa_system_sgpr_workgroup_id_x 1
		.amdhsa_system_sgpr_workgroup_id_y 0
		.amdhsa_system_sgpr_workgroup_id_z 0
		.amdhsa_system_sgpr_workgroup_info 0
		.amdhsa_system_vgpr_workitem_id 0
		.amdhsa_next_free_vgpr 54
		.amdhsa_next_free_sgpr 20
		.amdhsa_accum_offset 56
		.amdhsa_reserve_vcc 1
		.amdhsa_float_round_mode_32 0
		.amdhsa_float_round_mode_16_64 0
		.amdhsa_float_denorm_mode_32 3
		.amdhsa_float_denorm_mode_16_64 3
		.amdhsa_dx10_clamp 1
		.amdhsa_ieee_mode 1
		.amdhsa_fp16_overflow 0
		.amdhsa_tg_split 0
		.amdhsa_exception_fp_ieee_invalid_op 0
		.amdhsa_exception_fp_denorm_src 0
		.amdhsa_exception_fp_ieee_div_zero 0
		.amdhsa_exception_fp_ieee_overflow 0
		.amdhsa_exception_fp_ieee_underflow 0
		.amdhsa_exception_fp_ieee_inexact 0
		.amdhsa_exception_int_div_zero 0
	.end_amdhsa_kernel
	.section	.text._ZN9rocsparseL19gebsrmvn_4xn_kernelILj128ELj6ELj16EfEEvi20rocsparse_direction_NS_24const_host_device_scalarIT2_EEPKiS6_PKS3_S8_S4_PS3_21rocsparse_index_base_b,"axG",@progbits,_ZN9rocsparseL19gebsrmvn_4xn_kernelILj128ELj6ELj16EfEEvi20rocsparse_direction_NS_24const_host_device_scalarIT2_EEPKiS6_PKS3_S8_S4_PS3_21rocsparse_index_base_b,comdat
.Lfunc_end22:
	.size	_ZN9rocsparseL19gebsrmvn_4xn_kernelILj128ELj6ELj16EfEEvi20rocsparse_direction_NS_24const_host_device_scalarIT2_EEPKiS6_PKS3_S8_S4_PS3_21rocsparse_index_base_b, .Lfunc_end22-_ZN9rocsparseL19gebsrmvn_4xn_kernelILj128ELj6ELj16EfEEvi20rocsparse_direction_NS_24const_host_device_scalarIT2_EEPKiS6_PKS3_S8_S4_PS3_21rocsparse_index_base_b
                                        ; -- End function
	.set _ZN9rocsparseL19gebsrmvn_4xn_kernelILj128ELj6ELj16EfEEvi20rocsparse_direction_NS_24const_host_device_scalarIT2_EEPKiS6_PKS3_S8_S4_PS3_21rocsparse_index_base_b.num_vgpr, 54
	.set _ZN9rocsparseL19gebsrmvn_4xn_kernelILj128ELj6ELj16EfEEvi20rocsparse_direction_NS_24const_host_device_scalarIT2_EEPKiS6_PKS3_S8_S4_PS3_21rocsparse_index_base_b.num_agpr, 0
	.set _ZN9rocsparseL19gebsrmvn_4xn_kernelILj128ELj6ELj16EfEEvi20rocsparse_direction_NS_24const_host_device_scalarIT2_EEPKiS6_PKS3_S8_S4_PS3_21rocsparse_index_base_b.numbered_sgpr, 20
	.set _ZN9rocsparseL19gebsrmvn_4xn_kernelILj128ELj6ELj16EfEEvi20rocsparse_direction_NS_24const_host_device_scalarIT2_EEPKiS6_PKS3_S8_S4_PS3_21rocsparse_index_base_b.num_named_barrier, 0
	.set _ZN9rocsparseL19gebsrmvn_4xn_kernelILj128ELj6ELj16EfEEvi20rocsparse_direction_NS_24const_host_device_scalarIT2_EEPKiS6_PKS3_S8_S4_PS3_21rocsparse_index_base_b.private_seg_size, 0
	.set _ZN9rocsparseL19gebsrmvn_4xn_kernelILj128ELj6ELj16EfEEvi20rocsparse_direction_NS_24const_host_device_scalarIT2_EEPKiS6_PKS3_S8_S4_PS3_21rocsparse_index_base_b.uses_vcc, 1
	.set _ZN9rocsparseL19gebsrmvn_4xn_kernelILj128ELj6ELj16EfEEvi20rocsparse_direction_NS_24const_host_device_scalarIT2_EEPKiS6_PKS3_S8_S4_PS3_21rocsparse_index_base_b.uses_flat_scratch, 0
	.set _ZN9rocsparseL19gebsrmvn_4xn_kernelILj128ELj6ELj16EfEEvi20rocsparse_direction_NS_24const_host_device_scalarIT2_EEPKiS6_PKS3_S8_S4_PS3_21rocsparse_index_base_b.has_dyn_sized_stack, 0
	.set _ZN9rocsparseL19gebsrmvn_4xn_kernelILj128ELj6ELj16EfEEvi20rocsparse_direction_NS_24const_host_device_scalarIT2_EEPKiS6_PKS3_S8_S4_PS3_21rocsparse_index_base_b.has_recursion, 0
	.set _ZN9rocsparseL19gebsrmvn_4xn_kernelILj128ELj6ELj16EfEEvi20rocsparse_direction_NS_24const_host_device_scalarIT2_EEPKiS6_PKS3_S8_S4_PS3_21rocsparse_index_base_b.has_indirect_call, 0
	.section	.AMDGPU.csdata,"",@progbits
; Kernel info:
; codeLenInByte = 1708
; TotalNumSgprs: 26
; NumVgprs: 54
; NumAgprs: 0
; TotalNumVgprs: 54
; ScratchSize: 0
; MemoryBound: 0
; FloatMode: 240
; IeeeMode: 1
; LDSByteSize: 0 bytes/workgroup (compile time only)
; SGPRBlocks: 3
; VGPRBlocks: 6
; NumSGPRsForWavesPerEU: 26
; NumVGPRsForWavesPerEU: 54
; AccumOffset: 56
; Occupancy: 8
; WaveLimiterHint : 1
; COMPUTE_PGM_RSRC2:SCRATCH_EN: 0
; COMPUTE_PGM_RSRC2:USER_SGPR: 2
; COMPUTE_PGM_RSRC2:TRAP_HANDLER: 0
; COMPUTE_PGM_RSRC2:TGID_X_EN: 1
; COMPUTE_PGM_RSRC2:TGID_Y_EN: 0
; COMPUTE_PGM_RSRC2:TGID_Z_EN: 0
; COMPUTE_PGM_RSRC2:TIDIG_COMP_CNT: 0
; COMPUTE_PGM_RSRC3_GFX90A:ACCUM_OFFSET: 13
; COMPUTE_PGM_RSRC3_GFX90A:TG_SPLIT: 0
	.section	.text._ZN9rocsparseL19gebsrmvn_4xn_kernelILj128ELj6ELj32EfEEvi20rocsparse_direction_NS_24const_host_device_scalarIT2_EEPKiS6_PKS3_S8_S4_PS3_21rocsparse_index_base_b,"axG",@progbits,_ZN9rocsparseL19gebsrmvn_4xn_kernelILj128ELj6ELj32EfEEvi20rocsparse_direction_NS_24const_host_device_scalarIT2_EEPKiS6_PKS3_S8_S4_PS3_21rocsparse_index_base_b,comdat
	.globl	_ZN9rocsparseL19gebsrmvn_4xn_kernelILj128ELj6ELj32EfEEvi20rocsparse_direction_NS_24const_host_device_scalarIT2_EEPKiS6_PKS3_S8_S4_PS3_21rocsparse_index_base_b ; -- Begin function _ZN9rocsparseL19gebsrmvn_4xn_kernelILj128ELj6ELj32EfEEvi20rocsparse_direction_NS_24const_host_device_scalarIT2_EEPKiS6_PKS3_S8_S4_PS3_21rocsparse_index_base_b
	.p2align	8
	.type	_ZN9rocsparseL19gebsrmvn_4xn_kernelILj128ELj6ELj32EfEEvi20rocsparse_direction_NS_24const_host_device_scalarIT2_EEPKiS6_PKS3_S8_S4_PS3_21rocsparse_index_base_b,@function
_ZN9rocsparseL19gebsrmvn_4xn_kernelILj128ELj6ELj32EfEEvi20rocsparse_direction_NS_24const_host_device_scalarIT2_EEPKiS6_PKS3_S8_S4_PS3_21rocsparse_index_base_b: ; @_ZN9rocsparseL19gebsrmvn_4xn_kernelILj128ELj6ELj32EfEEvi20rocsparse_direction_NS_24const_host_device_scalarIT2_EEPKiS6_PKS3_S8_S4_PS3_21rocsparse_index_base_b
; %bb.0:
	s_load_dwordx2 s[16:17], s[0:1], 0x40
	s_load_dwordx2 s[14:15], s[0:1], 0x8
	;; [unrolled: 1-line block ×3, first 2 shown]
	s_waitcnt lgkmcnt(0)
	s_bitcmp1_b32 s17, 0
	s_cselect_b64 s[6:7], -1, 0
	s_xor_b64 s[4:5], s[6:7], -1
	s_and_b64 vcc, exec, s[6:7]
	s_cbranch_vccnz .LBB23_2
; %bb.1:
	s_load_dword s14, s[14:15], 0x0
.LBB23_2:
	s_andn2_b64 vcc, exec, s[4:5]
	s_cbranch_vccnz .LBB23_4
; %bb.3:
	s_load_dword s12, s[12:13], 0x0
.LBB23_4:
	s_waitcnt lgkmcnt(0)
	v_cmp_eq_f32_e64 s[4:5], s14, 0
	v_cmp_eq_f32_e64 s[6:7], s12, 1.0
	s_and_b64 s[4:5], s[4:5], s[6:7]
	s_and_b64 vcc, exec, s[4:5]
	s_cbranch_vccnz .LBB23_22
; %bb.5:
	s_load_dwordx2 s[18:19], s[0:1], 0x0
	v_lshrrev_b32_e32 v1, 5, v0
	v_lshl_or_b32 v2, s2, 2, v1
	s_waitcnt lgkmcnt(0)
	v_cmp_gt_i32_e32 vcc, s18, v2
	s_and_saveexec_b64 s[2:3], vcc
	s_cbranch_execz .LBB23_22
; %bb.6:
	s_load_dwordx8 s[4:11], s[0:1], 0x10
	v_ashrrev_i32_e32 v3, 31, v2
	s_cmp_lg_u32 s19, 0
	s_waitcnt lgkmcnt(0)
	v_lshl_add_u64 v[4:5], v[2:3], 2, s[4:5]
	global_load_dwordx2 v[4:5], v[4:5], off
	v_and_b32_e32 v3, 31, v0
	s_waitcnt vmcnt(0)
	v_subrev_u32_e32 v0, s16, v4
	v_subrev_u32_e32 v14, s16, v5
	v_add_u32_e32 v4, v0, v3
	v_cmp_lt_i32_e64 s[2:3], v4, v14
	s_cbranch_scc0 .LBB23_12
; %bb.7:
	v_mov_b32_e32 v1, 0
	v_mov_b32_e32 v0, v1
	;; [unrolled: 1-line block ×4, first 2 shown]
	s_and_saveexec_b64 s[4:5], s[2:3]
	s_cbranch_execz .LBB23_11
; %bb.8:
	v_mad_u64_u32 v[8:9], s[18:19], v4, 24, 20
	v_mov_b32_e32 v11, 0
	s_mov_b64 s[18:19], 0
	v_mov_b32_e32 v12, v4
	v_mov_b32_e32 v0, v11
	;; [unrolled: 1-line block ×5, first 2 shown]
.LBB23_9:                               ; =>This Inner Loop Header: Depth=1
	v_ashrrev_i32_e32 v13, 31, v12
	v_lshl_add_u64 v[16:17], v[12:13], 2, s[6:7]
	global_load_dword v5, v[16:17], off
	v_subrev_u32_e32 v10, 20, v8
	v_mov_b32_e32 v29, v11
	v_lshl_add_u64 v[24:25], v[10:11], 2, s[8:9]
	v_add_u32_e32 v10, -12, v8
	global_load_dwordx4 v[16:19], v[24:25], off offset:16
	global_load_dwordx4 v[20:23], v[24:25], off
	v_lshl_add_u64 v[24:25], v[10:11], 2, s[8:9]
	global_load_dwordx4 v[24:27], v[24:25], off
	v_mov_b32_e32 v9, v11
	v_lshl_add_u64 v[40:41], v[8:9], 2, s[8:9]
	v_add_u32_e32 v12, 32, v12
	v_cmp_ge_i32_e32 vcc, v12, v14
	s_or_b64 s[18:19], vcc, s[18:19]
	s_waitcnt vmcnt(3)
	v_subrev_u32_e32 v5, s16, v5
	v_mul_lo_u32 v28, v5, 6
	v_lshl_add_u64 v[30:31], v[28:29], 2, s[10:11]
	v_add_u32_e32 v10, 2, v28
	global_load_dwordx2 v[42:43], v[30:31], off
	v_lshl_add_u64 v[30:31], v[10:11], 2, s[10:11]
	v_add_u32_e32 v10, -8, v8
	global_load_dwordx2 v[44:45], v[30:31], off
	v_lshl_add_u64 v[36:37], v[10:11], 2, s[8:9]
	v_add_u32_e32 v10, -4, v8
	v_lshl_add_u64 v[38:39], v[10:11], 2, s[8:9]
	v_add_u32_e32 v10, 4, v28
	global_load_dwordx4 v[28:31], v[36:37], off
	global_load_dwordx4 v[32:35], v[38:39], off
	v_lshl_add_u64 v[46:47], v[10:11], 2, s[10:11]
	global_load_dwordx2 v[48:49], v[46:47], off
	global_load_dwordx4 v[36:39], v[40:41], off
	v_add_u32_e32 v8, 0x300, v8
	s_waitcnt vmcnt(5)
	v_pk_fma_f32 v[6:7], v[20:21], v[42:43], v[6:7] op_sel_hi:[1,0,1]
	v_pk_fma_f32 v[0:1], v[22:23], v[42:43], v[0:1] op_sel_hi:[1,0,1]
	v_pk_fma_f32 v[6:7], v[16:17], v[42:43], v[6:7] op_sel:[0,1,0]
	v_pk_fma_f32 v[0:1], v[18:19], v[42:43], v[0:1] op_sel:[0,1,0]
	s_waitcnt vmcnt(4)
	v_pk_fma_f32 v[6:7], v[24:25], v[44:45], v[6:7] op_sel_hi:[1,0,1]
	v_pk_fma_f32 v[0:1], v[26:27], v[44:45], v[0:1] op_sel_hi:[1,0,1]
	s_waitcnt vmcnt(3)
	v_pk_fma_f32 v[6:7], v[28:29], v[44:45], v[6:7] op_sel:[0,1,0]
	v_pk_fma_f32 v[0:1], v[30:31], v[44:45], v[0:1] op_sel:[0,1,0]
	s_waitcnt vmcnt(1)
	v_pk_fma_f32 v[6:7], v[32:33], v[48:49], v[6:7] op_sel_hi:[1,0,1]
	v_pk_fma_f32 v[0:1], v[34:35], v[48:49], v[0:1] op_sel_hi:[1,0,1]
	s_waitcnt vmcnt(0)
	v_pk_fma_f32 v[6:7], v[36:37], v[48:49], v[6:7] op_sel:[0,1,0]
	v_pk_fma_f32 v[0:1], v[38:39], v[48:49], v[0:1] op_sel:[0,1,0]
	s_andn2_b64 exec, exec, s[18:19]
	s_cbranch_execnz .LBB23_9
; %bb.10:
	s_or_b64 exec, exec, s[18:19]
.LBB23_11:
	s_or_b64 exec, exec, s[4:5]
	s_cbranch_execz .LBB23_13
	s_branch .LBB23_18
.LBB23_12:
                                        ; implicit-def: $vgpr1
                                        ; implicit-def: $vgpr7
.LBB23_13:
	v_mov_b32_e32 v1, 0
	v_mov_b32_e32 v0, v1
	;; [unrolled: 1-line block ×4, first 2 shown]
	s_and_saveexec_b64 s[4:5], s[2:3]
	s_cbranch_execz .LBB23_17
; %bb.14:
	v_mad_u64_u32 v[8:9], s[2:3], v4, 24, 23
	v_mov_b32_e32 v11, 0
	s_mov_b64 s[2:3], 0
	v_mov_b32_e32 v0, v11
	v_mov_b32_e32 v1, v11
	;; [unrolled: 1-line block ×4, first 2 shown]
.LBB23_15:                              ; =>This Inner Loop Header: Depth=1
	v_ashrrev_i32_e32 v5, 31, v4
	v_lshl_add_u64 v[12:13], v[4:5], 2, s[6:7]
	global_load_dword v5, v[12:13], off
	v_subrev_u32_e32 v10, 23, v8
	v_add_u32_e32 v12, -11, v8
	v_mov_b32_e32 v13, v11
	v_add_u32_e32 v16, -5, v8
	v_mov_b32_e32 v17, v11
	v_lshl_add_u64 v[22:23], v[10:11], 2, s[8:9]
	v_lshl_add_u64 v[12:13], v[12:13], 2, s[8:9]
	v_add_u32_e32 v10, -10, v8
	v_lshl_add_u64 v[24:25], v[16:17], 2, s[8:9]
	global_load_dwordx4 v[16:19], v[22:23], off offset:16
	global_load_dwordx4 v[50:53], v[22:23], off
	global_load_dword v28, v[12:13], off
	global_load_dword v29, v[24:25], off
	v_lshl_add_u64 v[12:13], v[10:11], 2, s[8:9]
	v_add_u32_e32 v10, -4, v8
	v_lshl_add_u64 v[22:23], v[10:11], 2, s[8:9]
	global_load_dword v24, v[12:13], off
	global_load_dword v25, v[22:23], off
	v_mov_b32_e32 v21, v11
	v_mov_b32_e32 v9, v11
	v_lshl_add_u64 v[26:27], v[8:9], 2, s[8:9]
	v_add_u32_e32 v4, 32, v4
	v_cmp_ge_i32_e32 vcc, v4, v14
	s_or_b64 s[2:3], vcc, s[2:3]
	s_waitcnt vmcnt(6)
	v_subrev_u32_e32 v5, s16, v5
	v_mul_lo_u32 v20, v5, 6
	v_add_u32_e32 v10, 2, v20
	v_lshl_add_u64 v[22:23], v[10:11], 2, s[10:11]
	v_add_u32_e32 v10, -15, v8
	v_lshl_add_u64 v[30:31], v[10:11], 2, s[8:9]
	v_add_u32_e32 v10, -9, v8
	v_lshl_add_u64 v[12:13], v[20:21], 2, s[10:11]
	v_lshl_add_u64 v[32:33], v[10:11], 2, s[8:9]
	v_add_u32_e32 v10, -3, v8
	global_load_dwordx2 v[12:13], v[12:13], off
	s_waitcnt vmcnt(5)
	v_mov_b32_e32 v36, v53
	global_load_dwordx2 v[22:23], v[22:23], off
	s_nop 0
	global_load_dword v21, v[30:31], off
	global_load_dword v34, v[32:33], off
	v_lshl_add_u64 v[30:31], v[10:11], 2, s[8:9]
	v_add_u32_e32 v10, -14, v8
	v_lshl_add_u64 v[32:33], v[10:11], 2, s[8:9]
	v_add_u32_e32 v10, -8, v8
	global_load_dword v35, v[30:31], off
	global_load_dword v37, v[32:33], off
	v_lshl_add_u64 v[30:31], v[10:11], 2, s[8:9]
	v_add_u32_e32 v10, -2, v8
	v_lshl_add_u64 v[32:33], v[10:11], 2, s[8:9]
	v_add_u32_e32 v10, 4, v20
	global_load_dword v38, v[30:31], off
	global_load_dword v39, v[32:33], off
	v_lshl_add_u64 v[30:31], v[10:11], 2, s[10:11]
	v_add_u32_e32 v10, -13, v8
	v_lshl_add_u64 v[32:33], v[10:11], 2, s[8:9]
	v_add_u32_e32 v10, -7, v8
	;; [unrolled: 2-line block ×4, first 2 shown]
	global_load_dwordx2 v[30:31], v[30:31], off
	v_mov_b32_e32 v20, v52
	global_load_dword v33, v[32:33], off
	s_nop 0
	global_load_dword v44, v[40:41], off
	global_load_dword v45, v[42:43], off
	v_lshl_add_u64 v[40:41], v[10:11], 2, s[8:9]
	v_add_u32_e32 v10, -6, v8
	v_lshl_add_u64 v[42:43], v[10:11], 2, s[8:9]
	global_load_dword v47, v[40:41], off
	global_load_dword v48, v[42:43], off
	;; [unrolled: 1-line block ×3, first 2 shown]
	v_mov_b32_e32 v26, v50
	v_mov_b32_e32 v27, v18
	;; [unrolled: 1-line block ×5, first 2 shown]
	v_add_u32_e32 v8, 0x300, v8
	s_waitcnt vmcnt(14)
	v_pk_fma_f32 v[6:7], v[26:27], v[12:13], v[6:7] op_sel_hi:[1,0,1]
	v_pk_fma_f32 v[0:1], v[28:29], v[12:13], v[0:1] op_sel_hi:[1,0,1]
	v_pk_fma_f32 v[6:7], v[18:19], v[12:13], v[6:7] op_sel:[0,1,0]
	v_pk_fma_f32 v[0:1], v[24:25], v[12:13], v[0:1] op_sel:[0,1,0]
	s_waitcnt vmcnt(12)
	v_pk_fma_f32 v[6:7], v[20:21], v[22:23], v[6:7] op_sel_hi:[1,0,1]
	s_waitcnt vmcnt(10)
	v_pk_fma_f32 v[0:1], v[34:35], v[22:23], v[0:1] op_sel_hi:[1,0,1]
	s_waitcnt vmcnt(9)
	v_pk_fma_f32 v[6:7], v[36:37], v[22:23], v[6:7] op_sel:[0,1,0]
	s_waitcnt vmcnt(7)
	v_pk_fma_f32 v[0:1], v[38:39], v[22:23], v[0:1] op_sel:[0,1,0]
	s_waitcnt vmcnt(5)
	v_pk_fma_f32 v[6:7], v[32:33], v[30:31], v[6:7] op_sel_hi:[1,0,1]
	s_waitcnt vmcnt(3)
	v_pk_fma_f32 v[0:1], v[44:45], v[30:31], v[0:1] op_sel_hi:[1,0,1]
	s_waitcnt vmcnt(2)
	v_pk_fma_f32 v[6:7], v[46:47], v[30:31], v[6:7] op_sel:[0,1,0]
	s_waitcnt vmcnt(0)
	v_pk_fma_f32 v[0:1], v[48:49], v[30:31], v[0:1] op_sel:[0,1,0]
	s_andn2_b64 exec, exec, s[2:3]
	s_cbranch_execnz .LBB23_15
; %bb.16:
	s_or_b64 exec, exec, s[2:3]
.LBB23_17:
	s_or_b64 exec, exec, s[4:5]
.LBB23_18:
	v_mov_b32_dpp v4, v6 row_shr:1 row_mask:0xf bank_mask:0xf
	v_mov_b32_dpp v5, v7 row_shr:1 row_mask:0xf bank_mask:0xf
	;; [unrolled: 1-line block ×4, first 2 shown]
	v_pk_add_f32 v[4:5], v[6:7], v[4:5]
	v_pk_add_f32 v[0:1], v[0:1], v[8:9]
	v_cmp_eq_u32_e32 vcc, 31, v3
	v_mov_b32_dpp v6, v4 row_shr:2 row_mask:0xf bank_mask:0xf
	v_mov_b32_dpp v7, v5 row_shr:2 row_mask:0xf bank_mask:0xf
	v_mov_b32_dpp v8, v0 row_shr:2 row_mask:0xf bank_mask:0xf
	v_mov_b32_dpp v9, v1 row_shr:2 row_mask:0xf bank_mask:0xf
	v_pk_add_f32 v[4:5], v[4:5], v[6:7]
	v_pk_add_f32 v[0:1], v[0:1], v[8:9]
	s_nop 0
	v_mov_b32_dpp v6, v4 row_shr:4 row_mask:0xf bank_mask:0xe
	v_mov_b32_dpp v7, v5 row_shr:4 row_mask:0xf bank_mask:0xe
	v_mov_b32_dpp v8, v0 row_shr:4 row_mask:0xf bank_mask:0xe
	v_mov_b32_dpp v9, v1 row_shr:4 row_mask:0xf bank_mask:0xe
	v_pk_add_f32 v[4:5], v[4:5], v[6:7]
	v_pk_add_f32 v[0:1], v[0:1], v[8:9]
	s_nop 0
	;; [unrolled: 7-line block ×3, first 2 shown]
	v_mov_b32_dpp v6, v4 row_bcast:15 row_mask:0xa bank_mask:0xf
	v_mov_b32_dpp v7, v5 row_bcast:15 row_mask:0xa bank_mask:0xf
	;; [unrolled: 1-line block ×4, first 2 shown]
	s_and_b64 exec, exec, vcc
	s_cbranch_execz .LBB23_22
; %bb.19:
	s_load_dwordx2 s[0:1], s[0:1], 0x38
	v_cmp_eq_f32_e64 s[2:3], s12, 0
	v_pk_add_f32 v[4:5], v[4:5], v[6:7]
	v_pk_add_f32 v[0:1], v[0:1], v[8:9]
	s_and_b64 vcc, exec, s[2:3]
	v_lshlrev_b32_e32 v2, 2, v2
	s_cbranch_vccz .LBB23_23
; %bb.20:
	v_ashrrev_i32_e32 v3, 31, v2
	s_waitcnt lgkmcnt(0)
	v_lshl_add_u64 v[10:11], v[2:3], 2, s[0:1]
	v_pk_mul_f32 v[6:7], s[14:15], v[4:5] op_sel_hi:[0,1]
	v_pk_mul_f32 v[8:9], s[14:15], v[0:1] op_sel_hi:[0,1]
	global_store_dwordx4 v[10:11], v[6:9], off
	s_cbranch_execnz .LBB23_22
.LBB23_21:
	v_ashrrev_i32_e32 v3, 31, v2
	s_waitcnt lgkmcnt(0)
	v_lshl_add_u64 v[10:11], v[2:3], 2, s[0:1]
	global_load_dwordx4 v[6:9], v[10:11], off
	v_pk_mul_f32 v[2:3], s[14:15], v[4:5] op_sel_hi:[0,1]
	v_pk_mul_f32 v[4:5], s[14:15], v[0:1] op_sel_hi:[0,1]
	s_waitcnt vmcnt(0)
	v_pk_fma_f32 v[0:1], s[12:13], v[6:7], v[2:3] op_sel_hi:[0,1,1]
	v_pk_fma_f32 v[2:3], s[12:13], v[8:9], v[4:5] op_sel_hi:[0,1,1]
	global_store_dwordx4 v[10:11], v[0:3], off
.LBB23_22:
	s_endpgm
.LBB23_23:
	s_branch .LBB23_21
	.section	.rodata,"a",@progbits
	.p2align	6, 0x0
	.amdhsa_kernel _ZN9rocsparseL19gebsrmvn_4xn_kernelILj128ELj6ELj32EfEEvi20rocsparse_direction_NS_24const_host_device_scalarIT2_EEPKiS6_PKS3_S8_S4_PS3_21rocsparse_index_base_b
		.amdhsa_group_segment_fixed_size 0
		.amdhsa_private_segment_fixed_size 0
		.amdhsa_kernarg_size 72
		.amdhsa_user_sgpr_count 2
		.amdhsa_user_sgpr_dispatch_ptr 0
		.amdhsa_user_sgpr_queue_ptr 0
		.amdhsa_user_sgpr_kernarg_segment_ptr 1
		.amdhsa_user_sgpr_dispatch_id 0
		.amdhsa_user_sgpr_kernarg_preload_length 0
		.amdhsa_user_sgpr_kernarg_preload_offset 0
		.amdhsa_user_sgpr_private_segment_size 0
		.amdhsa_uses_dynamic_stack 0
		.amdhsa_enable_private_segment 0
		.amdhsa_system_sgpr_workgroup_id_x 1
		.amdhsa_system_sgpr_workgroup_id_y 0
		.amdhsa_system_sgpr_workgroup_id_z 0
		.amdhsa_system_sgpr_workgroup_info 0
		.amdhsa_system_vgpr_workitem_id 0
		.amdhsa_next_free_vgpr 54
		.amdhsa_next_free_sgpr 20
		.amdhsa_accum_offset 56
		.amdhsa_reserve_vcc 1
		.amdhsa_float_round_mode_32 0
		.amdhsa_float_round_mode_16_64 0
		.amdhsa_float_denorm_mode_32 3
		.amdhsa_float_denorm_mode_16_64 3
		.amdhsa_dx10_clamp 1
		.amdhsa_ieee_mode 1
		.amdhsa_fp16_overflow 0
		.amdhsa_tg_split 0
		.amdhsa_exception_fp_ieee_invalid_op 0
		.amdhsa_exception_fp_denorm_src 0
		.amdhsa_exception_fp_ieee_div_zero 0
		.amdhsa_exception_fp_ieee_overflow 0
		.amdhsa_exception_fp_ieee_underflow 0
		.amdhsa_exception_fp_ieee_inexact 0
		.amdhsa_exception_int_div_zero 0
	.end_amdhsa_kernel
	.section	.text._ZN9rocsparseL19gebsrmvn_4xn_kernelILj128ELj6ELj32EfEEvi20rocsparse_direction_NS_24const_host_device_scalarIT2_EEPKiS6_PKS3_S8_S4_PS3_21rocsparse_index_base_b,"axG",@progbits,_ZN9rocsparseL19gebsrmvn_4xn_kernelILj128ELj6ELj32EfEEvi20rocsparse_direction_NS_24const_host_device_scalarIT2_EEPKiS6_PKS3_S8_S4_PS3_21rocsparse_index_base_b,comdat
.Lfunc_end23:
	.size	_ZN9rocsparseL19gebsrmvn_4xn_kernelILj128ELj6ELj32EfEEvi20rocsparse_direction_NS_24const_host_device_scalarIT2_EEPKiS6_PKS3_S8_S4_PS3_21rocsparse_index_base_b, .Lfunc_end23-_ZN9rocsparseL19gebsrmvn_4xn_kernelILj128ELj6ELj32EfEEvi20rocsparse_direction_NS_24const_host_device_scalarIT2_EEPKiS6_PKS3_S8_S4_PS3_21rocsparse_index_base_b
                                        ; -- End function
	.set _ZN9rocsparseL19gebsrmvn_4xn_kernelILj128ELj6ELj32EfEEvi20rocsparse_direction_NS_24const_host_device_scalarIT2_EEPKiS6_PKS3_S8_S4_PS3_21rocsparse_index_base_b.num_vgpr, 54
	.set _ZN9rocsparseL19gebsrmvn_4xn_kernelILj128ELj6ELj32EfEEvi20rocsparse_direction_NS_24const_host_device_scalarIT2_EEPKiS6_PKS3_S8_S4_PS3_21rocsparse_index_base_b.num_agpr, 0
	.set _ZN9rocsparseL19gebsrmvn_4xn_kernelILj128ELj6ELj32EfEEvi20rocsparse_direction_NS_24const_host_device_scalarIT2_EEPKiS6_PKS3_S8_S4_PS3_21rocsparse_index_base_b.numbered_sgpr, 20
	.set _ZN9rocsparseL19gebsrmvn_4xn_kernelILj128ELj6ELj32EfEEvi20rocsparse_direction_NS_24const_host_device_scalarIT2_EEPKiS6_PKS3_S8_S4_PS3_21rocsparse_index_base_b.num_named_barrier, 0
	.set _ZN9rocsparseL19gebsrmvn_4xn_kernelILj128ELj6ELj32EfEEvi20rocsparse_direction_NS_24const_host_device_scalarIT2_EEPKiS6_PKS3_S8_S4_PS3_21rocsparse_index_base_b.private_seg_size, 0
	.set _ZN9rocsparseL19gebsrmvn_4xn_kernelILj128ELj6ELj32EfEEvi20rocsparse_direction_NS_24const_host_device_scalarIT2_EEPKiS6_PKS3_S8_S4_PS3_21rocsparse_index_base_b.uses_vcc, 1
	.set _ZN9rocsparseL19gebsrmvn_4xn_kernelILj128ELj6ELj32EfEEvi20rocsparse_direction_NS_24const_host_device_scalarIT2_EEPKiS6_PKS3_S8_S4_PS3_21rocsparse_index_base_b.uses_flat_scratch, 0
	.set _ZN9rocsparseL19gebsrmvn_4xn_kernelILj128ELj6ELj32EfEEvi20rocsparse_direction_NS_24const_host_device_scalarIT2_EEPKiS6_PKS3_S8_S4_PS3_21rocsparse_index_base_b.has_dyn_sized_stack, 0
	.set _ZN9rocsparseL19gebsrmvn_4xn_kernelILj128ELj6ELj32EfEEvi20rocsparse_direction_NS_24const_host_device_scalarIT2_EEPKiS6_PKS3_S8_S4_PS3_21rocsparse_index_base_b.has_recursion, 0
	.set _ZN9rocsparseL19gebsrmvn_4xn_kernelILj128ELj6ELj32EfEEvi20rocsparse_direction_NS_24const_host_device_scalarIT2_EEPKiS6_PKS3_S8_S4_PS3_21rocsparse_index_base_b.has_indirect_call, 0
	.section	.AMDGPU.csdata,"",@progbits
; Kernel info:
; codeLenInByte = 1760
; TotalNumSgprs: 26
; NumVgprs: 54
; NumAgprs: 0
; TotalNumVgprs: 54
; ScratchSize: 0
; MemoryBound: 0
; FloatMode: 240
; IeeeMode: 1
; LDSByteSize: 0 bytes/workgroup (compile time only)
; SGPRBlocks: 3
; VGPRBlocks: 6
; NumSGPRsForWavesPerEU: 26
; NumVGPRsForWavesPerEU: 54
; AccumOffset: 56
; Occupancy: 8
; WaveLimiterHint : 1
; COMPUTE_PGM_RSRC2:SCRATCH_EN: 0
; COMPUTE_PGM_RSRC2:USER_SGPR: 2
; COMPUTE_PGM_RSRC2:TRAP_HANDLER: 0
; COMPUTE_PGM_RSRC2:TGID_X_EN: 1
; COMPUTE_PGM_RSRC2:TGID_Y_EN: 0
; COMPUTE_PGM_RSRC2:TGID_Z_EN: 0
; COMPUTE_PGM_RSRC2:TIDIG_COMP_CNT: 0
; COMPUTE_PGM_RSRC3_GFX90A:ACCUM_OFFSET: 13
; COMPUTE_PGM_RSRC3_GFX90A:TG_SPLIT: 0
	.section	.text._ZN9rocsparseL19gebsrmvn_4xn_kernelILj128ELj6ELj64EfEEvi20rocsparse_direction_NS_24const_host_device_scalarIT2_EEPKiS6_PKS3_S8_S4_PS3_21rocsparse_index_base_b,"axG",@progbits,_ZN9rocsparseL19gebsrmvn_4xn_kernelILj128ELj6ELj64EfEEvi20rocsparse_direction_NS_24const_host_device_scalarIT2_EEPKiS6_PKS3_S8_S4_PS3_21rocsparse_index_base_b,comdat
	.globl	_ZN9rocsparseL19gebsrmvn_4xn_kernelILj128ELj6ELj64EfEEvi20rocsparse_direction_NS_24const_host_device_scalarIT2_EEPKiS6_PKS3_S8_S4_PS3_21rocsparse_index_base_b ; -- Begin function _ZN9rocsparseL19gebsrmvn_4xn_kernelILj128ELj6ELj64EfEEvi20rocsparse_direction_NS_24const_host_device_scalarIT2_EEPKiS6_PKS3_S8_S4_PS3_21rocsparse_index_base_b
	.p2align	8
	.type	_ZN9rocsparseL19gebsrmvn_4xn_kernelILj128ELj6ELj64EfEEvi20rocsparse_direction_NS_24const_host_device_scalarIT2_EEPKiS6_PKS3_S8_S4_PS3_21rocsparse_index_base_b,@function
_ZN9rocsparseL19gebsrmvn_4xn_kernelILj128ELj6ELj64EfEEvi20rocsparse_direction_NS_24const_host_device_scalarIT2_EEPKiS6_PKS3_S8_S4_PS3_21rocsparse_index_base_b: ; @_ZN9rocsparseL19gebsrmvn_4xn_kernelILj128ELj6ELj64EfEEvi20rocsparse_direction_NS_24const_host_device_scalarIT2_EEPKiS6_PKS3_S8_S4_PS3_21rocsparse_index_base_b
; %bb.0:
	s_load_dwordx2 s[16:17], s[0:1], 0x40
	s_load_dwordx2 s[14:15], s[0:1], 0x8
	;; [unrolled: 1-line block ×3, first 2 shown]
	s_waitcnt lgkmcnt(0)
	s_bitcmp1_b32 s17, 0
	s_cselect_b64 s[6:7], -1, 0
	s_xor_b64 s[4:5], s[6:7], -1
	s_and_b64 vcc, exec, s[6:7]
	s_cbranch_vccnz .LBB24_2
; %bb.1:
	s_load_dword s14, s[14:15], 0x0
.LBB24_2:
	s_andn2_b64 vcc, exec, s[4:5]
	s_cbranch_vccnz .LBB24_4
; %bb.3:
	s_load_dword s12, s[12:13], 0x0
.LBB24_4:
	s_waitcnt lgkmcnt(0)
	v_cmp_eq_f32_e64 s[4:5], s14, 0
	v_cmp_eq_f32_e64 s[6:7], s12, 1.0
	s_and_b64 s[4:5], s[4:5], s[6:7]
	s_and_b64 vcc, exec, s[4:5]
	s_cbranch_vccnz .LBB24_22
; %bb.5:
	s_load_dwordx2 s[18:19], s[0:1], 0x0
	v_lshrrev_b32_e32 v1, 6, v0
	v_lshl_or_b32 v2, s2, 1, v1
	s_waitcnt lgkmcnt(0)
	v_cmp_gt_i32_e32 vcc, s18, v2
	s_and_saveexec_b64 s[2:3], vcc
	s_cbranch_execz .LBB24_22
; %bb.6:
	s_load_dwordx8 s[4:11], s[0:1], 0x10
	v_ashrrev_i32_e32 v3, 31, v2
	s_cmp_lg_u32 s19, 0
	s_waitcnt lgkmcnt(0)
	v_lshl_add_u64 v[4:5], v[2:3], 2, s[4:5]
	global_load_dwordx2 v[4:5], v[4:5], off
	v_and_b32_e32 v3, 63, v0
	s_waitcnt vmcnt(0)
	v_subrev_u32_e32 v0, s16, v4
	v_subrev_u32_e32 v14, s16, v5
	v_add_u32_e32 v4, v0, v3
	v_cmp_lt_i32_e64 s[2:3], v4, v14
	s_cbranch_scc0 .LBB24_12
; %bb.7:
	v_mov_b32_e32 v1, 0
	v_mov_b32_e32 v0, v1
	;; [unrolled: 1-line block ×4, first 2 shown]
	s_and_saveexec_b64 s[4:5], s[2:3]
	s_cbranch_execz .LBB24_11
; %bb.8:
	v_mad_u64_u32 v[8:9], s[18:19], v4, 24, 20
	v_mov_b32_e32 v11, 0
	s_mov_b64 s[18:19], 0
	v_mov_b32_e32 v12, v4
	v_mov_b32_e32 v0, v11
	;; [unrolled: 1-line block ×5, first 2 shown]
.LBB24_9:                               ; =>This Inner Loop Header: Depth=1
	v_ashrrev_i32_e32 v13, 31, v12
	v_lshl_add_u64 v[16:17], v[12:13], 2, s[6:7]
	global_load_dword v5, v[16:17], off
	v_subrev_u32_e32 v10, 20, v8
	v_mov_b32_e32 v29, v11
	v_lshl_add_u64 v[24:25], v[10:11], 2, s[8:9]
	v_add_u32_e32 v10, -12, v8
	global_load_dwordx4 v[16:19], v[24:25], off offset:16
	global_load_dwordx4 v[20:23], v[24:25], off
	v_lshl_add_u64 v[24:25], v[10:11], 2, s[8:9]
	global_load_dwordx4 v[24:27], v[24:25], off
	v_mov_b32_e32 v9, v11
	v_lshl_add_u64 v[40:41], v[8:9], 2, s[8:9]
	v_add_u32_e32 v12, 64, v12
	v_cmp_ge_i32_e32 vcc, v12, v14
	s_or_b64 s[18:19], vcc, s[18:19]
	s_waitcnt vmcnt(3)
	v_subrev_u32_e32 v5, s16, v5
	v_mul_lo_u32 v28, v5, 6
	v_lshl_add_u64 v[30:31], v[28:29], 2, s[10:11]
	v_add_u32_e32 v10, 2, v28
	global_load_dwordx2 v[42:43], v[30:31], off
	v_lshl_add_u64 v[30:31], v[10:11], 2, s[10:11]
	v_add_u32_e32 v10, -8, v8
	global_load_dwordx2 v[44:45], v[30:31], off
	v_lshl_add_u64 v[36:37], v[10:11], 2, s[8:9]
	v_add_u32_e32 v10, -4, v8
	v_lshl_add_u64 v[38:39], v[10:11], 2, s[8:9]
	v_add_u32_e32 v10, 4, v28
	global_load_dwordx4 v[28:31], v[36:37], off
	global_load_dwordx4 v[32:35], v[38:39], off
	v_lshl_add_u64 v[46:47], v[10:11], 2, s[10:11]
	global_load_dwordx2 v[48:49], v[46:47], off
	global_load_dwordx4 v[36:39], v[40:41], off
	v_add_u32_e32 v8, 0x600, v8
	s_waitcnt vmcnt(5)
	v_pk_fma_f32 v[6:7], v[20:21], v[42:43], v[6:7] op_sel_hi:[1,0,1]
	v_pk_fma_f32 v[0:1], v[22:23], v[42:43], v[0:1] op_sel_hi:[1,0,1]
	v_pk_fma_f32 v[6:7], v[16:17], v[42:43], v[6:7] op_sel:[0,1,0]
	v_pk_fma_f32 v[0:1], v[18:19], v[42:43], v[0:1] op_sel:[0,1,0]
	s_waitcnt vmcnt(4)
	v_pk_fma_f32 v[6:7], v[24:25], v[44:45], v[6:7] op_sel_hi:[1,0,1]
	v_pk_fma_f32 v[0:1], v[26:27], v[44:45], v[0:1] op_sel_hi:[1,0,1]
	s_waitcnt vmcnt(3)
	v_pk_fma_f32 v[6:7], v[28:29], v[44:45], v[6:7] op_sel:[0,1,0]
	v_pk_fma_f32 v[0:1], v[30:31], v[44:45], v[0:1] op_sel:[0,1,0]
	s_waitcnt vmcnt(1)
	v_pk_fma_f32 v[6:7], v[32:33], v[48:49], v[6:7] op_sel_hi:[1,0,1]
	v_pk_fma_f32 v[0:1], v[34:35], v[48:49], v[0:1] op_sel_hi:[1,0,1]
	s_waitcnt vmcnt(0)
	v_pk_fma_f32 v[6:7], v[36:37], v[48:49], v[6:7] op_sel:[0,1,0]
	v_pk_fma_f32 v[0:1], v[38:39], v[48:49], v[0:1] op_sel:[0,1,0]
	s_andn2_b64 exec, exec, s[18:19]
	s_cbranch_execnz .LBB24_9
; %bb.10:
	s_or_b64 exec, exec, s[18:19]
.LBB24_11:
	s_or_b64 exec, exec, s[4:5]
	s_cbranch_execz .LBB24_13
	s_branch .LBB24_18
.LBB24_12:
                                        ; implicit-def: $vgpr1
                                        ; implicit-def: $vgpr7
.LBB24_13:
	v_mov_b32_e32 v1, 0
	v_mov_b32_e32 v0, v1
	;; [unrolled: 1-line block ×4, first 2 shown]
	s_and_saveexec_b64 s[4:5], s[2:3]
	s_cbranch_execz .LBB24_17
; %bb.14:
	v_mad_u64_u32 v[8:9], s[2:3], v4, 24, 23
	v_mov_b32_e32 v11, 0
	s_mov_b64 s[2:3], 0
	v_mov_b32_e32 v0, v11
	v_mov_b32_e32 v1, v11
	;; [unrolled: 1-line block ×4, first 2 shown]
.LBB24_15:                              ; =>This Inner Loop Header: Depth=1
	v_ashrrev_i32_e32 v5, 31, v4
	v_lshl_add_u64 v[12:13], v[4:5], 2, s[6:7]
	global_load_dword v5, v[12:13], off
	v_subrev_u32_e32 v10, 23, v8
	v_add_u32_e32 v12, -11, v8
	v_mov_b32_e32 v13, v11
	v_add_u32_e32 v16, -5, v8
	v_mov_b32_e32 v17, v11
	v_lshl_add_u64 v[22:23], v[10:11], 2, s[8:9]
	v_lshl_add_u64 v[12:13], v[12:13], 2, s[8:9]
	v_add_u32_e32 v10, -10, v8
	v_lshl_add_u64 v[24:25], v[16:17], 2, s[8:9]
	global_load_dwordx4 v[16:19], v[22:23], off offset:16
	global_load_dwordx4 v[50:53], v[22:23], off
	global_load_dword v28, v[12:13], off
	global_load_dword v29, v[24:25], off
	v_lshl_add_u64 v[12:13], v[10:11], 2, s[8:9]
	v_add_u32_e32 v10, -4, v8
	v_lshl_add_u64 v[22:23], v[10:11], 2, s[8:9]
	global_load_dword v24, v[12:13], off
	global_load_dword v25, v[22:23], off
	v_mov_b32_e32 v21, v11
	v_mov_b32_e32 v9, v11
	v_lshl_add_u64 v[26:27], v[8:9], 2, s[8:9]
	v_add_u32_e32 v4, 64, v4
	v_cmp_ge_i32_e32 vcc, v4, v14
	s_or_b64 s[2:3], vcc, s[2:3]
	s_waitcnt vmcnt(6)
	v_subrev_u32_e32 v5, s16, v5
	v_mul_lo_u32 v20, v5, 6
	v_add_u32_e32 v10, 2, v20
	v_lshl_add_u64 v[22:23], v[10:11], 2, s[10:11]
	v_add_u32_e32 v10, -15, v8
	v_lshl_add_u64 v[30:31], v[10:11], 2, s[8:9]
	v_add_u32_e32 v10, -9, v8
	v_lshl_add_u64 v[12:13], v[20:21], 2, s[10:11]
	v_lshl_add_u64 v[32:33], v[10:11], 2, s[8:9]
	v_add_u32_e32 v10, -3, v8
	global_load_dwordx2 v[12:13], v[12:13], off
	s_waitcnt vmcnt(5)
	v_mov_b32_e32 v36, v53
	global_load_dwordx2 v[22:23], v[22:23], off
	s_nop 0
	global_load_dword v21, v[30:31], off
	global_load_dword v34, v[32:33], off
	v_lshl_add_u64 v[30:31], v[10:11], 2, s[8:9]
	v_add_u32_e32 v10, -14, v8
	v_lshl_add_u64 v[32:33], v[10:11], 2, s[8:9]
	v_add_u32_e32 v10, -8, v8
	global_load_dword v35, v[30:31], off
	global_load_dword v37, v[32:33], off
	v_lshl_add_u64 v[30:31], v[10:11], 2, s[8:9]
	v_add_u32_e32 v10, -2, v8
	v_lshl_add_u64 v[32:33], v[10:11], 2, s[8:9]
	v_add_u32_e32 v10, 4, v20
	global_load_dword v38, v[30:31], off
	global_load_dword v39, v[32:33], off
	v_lshl_add_u64 v[30:31], v[10:11], 2, s[10:11]
	v_add_u32_e32 v10, -13, v8
	v_lshl_add_u64 v[32:33], v[10:11], 2, s[8:9]
	v_add_u32_e32 v10, -7, v8
	;; [unrolled: 2-line block ×4, first 2 shown]
	global_load_dwordx2 v[30:31], v[30:31], off
	v_mov_b32_e32 v20, v52
	global_load_dword v33, v[32:33], off
	s_nop 0
	global_load_dword v44, v[40:41], off
	global_load_dword v45, v[42:43], off
	v_lshl_add_u64 v[40:41], v[10:11], 2, s[8:9]
	v_add_u32_e32 v10, -6, v8
	v_lshl_add_u64 v[42:43], v[10:11], 2, s[8:9]
	global_load_dword v47, v[40:41], off
	global_load_dword v48, v[42:43], off
	;; [unrolled: 1-line block ×3, first 2 shown]
	v_mov_b32_e32 v26, v50
	v_mov_b32_e32 v27, v18
	;; [unrolled: 1-line block ×5, first 2 shown]
	v_add_u32_e32 v8, 0x600, v8
	s_waitcnt vmcnt(14)
	v_pk_fma_f32 v[6:7], v[26:27], v[12:13], v[6:7] op_sel_hi:[1,0,1]
	v_pk_fma_f32 v[0:1], v[28:29], v[12:13], v[0:1] op_sel_hi:[1,0,1]
	v_pk_fma_f32 v[6:7], v[18:19], v[12:13], v[6:7] op_sel:[0,1,0]
	v_pk_fma_f32 v[0:1], v[24:25], v[12:13], v[0:1] op_sel:[0,1,0]
	s_waitcnt vmcnt(12)
	v_pk_fma_f32 v[6:7], v[20:21], v[22:23], v[6:7] op_sel_hi:[1,0,1]
	s_waitcnt vmcnt(10)
	v_pk_fma_f32 v[0:1], v[34:35], v[22:23], v[0:1] op_sel_hi:[1,0,1]
	s_waitcnt vmcnt(9)
	v_pk_fma_f32 v[6:7], v[36:37], v[22:23], v[6:7] op_sel:[0,1,0]
	s_waitcnt vmcnt(7)
	v_pk_fma_f32 v[0:1], v[38:39], v[22:23], v[0:1] op_sel:[0,1,0]
	s_waitcnt vmcnt(5)
	v_pk_fma_f32 v[6:7], v[32:33], v[30:31], v[6:7] op_sel_hi:[1,0,1]
	s_waitcnt vmcnt(3)
	v_pk_fma_f32 v[0:1], v[44:45], v[30:31], v[0:1] op_sel_hi:[1,0,1]
	s_waitcnt vmcnt(2)
	v_pk_fma_f32 v[6:7], v[46:47], v[30:31], v[6:7] op_sel:[0,1,0]
	s_waitcnt vmcnt(0)
	v_pk_fma_f32 v[0:1], v[48:49], v[30:31], v[0:1] op_sel:[0,1,0]
	s_andn2_b64 exec, exec, s[2:3]
	s_cbranch_execnz .LBB24_15
; %bb.16:
	s_or_b64 exec, exec, s[2:3]
.LBB24_17:
	s_or_b64 exec, exec, s[4:5]
.LBB24_18:
	v_mov_b32_dpp v4, v6 row_shr:1 row_mask:0xf bank_mask:0xf
	v_mov_b32_dpp v5, v7 row_shr:1 row_mask:0xf bank_mask:0xf
	;; [unrolled: 1-line block ×4, first 2 shown]
	v_pk_add_f32 v[4:5], v[6:7], v[4:5]
	v_pk_add_f32 v[0:1], v[0:1], v[8:9]
	v_cmp_eq_u32_e32 vcc, 63, v3
	v_mov_b32_dpp v6, v4 row_shr:2 row_mask:0xf bank_mask:0xf
	v_mov_b32_dpp v7, v5 row_shr:2 row_mask:0xf bank_mask:0xf
	v_mov_b32_dpp v8, v0 row_shr:2 row_mask:0xf bank_mask:0xf
	v_mov_b32_dpp v9, v1 row_shr:2 row_mask:0xf bank_mask:0xf
	v_pk_add_f32 v[4:5], v[4:5], v[6:7]
	v_pk_add_f32 v[0:1], v[0:1], v[8:9]
	s_nop 0
	v_mov_b32_dpp v6, v4 row_shr:4 row_mask:0xf bank_mask:0xe
	v_mov_b32_dpp v7, v5 row_shr:4 row_mask:0xf bank_mask:0xe
	v_mov_b32_dpp v8, v0 row_shr:4 row_mask:0xf bank_mask:0xe
	v_mov_b32_dpp v9, v1 row_shr:4 row_mask:0xf bank_mask:0xe
	v_pk_add_f32 v[4:5], v[4:5], v[6:7]
	v_pk_add_f32 v[0:1], v[0:1], v[8:9]
	s_nop 0
	;; [unrolled: 7-line block ×3, first 2 shown]
	v_mov_b32_dpp v6, v4 row_bcast:15 row_mask:0xa bank_mask:0xf
	v_mov_b32_dpp v7, v5 row_bcast:15 row_mask:0xa bank_mask:0xf
	;; [unrolled: 1-line block ×4, first 2 shown]
	v_pk_add_f32 v[4:5], v[4:5], v[6:7]
	v_pk_add_f32 v[0:1], v[0:1], v[8:9]
	s_nop 0
	v_mov_b32_dpp v6, v4 row_bcast:31 row_mask:0xc bank_mask:0xf
	v_mov_b32_dpp v7, v5 row_bcast:31 row_mask:0xc bank_mask:0xf
	;; [unrolled: 1-line block ×4, first 2 shown]
	s_and_b64 exec, exec, vcc
	s_cbranch_execz .LBB24_22
; %bb.19:
	s_load_dwordx2 s[0:1], s[0:1], 0x38
	v_cmp_eq_f32_e64 s[2:3], s12, 0
	v_pk_add_f32 v[4:5], v[4:5], v[6:7]
	v_pk_add_f32 v[0:1], v[0:1], v[8:9]
	s_and_b64 vcc, exec, s[2:3]
	v_lshlrev_b32_e32 v2, 2, v2
	s_cbranch_vccz .LBB24_23
; %bb.20:
	v_ashrrev_i32_e32 v3, 31, v2
	s_waitcnt lgkmcnt(0)
	v_lshl_add_u64 v[10:11], v[2:3], 2, s[0:1]
	v_pk_mul_f32 v[6:7], s[14:15], v[4:5] op_sel_hi:[0,1]
	v_pk_mul_f32 v[8:9], s[14:15], v[0:1] op_sel_hi:[0,1]
	global_store_dwordx4 v[10:11], v[6:9], off
	s_cbranch_execnz .LBB24_22
.LBB24_21:
	v_ashrrev_i32_e32 v3, 31, v2
	s_waitcnt lgkmcnt(0)
	v_lshl_add_u64 v[10:11], v[2:3], 2, s[0:1]
	global_load_dwordx4 v[6:9], v[10:11], off
	v_pk_mul_f32 v[2:3], s[14:15], v[4:5] op_sel_hi:[0,1]
	v_pk_mul_f32 v[4:5], s[14:15], v[0:1] op_sel_hi:[0,1]
	s_waitcnt vmcnt(0)
	v_pk_fma_f32 v[0:1], s[12:13], v[6:7], v[2:3] op_sel_hi:[0,1,1]
	v_pk_fma_f32 v[2:3], s[12:13], v[8:9], v[4:5] op_sel_hi:[0,1,1]
	global_store_dwordx4 v[10:11], v[0:3], off
.LBB24_22:
	s_endpgm
.LBB24_23:
	s_branch .LBB24_21
	.section	.rodata,"a",@progbits
	.p2align	6, 0x0
	.amdhsa_kernel _ZN9rocsparseL19gebsrmvn_4xn_kernelILj128ELj6ELj64EfEEvi20rocsparse_direction_NS_24const_host_device_scalarIT2_EEPKiS6_PKS3_S8_S4_PS3_21rocsparse_index_base_b
		.amdhsa_group_segment_fixed_size 0
		.amdhsa_private_segment_fixed_size 0
		.amdhsa_kernarg_size 72
		.amdhsa_user_sgpr_count 2
		.amdhsa_user_sgpr_dispatch_ptr 0
		.amdhsa_user_sgpr_queue_ptr 0
		.amdhsa_user_sgpr_kernarg_segment_ptr 1
		.amdhsa_user_sgpr_dispatch_id 0
		.amdhsa_user_sgpr_kernarg_preload_length 0
		.amdhsa_user_sgpr_kernarg_preload_offset 0
		.amdhsa_user_sgpr_private_segment_size 0
		.amdhsa_uses_dynamic_stack 0
		.amdhsa_enable_private_segment 0
		.amdhsa_system_sgpr_workgroup_id_x 1
		.amdhsa_system_sgpr_workgroup_id_y 0
		.amdhsa_system_sgpr_workgroup_id_z 0
		.amdhsa_system_sgpr_workgroup_info 0
		.amdhsa_system_vgpr_workitem_id 0
		.amdhsa_next_free_vgpr 54
		.amdhsa_next_free_sgpr 20
		.amdhsa_accum_offset 56
		.amdhsa_reserve_vcc 1
		.amdhsa_float_round_mode_32 0
		.amdhsa_float_round_mode_16_64 0
		.amdhsa_float_denorm_mode_32 3
		.amdhsa_float_denorm_mode_16_64 3
		.amdhsa_dx10_clamp 1
		.amdhsa_ieee_mode 1
		.amdhsa_fp16_overflow 0
		.amdhsa_tg_split 0
		.amdhsa_exception_fp_ieee_invalid_op 0
		.amdhsa_exception_fp_denorm_src 0
		.amdhsa_exception_fp_ieee_div_zero 0
		.amdhsa_exception_fp_ieee_overflow 0
		.amdhsa_exception_fp_ieee_underflow 0
		.amdhsa_exception_fp_ieee_inexact 0
		.amdhsa_exception_int_div_zero 0
	.end_amdhsa_kernel
	.section	.text._ZN9rocsparseL19gebsrmvn_4xn_kernelILj128ELj6ELj64EfEEvi20rocsparse_direction_NS_24const_host_device_scalarIT2_EEPKiS6_PKS3_S8_S4_PS3_21rocsparse_index_base_b,"axG",@progbits,_ZN9rocsparseL19gebsrmvn_4xn_kernelILj128ELj6ELj64EfEEvi20rocsparse_direction_NS_24const_host_device_scalarIT2_EEPKiS6_PKS3_S8_S4_PS3_21rocsparse_index_base_b,comdat
.Lfunc_end24:
	.size	_ZN9rocsparseL19gebsrmvn_4xn_kernelILj128ELj6ELj64EfEEvi20rocsparse_direction_NS_24const_host_device_scalarIT2_EEPKiS6_PKS3_S8_S4_PS3_21rocsparse_index_base_b, .Lfunc_end24-_ZN9rocsparseL19gebsrmvn_4xn_kernelILj128ELj6ELj64EfEEvi20rocsparse_direction_NS_24const_host_device_scalarIT2_EEPKiS6_PKS3_S8_S4_PS3_21rocsparse_index_base_b
                                        ; -- End function
	.set _ZN9rocsparseL19gebsrmvn_4xn_kernelILj128ELj6ELj64EfEEvi20rocsparse_direction_NS_24const_host_device_scalarIT2_EEPKiS6_PKS3_S8_S4_PS3_21rocsparse_index_base_b.num_vgpr, 54
	.set _ZN9rocsparseL19gebsrmvn_4xn_kernelILj128ELj6ELj64EfEEvi20rocsparse_direction_NS_24const_host_device_scalarIT2_EEPKiS6_PKS3_S8_S4_PS3_21rocsparse_index_base_b.num_agpr, 0
	.set _ZN9rocsparseL19gebsrmvn_4xn_kernelILj128ELj6ELj64EfEEvi20rocsparse_direction_NS_24const_host_device_scalarIT2_EEPKiS6_PKS3_S8_S4_PS3_21rocsparse_index_base_b.numbered_sgpr, 20
	.set _ZN9rocsparseL19gebsrmvn_4xn_kernelILj128ELj6ELj64EfEEvi20rocsparse_direction_NS_24const_host_device_scalarIT2_EEPKiS6_PKS3_S8_S4_PS3_21rocsparse_index_base_b.num_named_barrier, 0
	.set _ZN9rocsparseL19gebsrmvn_4xn_kernelILj128ELj6ELj64EfEEvi20rocsparse_direction_NS_24const_host_device_scalarIT2_EEPKiS6_PKS3_S8_S4_PS3_21rocsparse_index_base_b.private_seg_size, 0
	.set _ZN9rocsparseL19gebsrmvn_4xn_kernelILj128ELj6ELj64EfEEvi20rocsparse_direction_NS_24const_host_device_scalarIT2_EEPKiS6_PKS3_S8_S4_PS3_21rocsparse_index_base_b.uses_vcc, 1
	.set _ZN9rocsparseL19gebsrmvn_4xn_kernelILj128ELj6ELj64EfEEvi20rocsparse_direction_NS_24const_host_device_scalarIT2_EEPKiS6_PKS3_S8_S4_PS3_21rocsparse_index_base_b.uses_flat_scratch, 0
	.set _ZN9rocsparseL19gebsrmvn_4xn_kernelILj128ELj6ELj64EfEEvi20rocsparse_direction_NS_24const_host_device_scalarIT2_EEPKiS6_PKS3_S8_S4_PS3_21rocsparse_index_base_b.has_dyn_sized_stack, 0
	.set _ZN9rocsparseL19gebsrmvn_4xn_kernelILj128ELj6ELj64EfEEvi20rocsparse_direction_NS_24const_host_device_scalarIT2_EEPKiS6_PKS3_S8_S4_PS3_21rocsparse_index_base_b.has_recursion, 0
	.set _ZN9rocsparseL19gebsrmvn_4xn_kernelILj128ELj6ELj64EfEEvi20rocsparse_direction_NS_24const_host_device_scalarIT2_EEPKiS6_PKS3_S8_S4_PS3_21rocsparse_index_base_b.has_indirect_call, 0
	.section	.AMDGPU.csdata,"",@progbits
; Kernel info:
; codeLenInByte = 1812
; TotalNumSgprs: 26
; NumVgprs: 54
; NumAgprs: 0
; TotalNumVgprs: 54
; ScratchSize: 0
; MemoryBound: 0
; FloatMode: 240
; IeeeMode: 1
; LDSByteSize: 0 bytes/workgroup (compile time only)
; SGPRBlocks: 3
; VGPRBlocks: 6
; NumSGPRsForWavesPerEU: 26
; NumVGPRsForWavesPerEU: 54
; AccumOffset: 56
; Occupancy: 8
; WaveLimiterHint : 1
; COMPUTE_PGM_RSRC2:SCRATCH_EN: 0
; COMPUTE_PGM_RSRC2:USER_SGPR: 2
; COMPUTE_PGM_RSRC2:TRAP_HANDLER: 0
; COMPUTE_PGM_RSRC2:TGID_X_EN: 1
; COMPUTE_PGM_RSRC2:TGID_Y_EN: 0
; COMPUTE_PGM_RSRC2:TGID_Z_EN: 0
; COMPUTE_PGM_RSRC2:TIDIG_COMP_CNT: 0
; COMPUTE_PGM_RSRC3_GFX90A:ACCUM_OFFSET: 13
; COMPUTE_PGM_RSRC3_GFX90A:TG_SPLIT: 0
	.section	.text._ZN9rocsparseL19gebsrmvn_4xn_kernelILj128ELj7ELj4EfEEvi20rocsparse_direction_NS_24const_host_device_scalarIT2_EEPKiS6_PKS3_S8_S4_PS3_21rocsparse_index_base_b,"axG",@progbits,_ZN9rocsparseL19gebsrmvn_4xn_kernelILj128ELj7ELj4EfEEvi20rocsparse_direction_NS_24const_host_device_scalarIT2_EEPKiS6_PKS3_S8_S4_PS3_21rocsparse_index_base_b,comdat
	.globl	_ZN9rocsparseL19gebsrmvn_4xn_kernelILj128ELj7ELj4EfEEvi20rocsparse_direction_NS_24const_host_device_scalarIT2_EEPKiS6_PKS3_S8_S4_PS3_21rocsparse_index_base_b ; -- Begin function _ZN9rocsparseL19gebsrmvn_4xn_kernelILj128ELj7ELj4EfEEvi20rocsparse_direction_NS_24const_host_device_scalarIT2_EEPKiS6_PKS3_S8_S4_PS3_21rocsparse_index_base_b
	.p2align	8
	.type	_ZN9rocsparseL19gebsrmvn_4xn_kernelILj128ELj7ELj4EfEEvi20rocsparse_direction_NS_24const_host_device_scalarIT2_EEPKiS6_PKS3_S8_S4_PS3_21rocsparse_index_base_b,@function
_ZN9rocsparseL19gebsrmvn_4xn_kernelILj128ELj7ELj4EfEEvi20rocsparse_direction_NS_24const_host_device_scalarIT2_EEPKiS6_PKS3_S8_S4_PS3_21rocsparse_index_base_b: ; @_ZN9rocsparseL19gebsrmvn_4xn_kernelILj128ELj7ELj4EfEEvi20rocsparse_direction_NS_24const_host_device_scalarIT2_EEPKiS6_PKS3_S8_S4_PS3_21rocsparse_index_base_b
; %bb.0:
	s_load_dwordx2 s[16:17], s[0:1], 0x40
	s_load_dwordx2 s[14:15], s[0:1], 0x8
	;; [unrolled: 1-line block ×3, first 2 shown]
	s_waitcnt lgkmcnt(0)
	s_bitcmp1_b32 s17, 0
	s_cselect_b64 s[6:7], -1, 0
	s_xor_b64 s[4:5], s[6:7], -1
	s_and_b64 vcc, exec, s[6:7]
	s_cbranch_vccnz .LBB25_2
; %bb.1:
	s_load_dword s14, s[14:15], 0x0
.LBB25_2:
	s_andn2_b64 vcc, exec, s[4:5]
	s_cbranch_vccnz .LBB25_4
; %bb.3:
	s_load_dword s12, s[12:13], 0x0
.LBB25_4:
	s_waitcnt lgkmcnt(0)
	v_cmp_eq_f32_e64 s[4:5], s14, 0
	v_cmp_eq_f32_e64 s[6:7], s12, 1.0
	s_and_b64 s[4:5], s[4:5], s[6:7]
	s_and_b64 vcc, exec, s[4:5]
	s_cbranch_vccnz .LBB25_22
; %bb.5:
	s_load_dwordx2 s[18:19], s[0:1], 0x0
	v_lshrrev_b32_e32 v1, 2, v0
	v_lshl_or_b32 v2, s2, 5, v1
	s_waitcnt lgkmcnt(0)
	v_cmp_gt_i32_e32 vcc, s18, v2
	s_and_saveexec_b64 s[2:3], vcc
	s_cbranch_execz .LBB25_22
; %bb.6:
	s_load_dwordx8 s[4:11], s[0:1], 0x10
	v_ashrrev_i32_e32 v3, 31, v2
	s_cmp_lg_u32 s19, 0
	s_waitcnt lgkmcnt(0)
	v_lshl_add_u64 v[4:5], v[2:3], 2, s[4:5]
	global_load_dwordx2 v[4:5], v[4:5], off
	v_and_b32_e32 v3, 3, v0
	s_waitcnt vmcnt(0)
	v_subrev_u32_e32 v0, s16, v4
	v_subrev_u32_e32 v14, s16, v5
	v_add_u32_e32 v0, v0, v3
	v_cmp_lt_i32_e64 s[2:3], v0, v14
	s_cbranch_scc0 .LBB25_12
; %bb.7:
	v_mov_b32_e32 v5, 0
	v_mov_b32_e32 v4, v5
	;; [unrolled: 1-line block ×4, first 2 shown]
	s_and_saveexec_b64 s[4:5], s[2:3]
	s_cbranch_execz .LBB25_11
; %bb.8:
	v_mad_u64_u32 v[8:9], s[18:19], v0, 28, 24
	v_mov_b32_e32 v11, 0
	s_mov_b64 s[18:19], 0
	v_mov_b32_e32 v12, v0
	v_mov_b32_e32 v4, v11
	;; [unrolled: 1-line block ×5, first 2 shown]
.LBB25_9:                               ; =>This Inner Loop Header: Depth=1
	v_ashrrev_i32_e32 v13, 31, v12
	v_lshl_add_u64 v[16:17], v[12:13], 2, s[6:7]
	global_load_dword v1, v[16:17], off
	v_subrev_u32_e32 v10, 24, v8
	v_mov_b32_e32 v9, v11
	v_mov_b32_e32 v45, v11
	v_lshl_add_u64 v[16:17], v[10:11], 2, s[8:9]
	v_subrev_u32_e32 v10, 20, v8
	v_lshl_add_u64 v[28:29], v[8:9], 2, s[8:9]
	global_load_dwordx4 v[16:19], v[16:17], off
	v_lshl_add_u64 v[30:31], v[10:11], 2, s[8:9]
	global_load_dwordx4 v[20:23], v[28:29], off
	global_load_dwordx4 v[24:27], v[30:31], off
	v_add_u32_e32 v12, 4, v12
	v_cmp_ge_i32_e32 vcc, v12, v14
	s_or_b64 s[18:19], vcc, s[18:19]
	s_waitcnt vmcnt(3)
	v_subrev_u32_e32 v1, s16, v1
	v_mul_lo_u32 v44, v1, 7
	v_lshl_add_u64 v[28:29], v[44:45], 2, s[10:11]
	v_add_u32_e32 v10, 1, v44
	global_load_dword v46, v[28:29], off
	v_lshl_add_u64 v[28:29], v[10:11], 2, s[10:11]
	v_add_u32_e32 v10, -16, v8
	global_load_dword v48, v[28:29], off
	v_lshl_add_u64 v[28:29], v[10:11], 2, s[8:9]
	v_add_u32_e32 v10, 2, v44
	v_lshl_add_u64 v[32:33], v[10:11], 2, s[10:11]
	v_add_u32_e32 v10, -12, v8
	global_load_dword v50, v[32:33], off
	v_lshl_add_u64 v[32:33], v[10:11], 2, s[8:9]
	v_add_u32_e32 v10, 3, v44
	;; [unrolled: 5-line block ×3, first 2 shown]
	global_load_dwordx4 v[28:31], v[28:29], off
	v_lshl_add_u64 v[40:41], v[10:11], 2, s[10:11]
	v_add_u32_e32 v10, -4, v8
	global_load_dwordx4 v[32:35], v[32:33], off
	v_add_u32_e32 v8, 0x70, v8
	global_load_dword v54, v[40:41], off
	v_lshl_add_u64 v[40:41], v[10:11], 2, s[8:9]
	v_add_u32_e32 v10, 5, v44
	global_load_dwordx4 v[36:39], v[36:37], off
	v_lshl_add_u64 v[56:57], v[10:11], 2, s[10:11]
	v_add_u32_e32 v10, 6, v44
	global_load_dwordx4 v[40:43], v[40:41], off
	s_waitcnt vmcnt(8)
	v_pk_fma_f32 v[6:7], v[16:17], v[46:47], v[6:7] op_sel_hi:[1,0,1]
	global_load_dword v44, v[56:57], off
	v_lshl_add_u64 v[56:57], v[10:11], 2, s[10:11]
	global_load_dword v10, v[56:57], off
	v_pk_fma_f32 v[4:5], v[18:19], v[46:47], v[4:5] op_sel_hi:[1,0,1]
	s_waitcnt vmcnt(9)
	v_pk_fma_f32 v[6:7], v[24:25], v[48:49], v[6:7] op_sel_hi:[1,0,1]
	v_pk_fma_f32 v[4:5], v[26:27], v[48:49], v[4:5] op_sel_hi:[1,0,1]
	s_waitcnt vmcnt(6)
	v_pk_fma_f32 v[6:7], v[28:29], v[50:51], v[6:7] op_sel_hi:[1,0,1]
	;; [unrolled: 3-line block ×6, first 2 shown]
	v_pk_fma_f32 v[4:5], v[22:23], v[10:11], v[4:5] op_sel_hi:[1,0,1]
	s_andn2_b64 exec, exec, s[18:19]
	s_cbranch_execnz .LBB25_9
; %bb.10:
	s_or_b64 exec, exec, s[18:19]
.LBB25_11:
	s_or_b64 exec, exec, s[4:5]
	s_cbranch_execz .LBB25_13
	s_branch .LBB25_18
.LBB25_12:
                                        ; implicit-def: $vgpr5
                                        ; implicit-def: $vgpr7
.LBB25_13:
	v_mov_b32_e32 v5, 0
	v_mov_b32_e32 v4, v5
	;; [unrolled: 1-line block ×4, first 2 shown]
	s_and_saveexec_b64 s[4:5], s[2:3]
	s_cbranch_execz .LBB25_17
; %bb.14:
	v_mad_u64_u32 v[8:9], s[2:3], v0, 28, 27
	v_mov_b32_e32 v11, 0
	s_mov_b64 s[2:3], 0
	v_mov_b32_e32 v4, v11
	v_mov_b32_e32 v5, v11
	;; [unrolled: 1-line block ×4, first 2 shown]
.LBB25_15:                              ; =>This Inner Loop Header: Depth=1
	v_ashrrev_i32_e32 v1, 31, v0
	v_lshl_add_u64 v[12:13], v[0:1], 2, s[6:7]
	global_load_dword v1, v[12:13], off
	v_subrev_u32_e32 v10, 27, v8
	v_add_u32_e32 v18, -13, v8
	v_mov_b32_e32 v19, v11
	v_subrev_u32_e32 v16, 20, v8
	v_add_u32_e32 v20, -6, v8
	v_mov_b32_e32 v17, v11
	v_mov_b32_e32 v21, v11
	v_lshl_add_u64 v[22:23], v[10:11], 2, s[8:9]
	v_lshl_add_u64 v[18:19], v[18:19], 2, s[8:9]
	;; [unrolled: 1-line block ×4, first 2 shown]
	global_load_dwordx4 v[62:65], v[22:23], off
	global_load_dword v27, v[16:17], off
	global_load_dword v28, v[18:19], off
	;; [unrolled: 1-line block ×3, first 2 shown]
	v_mov_b32_e32 v13, v11
	v_mov_b32_e32 v9, v11
	v_lshl_add_u64 v[24:25], v[8:9], 2, s[8:9]
	v_add_u32_e32 v0, 4, v0
	v_cmp_ge_i32_e32 vcc, v0, v14
	s_or_b64 s[2:3], vcc, s[2:3]
	s_waitcnt vmcnt(4)
	v_subrev_u32_e32 v1, s16, v1
	v_mul_lo_u32 v12, v1, 7
	v_add_u32_e32 v10, 1, v12
	v_lshl_add_u64 v[18:19], v[10:11], 2, s[10:11]
	v_subrev_u32_e32 v10, 19, v8
	v_lshl_add_u64 v[20:21], v[10:11], 2, s[8:9]
	v_add_u32_e32 v10, -12, v8
	v_lshl_add_u64 v[16:17], v[12:13], 2, s[10:11]
	global_load_dword v13, v[20:21], off
	v_lshl_add_u64 v[20:21], v[10:11], 2, s[8:9]
	v_add_u32_e32 v10, -5, v8
	v_lshl_add_u64 v[22:23], v[10:11], 2, s[8:9]
	v_add_u32_e32 v10, 2, v12
	global_load_dword v16, v[16:17], off
	s_waitcnt vmcnt(5)
	v_mov_b32_e32 v26, v62
	global_load_dword v18, v[18:19], off
	s_nop 0
	global_load_dword v30, v[20:21], off
	global_load_dword v31, v[22:23], off
	v_lshl_add_u64 v[20:21], v[10:11], 2, s[10:11]
	v_subrev_u32_e32 v10, 18, v8
	v_lshl_add_u64 v[22:23], v[10:11], 2, s[8:9]
	v_add_u32_e32 v10, -11, v8
	v_lshl_add_u64 v[32:33], v[10:11], 2, s[8:9]
	v_add_u32_e32 v10, -4, v8
	v_lshl_add_u64 v[34:35], v[10:11], 2, s[8:9]
	v_add_u32_e32 v10, 3, v12
	global_load_dword v20, v[20:21], off
	v_mov_b32_e32 v40, v65
	global_load_dword v23, v[22:23], off
	s_nop 0
	global_load_dword v36, v[32:33], off
	global_load_dword v37, v[34:35], off
	v_lshl_add_u64 v[32:33], v[10:11], 2, s[10:11]
	v_subrev_u32_e32 v10, 17, v8
	v_lshl_add_u64 v[34:35], v[10:11], 2, s[8:9]
	v_add_u32_e32 v10, -10, v8
	v_lshl_add_u64 v[38:39], v[10:11], 2, s[8:9]
	v_add_u32_e32 v10, -3, v8
	global_load_dword v32, v[32:33], off
	s_nop 0
	global_load_dword v41, v[34:35], off
	global_load_dword v42, v[38:39], off
	v_lshl_add_u64 v[34:35], v[10:11], 2, s[8:9]
	v_subrev_u32_e32 v10, 23, v8
	v_lshl_add_u64 v[38:39], v[10:11], 2, s[8:9]
	v_add_u32_e32 v10, 4, v12
	global_load_dword v43, v[34:35], off
	global_load_dword v44, v[38:39], off
	v_lshl_add_u64 v[34:35], v[10:11], 2, s[10:11]
	v_add_u32_e32 v10, -16, v8
	v_lshl_add_u64 v[38:39], v[10:11], 2, s[8:9]
	v_add_u32_e32 v10, -9, v8
	v_lshl_add_u64 v[46:47], v[10:11], 2, s[8:9]
	v_add_u32_e32 v10, -2, v8
	global_load_dword v34, v[34:35], off
	s_nop 0
	global_load_dword v45, v[38:39], off
	global_load_dword v48, v[46:47], off
	v_lshl_add_u64 v[38:39], v[10:11], 2, s[8:9]
	v_subrev_u32_e32 v10, 22, v8
	v_lshl_add_u64 v[46:47], v[10:11], 2, s[8:9]
	v_add_u32_e32 v10, 5, v12
	global_load_dword v49, v[38:39], off
	global_load_dword v50, v[46:47], off
	v_lshl_add_u64 v[38:39], v[10:11], 2, s[10:11]
	v_add_u32_e32 v10, -15, v8
	;; [unrolled: 16-line block ×3, first 2 shown]
	v_lshl_add_u64 v[52:53], v[10:11], 2, s[8:9]
	v_add_u32_e32 v10, -7, v8
	global_load_dword v46, v[46:47], off
	v_lshl_add_u64 v[58:59], v[10:11], 2, s[8:9]
	global_load_dword v57, v[52:53], off
	global_load_dword v60, v[58:59], off
	;; [unrolled: 1-line block ×3, first 2 shown]
	v_mov_b32_e32 v12, v63
	v_mov_b32_e32 v22, v64
	v_add_u32_e32 v8, 0x70, v8
	s_waitcnt vmcnt(26)
	v_pk_fma_f32 v[6:7], v[26:27], v[16:17], v[6:7] op_sel_hi:[1,0,1]
	v_pk_fma_f32 v[4:5], v[28:29], v[16:17], v[4:5] op_sel_hi:[1,0,1]
	s_waitcnt vmcnt(25)
	v_pk_fma_f32 v[6:7], v[12:13], v[18:19], v[6:7] op_sel_hi:[1,0,1]
	s_waitcnt vmcnt(23)
	;; [unrolled: 2-line block ×12, first 2 shown]
	v_pk_fma_f32 v[4:5], v[60:61], v[46:47], v[4:5] op_sel_hi:[1,0,1]
	s_andn2_b64 exec, exec, s[2:3]
	s_cbranch_execnz .LBB25_15
; %bb.16:
	s_or_b64 exec, exec, s[2:3]
.LBB25_17:
	s_or_b64 exec, exec, s[4:5]
.LBB25_18:
	v_mov_b32_dpp v0, v6 row_shr:1 row_mask:0xf bank_mask:0xf
	v_mov_b32_dpp v1, v7 row_shr:1 row_mask:0xf bank_mask:0xf
	;; [unrolled: 1-line block ×4, first 2 shown]
	v_pk_add_f32 v[0:1], v[6:7], v[0:1]
	v_pk_add_f32 v[8:9], v[4:5], v[8:9]
	v_cmp_eq_u32_e32 vcc, 3, v3
	v_mov_b32_dpp v6, v0 row_shr:2 row_mask:0xf bank_mask:0xf
	v_mov_b32_dpp v7, v1 row_shr:2 row_mask:0xf bank_mask:0xf
	;; [unrolled: 1-line block ×4, first 2 shown]
	s_and_b64 exec, exec, vcc
	s_cbranch_execz .LBB25_22
; %bb.19:
	s_load_dwordx2 s[0:1], s[0:1], 0x38
	v_cmp_eq_f32_e64 s[2:3], s12, 0
	v_pk_add_f32 v[4:5], v[0:1], v[6:7]
	v_pk_add_f32 v[0:1], v[8:9], v[10:11]
	s_and_b64 vcc, exec, s[2:3]
	v_lshlrev_b32_e32 v2, 2, v2
	s_cbranch_vccz .LBB25_23
; %bb.20:
	v_ashrrev_i32_e32 v3, 31, v2
	s_waitcnt lgkmcnt(0)
	v_lshl_add_u64 v[10:11], v[2:3], 2, s[0:1]
	v_pk_mul_f32 v[6:7], s[14:15], v[4:5] op_sel_hi:[0,1]
	v_pk_mul_f32 v[8:9], s[14:15], v[0:1] op_sel_hi:[0,1]
	global_store_dwordx4 v[10:11], v[6:9], off
	s_cbranch_execnz .LBB25_22
.LBB25_21:
	v_ashrrev_i32_e32 v3, 31, v2
	s_waitcnt lgkmcnt(0)
	v_lshl_add_u64 v[10:11], v[2:3], 2, s[0:1]
	global_load_dwordx4 v[6:9], v[10:11], off
	v_pk_mul_f32 v[2:3], s[14:15], v[4:5] op_sel_hi:[0,1]
	v_pk_mul_f32 v[4:5], s[14:15], v[0:1] op_sel_hi:[0,1]
	s_waitcnt vmcnt(0)
	v_pk_fma_f32 v[0:1], s[12:13], v[6:7], v[2:3] op_sel_hi:[0,1,1]
	v_pk_fma_f32 v[2:3], s[12:13], v[8:9], v[4:5] op_sel_hi:[0,1,1]
	global_store_dwordx4 v[10:11], v[0:3], off
.LBB25_22:
	s_endpgm
.LBB25_23:
	s_branch .LBB25_21
	.section	.rodata,"a",@progbits
	.p2align	6, 0x0
	.amdhsa_kernel _ZN9rocsparseL19gebsrmvn_4xn_kernelILj128ELj7ELj4EfEEvi20rocsparse_direction_NS_24const_host_device_scalarIT2_EEPKiS6_PKS3_S8_S4_PS3_21rocsparse_index_base_b
		.amdhsa_group_segment_fixed_size 0
		.amdhsa_private_segment_fixed_size 0
		.amdhsa_kernarg_size 72
		.amdhsa_user_sgpr_count 2
		.amdhsa_user_sgpr_dispatch_ptr 0
		.amdhsa_user_sgpr_queue_ptr 0
		.amdhsa_user_sgpr_kernarg_segment_ptr 1
		.amdhsa_user_sgpr_dispatch_id 0
		.amdhsa_user_sgpr_kernarg_preload_length 0
		.amdhsa_user_sgpr_kernarg_preload_offset 0
		.amdhsa_user_sgpr_private_segment_size 0
		.amdhsa_uses_dynamic_stack 0
		.amdhsa_enable_private_segment 0
		.amdhsa_system_sgpr_workgroup_id_x 1
		.amdhsa_system_sgpr_workgroup_id_y 0
		.amdhsa_system_sgpr_workgroup_id_z 0
		.amdhsa_system_sgpr_workgroup_info 0
		.amdhsa_system_vgpr_workitem_id 0
		.amdhsa_next_free_vgpr 66
		.amdhsa_next_free_sgpr 20
		.amdhsa_accum_offset 68
		.amdhsa_reserve_vcc 1
		.amdhsa_float_round_mode_32 0
		.amdhsa_float_round_mode_16_64 0
		.amdhsa_float_denorm_mode_32 3
		.amdhsa_float_denorm_mode_16_64 3
		.amdhsa_dx10_clamp 1
		.amdhsa_ieee_mode 1
		.amdhsa_fp16_overflow 0
		.amdhsa_tg_split 0
		.amdhsa_exception_fp_ieee_invalid_op 0
		.amdhsa_exception_fp_denorm_src 0
		.amdhsa_exception_fp_ieee_div_zero 0
		.amdhsa_exception_fp_ieee_overflow 0
		.amdhsa_exception_fp_ieee_underflow 0
		.amdhsa_exception_fp_ieee_inexact 0
		.amdhsa_exception_int_div_zero 0
	.end_amdhsa_kernel
	.section	.text._ZN9rocsparseL19gebsrmvn_4xn_kernelILj128ELj7ELj4EfEEvi20rocsparse_direction_NS_24const_host_device_scalarIT2_EEPKiS6_PKS3_S8_S4_PS3_21rocsparse_index_base_b,"axG",@progbits,_ZN9rocsparseL19gebsrmvn_4xn_kernelILj128ELj7ELj4EfEEvi20rocsparse_direction_NS_24const_host_device_scalarIT2_EEPKiS6_PKS3_S8_S4_PS3_21rocsparse_index_base_b,comdat
.Lfunc_end25:
	.size	_ZN9rocsparseL19gebsrmvn_4xn_kernelILj128ELj7ELj4EfEEvi20rocsparse_direction_NS_24const_host_device_scalarIT2_EEPKiS6_PKS3_S8_S4_PS3_21rocsparse_index_base_b, .Lfunc_end25-_ZN9rocsparseL19gebsrmvn_4xn_kernelILj128ELj7ELj4EfEEvi20rocsparse_direction_NS_24const_host_device_scalarIT2_EEPKiS6_PKS3_S8_S4_PS3_21rocsparse_index_base_b
                                        ; -- End function
	.set _ZN9rocsparseL19gebsrmvn_4xn_kernelILj128ELj7ELj4EfEEvi20rocsparse_direction_NS_24const_host_device_scalarIT2_EEPKiS6_PKS3_S8_S4_PS3_21rocsparse_index_base_b.num_vgpr, 66
	.set _ZN9rocsparseL19gebsrmvn_4xn_kernelILj128ELj7ELj4EfEEvi20rocsparse_direction_NS_24const_host_device_scalarIT2_EEPKiS6_PKS3_S8_S4_PS3_21rocsparse_index_base_b.num_agpr, 0
	.set _ZN9rocsparseL19gebsrmvn_4xn_kernelILj128ELj7ELj4EfEEvi20rocsparse_direction_NS_24const_host_device_scalarIT2_EEPKiS6_PKS3_S8_S4_PS3_21rocsparse_index_base_b.numbered_sgpr, 20
	.set _ZN9rocsparseL19gebsrmvn_4xn_kernelILj128ELj7ELj4EfEEvi20rocsparse_direction_NS_24const_host_device_scalarIT2_EEPKiS6_PKS3_S8_S4_PS3_21rocsparse_index_base_b.num_named_barrier, 0
	.set _ZN9rocsparseL19gebsrmvn_4xn_kernelILj128ELj7ELj4EfEEvi20rocsparse_direction_NS_24const_host_device_scalarIT2_EEPKiS6_PKS3_S8_S4_PS3_21rocsparse_index_base_b.private_seg_size, 0
	.set _ZN9rocsparseL19gebsrmvn_4xn_kernelILj128ELj7ELj4EfEEvi20rocsparse_direction_NS_24const_host_device_scalarIT2_EEPKiS6_PKS3_S8_S4_PS3_21rocsparse_index_base_b.uses_vcc, 1
	.set _ZN9rocsparseL19gebsrmvn_4xn_kernelILj128ELj7ELj4EfEEvi20rocsparse_direction_NS_24const_host_device_scalarIT2_EEPKiS6_PKS3_S8_S4_PS3_21rocsparse_index_base_b.uses_flat_scratch, 0
	.set _ZN9rocsparseL19gebsrmvn_4xn_kernelILj128ELj7ELj4EfEEvi20rocsparse_direction_NS_24const_host_device_scalarIT2_EEPKiS6_PKS3_S8_S4_PS3_21rocsparse_index_base_b.has_dyn_sized_stack, 0
	.set _ZN9rocsparseL19gebsrmvn_4xn_kernelILj128ELj7ELj4EfEEvi20rocsparse_direction_NS_24const_host_device_scalarIT2_EEPKiS6_PKS3_S8_S4_PS3_21rocsparse_index_base_b.has_recursion, 0
	.set _ZN9rocsparseL19gebsrmvn_4xn_kernelILj128ELj7ELj4EfEEvi20rocsparse_direction_NS_24const_host_device_scalarIT2_EEPKiS6_PKS3_S8_S4_PS3_21rocsparse_index_base_b.has_indirect_call, 0
	.section	.AMDGPU.csdata,"",@progbits
; Kernel info:
; codeLenInByte = 2008
; TotalNumSgprs: 26
; NumVgprs: 66
; NumAgprs: 0
; TotalNumVgprs: 66
; ScratchSize: 0
; MemoryBound: 0
; FloatMode: 240
; IeeeMode: 1
; LDSByteSize: 0 bytes/workgroup (compile time only)
; SGPRBlocks: 3
; VGPRBlocks: 8
; NumSGPRsForWavesPerEU: 26
; NumVGPRsForWavesPerEU: 66
; AccumOffset: 68
; Occupancy: 7
; WaveLimiterHint : 1
; COMPUTE_PGM_RSRC2:SCRATCH_EN: 0
; COMPUTE_PGM_RSRC2:USER_SGPR: 2
; COMPUTE_PGM_RSRC2:TRAP_HANDLER: 0
; COMPUTE_PGM_RSRC2:TGID_X_EN: 1
; COMPUTE_PGM_RSRC2:TGID_Y_EN: 0
; COMPUTE_PGM_RSRC2:TGID_Z_EN: 0
; COMPUTE_PGM_RSRC2:TIDIG_COMP_CNT: 0
; COMPUTE_PGM_RSRC3_GFX90A:ACCUM_OFFSET: 16
; COMPUTE_PGM_RSRC3_GFX90A:TG_SPLIT: 0
	.section	.text._ZN9rocsparseL19gebsrmvn_4xn_kernelILj128ELj7ELj8EfEEvi20rocsparse_direction_NS_24const_host_device_scalarIT2_EEPKiS6_PKS3_S8_S4_PS3_21rocsparse_index_base_b,"axG",@progbits,_ZN9rocsparseL19gebsrmvn_4xn_kernelILj128ELj7ELj8EfEEvi20rocsparse_direction_NS_24const_host_device_scalarIT2_EEPKiS6_PKS3_S8_S4_PS3_21rocsparse_index_base_b,comdat
	.globl	_ZN9rocsparseL19gebsrmvn_4xn_kernelILj128ELj7ELj8EfEEvi20rocsparse_direction_NS_24const_host_device_scalarIT2_EEPKiS6_PKS3_S8_S4_PS3_21rocsparse_index_base_b ; -- Begin function _ZN9rocsparseL19gebsrmvn_4xn_kernelILj128ELj7ELj8EfEEvi20rocsparse_direction_NS_24const_host_device_scalarIT2_EEPKiS6_PKS3_S8_S4_PS3_21rocsparse_index_base_b
	.p2align	8
	.type	_ZN9rocsparseL19gebsrmvn_4xn_kernelILj128ELj7ELj8EfEEvi20rocsparse_direction_NS_24const_host_device_scalarIT2_EEPKiS6_PKS3_S8_S4_PS3_21rocsparse_index_base_b,@function
_ZN9rocsparseL19gebsrmvn_4xn_kernelILj128ELj7ELj8EfEEvi20rocsparse_direction_NS_24const_host_device_scalarIT2_EEPKiS6_PKS3_S8_S4_PS3_21rocsparse_index_base_b: ; @_ZN9rocsparseL19gebsrmvn_4xn_kernelILj128ELj7ELj8EfEEvi20rocsparse_direction_NS_24const_host_device_scalarIT2_EEPKiS6_PKS3_S8_S4_PS3_21rocsparse_index_base_b
; %bb.0:
	s_load_dwordx2 s[16:17], s[0:1], 0x40
	s_load_dwordx2 s[14:15], s[0:1], 0x8
	;; [unrolled: 1-line block ×3, first 2 shown]
	s_waitcnt lgkmcnt(0)
	s_bitcmp1_b32 s17, 0
	s_cselect_b64 s[6:7], -1, 0
	s_xor_b64 s[4:5], s[6:7], -1
	s_and_b64 vcc, exec, s[6:7]
	s_cbranch_vccnz .LBB26_2
; %bb.1:
	s_load_dword s14, s[14:15], 0x0
.LBB26_2:
	s_andn2_b64 vcc, exec, s[4:5]
	s_cbranch_vccnz .LBB26_4
; %bb.3:
	s_load_dword s12, s[12:13], 0x0
.LBB26_4:
	s_waitcnt lgkmcnt(0)
	v_cmp_eq_f32_e64 s[4:5], s14, 0
	v_cmp_eq_f32_e64 s[6:7], s12, 1.0
	s_and_b64 s[4:5], s[4:5], s[6:7]
	s_and_b64 vcc, exec, s[4:5]
	s_cbranch_vccnz .LBB26_22
; %bb.5:
	s_load_dwordx2 s[18:19], s[0:1], 0x0
	v_lshrrev_b32_e32 v1, 3, v0
	v_lshl_or_b32 v2, s2, 4, v1
	s_waitcnt lgkmcnt(0)
	v_cmp_gt_i32_e32 vcc, s18, v2
	s_and_saveexec_b64 s[2:3], vcc
	s_cbranch_execz .LBB26_22
; %bb.6:
	s_load_dwordx8 s[4:11], s[0:1], 0x10
	v_ashrrev_i32_e32 v3, 31, v2
	s_cmp_lg_u32 s19, 0
	s_waitcnt lgkmcnt(0)
	v_lshl_add_u64 v[4:5], v[2:3], 2, s[4:5]
	global_load_dwordx2 v[4:5], v[4:5], off
	v_and_b32_e32 v3, 7, v0
	s_waitcnt vmcnt(0)
	v_subrev_u32_e32 v0, s16, v4
	v_subrev_u32_e32 v14, s16, v5
	v_add_u32_e32 v0, v0, v3
	v_cmp_lt_i32_e64 s[2:3], v0, v14
	s_cbranch_scc0 .LBB26_12
; %bb.7:
	v_mov_b32_e32 v5, 0
	v_mov_b32_e32 v4, v5
	;; [unrolled: 1-line block ×4, first 2 shown]
	s_and_saveexec_b64 s[4:5], s[2:3]
	s_cbranch_execz .LBB26_11
; %bb.8:
	v_mad_u64_u32 v[8:9], s[18:19], v0, 28, 24
	v_mov_b32_e32 v11, 0
	s_mov_b64 s[18:19], 0
	v_mov_b32_e32 v12, v0
	v_mov_b32_e32 v4, v11
	;; [unrolled: 1-line block ×5, first 2 shown]
.LBB26_9:                               ; =>This Inner Loop Header: Depth=1
	v_ashrrev_i32_e32 v13, 31, v12
	v_lshl_add_u64 v[16:17], v[12:13], 2, s[6:7]
	global_load_dword v1, v[16:17], off
	v_subrev_u32_e32 v10, 24, v8
	v_mov_b32_e32 v9, v11
	v_mov_b32_e32 v45, v11
	v_lshl_add_u64 v[16:17], v[10:11], 2, s[8:9]
	v_subrev_u32_e32 v10, 20, v8
	v_lshl_add_u64 v[28:29], v[8:9], 2, s[8:9]
	global_load_dwordx4 v[16:19], v[16:17], off
	v_lshl_add_u64 v[30:31], v[10:11], 2, s[8:9]
	global_load_dwordx4 v[20:23], v[28:29], off
	global_load_dwordx4 v[24:27], v[30:31], off
	v_add_u32_e32 v12, 8, v12
	v_cmp_ge_i32_e32 vcc, v12, v14
	s_or_b64 s[18:19], vcc, s[18:19]
	s_waitcnt vmcnt(3)
	v_subrev_u32_e32 v1, s16, v1
	v_mul_lo_u32 v44, v1, 7
	v_lshl_add_u64 v[28:29], v[44:45], 2, s[10:11]
	v_add_u32_e32 v10, 1, v44
	global_load_dword v46, v[28:29], off
	v_lshl_add_u64 v[28:29], v[10:11], 2, s[10:11]
	v_add_u32_e32 v10, -16, v8
	global_load_dword v48, v[28:29], off
	v_lshl_add_u64 v[28:29], v[10:11], 2, s[8:9]
	v_add_u32_e32 v10, 2, v44
	v_lshl_add_u64 v[32:33], v[10:11], 2, s[10:11]
	v_add_u32_e32 v10, -12, v8
	global_load_dword v50, v[32:33], off
	v_lshl_add_u64 v[32:33], v[10:11], 2, s[8:9]
	v_add_u32_e32 v10, 3, v44
	;; [unrolled: 5-line block ×3, first 2 shown]
	global_load_dwordx4 v[28:31], v[28:29], off
	v_lshl_add_u64 v[40:41], v[10:11], 2, s[10:11]
	v_add_u32_e32 v10, -4, v8
	global_load_dwordx4 v[32:35], v[32:33], off
	v_add_u32_e32 v8, 0xe0, v8
	global_load_dword v54, v[40:41], off
	v_lshl_add_u64 v[40:41], v[10:11], 2, s[8:9]
	v_add_u32_e32 v10, 5, v44
	global_load_dwordx4 v[36:39], v[36:37], off
	v_lshl_add_u64 v[56:57], v[10:11], 2, s[10:11]
	v_add_u32_e32 v10, 6, v44
	global_load_dwordx4 v[40:43], v[40:41], off
	s_waitcnt vmcnt(8)
	v_pk_fma_f32 v[6:7], v[16:17], v[46:47], v[6:7] op_sel_hi:[1,0,1]
	global_load_dword v44, v[56:57], off
	v_lshl_add_u64 v[56:57], v[10:11], 2, s[10:11]
	global_load_dword v10, v[56:57], off
	v_pk_fma_f32 v[4:5], v[18:19], v[46:47], v[4:5] op_sel_hi:[1,0,1]
	s_waitcnt vmcnt(9)
	v_pk_fma_f32 v[6:7], v[24:25], v[48:49], v[6:7] op_sel_hi:[1,0,1]
	v_pk_fma_f32 v[4:5], v[26:27], v[48:49], v[4:5] op_sel_hi:[1,0,1]
	s_waitcnt vmcnt(6)
	v_pk_fma_f32 v[6:7], v[28:29], v[50:51], v[6:7] op_sel_hi:[1,0,1]
	;; [unrolled: 3-line block ×6, first 2 shown]
	v_pk_fma_f32 v[4:5], v[22:23], v[10:11], v[4:5] op_sel_hi:[1,0,1]
	s_andn2_b64 exec, exec, s[18:19]
	s_cbranch_execnz .LBB26_9
; %bb.10:
	s_or_b64 exec, exec, s[18:19]
.LBB26_11:
	s_or_b64 exec, exec, s[4:5]
	s_cbranch_execz .LBB26_13
	s_branch .LBB26_18
.LBB26_12:
                                        ; implicit-def: $vgpr5
                                        ; implicit-def: $vgpr7
.LBB26_13:
	v_mov_b32_e32 v5, 0
	v_mov_b32_e32 v4, v5
	;; [unrolled: 1-line block ×4, first 2 shown]
	s_and_saveexec_b64 s[4:5], s[2:3]
	s_cbranch_execz .LBB26_17
; %bb.14:
	v_mad_u64_u32 v[8:9], s[2:3], v0, 28, 27
	v_mov_b32_e32 v11, 0
	s_mov_b64 s[2:3], 0
	v_mov_b32_e32 v4, v11
	v_mov_b32_e32 v5, v11
	;; [unrolled: 1-line block ×4, first 2 shown]
.LBB26_15:                              ; =>This Inner Loop Header: Depth=1
	v_ashrrev_i32_e32 v1, 31, v0
	v_lshl_add_u64 v[12:13], v[0:1], 2, s[6:7]
	global_load_dword v1, v[12:13], off
	v_subrev_u32_e32 v10, 27, v8
	v_add_u32_e32 v18, -13, v8
	v_mov_b32_e32 v19, v11
	v_subrev_u32_e32 v16, 20, v8
	v_add_u32_e32 v20, -6, v8
	v_mov_b32_e32 v17, v11
	v_mov_b32_e32 v21, v11
	v_lshl_add_u64 v[22:23], v[10:11], 2, s[8:9]
	v_lshl_add_u64 v[18:19], v[18:19], 2, s[8:9]
	;; [unrolled: 1-line block ×4, first 2 shown]
	global_load_dwordx4 v[62:65], v[22:23], off
	global_load_dword v27, v[16:17], off
	global_load_dword v28, v[18:19], off
	;; [unrolled: 1-line block ×3, first 2 shown]
	v_mov_b32_e32 v13, v11
	v_mov_b32_e32 v9, v11
	v_lshl_add_u64 v[24:25], v[8:9], 2, s[8:9]
	v_add_u32_e32 v0, 8, v0
	v_cmp_ge_i32_e32 vcc, v0, v14
	s_or_b64 s[2:3], vcc, s[2:3]
	s_waitcnt vmcnt(4)
	v_subrev_u32_e32 v1, s16, v1
	v_mul_lo_u32 v12, v1, 7
	v_add_u32_e32 v10, 1, v12
	v_lshl_add_u64 v[18:19], v[10:11], 2, s[10:11]
	v_subrev_u32_e32 v10, 19, v8
	v_lshl_add_u64 v[20:21], v[10:11], 2, s[8:9]
	v_add_u32_e32 v10, -12, v8
	v_lshl_add_u64 v[16:17], v[12:13], 2, s[10:11]
	global_load_dword v13, v[20:21], off
	v_lshl_add_u64 v[20:21], v[10:11], 2, s[8:9]
	v_add_u32_e32 v10, -5, v8
	v_lshl_add_u64 v[22:23], v[10:11], 2, s[8:9]
	v_add_u32_e32 v10, 2, v12
	global_load_dword v16, v[16:17], off
	s_waitcnt vmcnt(5)
	v_mov_b32_e32 v26, v62
	global_load_dword v18, v[18:19], off
	s_nop 0
	global_load_dword v30, v[20:21], off
	global_load_dword v31, v[22:23], off
	v_lshl_add_u64 v[20:21], v[10:11], 2, s[10:11]
	v_subrev_u32_e32 v10, 18, v8
	v_lshl_add_u64 v[22:23], v[10:11], 2, s[8:9]
	v_add_u32_e32 v10, -11, v8
	v_lshl_add_u64 v[32:33], v[10:11], 2, s[8:9]
	v_add_u32_e32 v10, -4, v8
	v_lshl_add_u64 v[34:35], v[10:11], 2, s[8:9]
	v_add_u32_e32 v10, 3, v12
	global_load_dword v20, v[20:21], off
	v_mov_b32_e32 v40, v65
	global_load_dword v23, v[22:23], off
	s_nop 0
	global_load_dword v36, v[32:33], off
	global_load_dword v37, v[34:35], off
	v_lshl_add_u64 v[32:33], v[10:11], 2, s[10:11]
	v_subrev_u32_e32 v10, 17, v8
	v_lshl_add_u64 v[34:35], v[10:11], 2, s[8:9]
	v_add_u32_e32 v10, -10, v8
	v_lshl_add_u64 v[38:39], v[10:11], 2, s[8:9]
	v_add_u32_e32 v10, -3, v8
	global_load_dword v32, v[32:33], off
	s_nop 0
	global_load_dword v41, v[34:35], off
	global_load_dword v42, v[38:39], off
	v_lshl_add_u64 v[34:35], v[10:11], 2, s[8:9]
	v_subrev_u32_e32 v10, 23, v8
	v_lshl_add_u64 v[38:39], v[10:11], 2, s[8:9]
	v_add_u32_e32 v10, 4, v12
	global_load_dword v43, v[34:35], off
	global_load_dword v44, v[38:39], off
	v_lshl_add_u64 v[34:35], v[10:11], 2, s[10:11]
	v_add_u32_e32 v10, -16, v8
	v_lshl_add_u64 v[38:39], v[10:11], 2, s[8:9]
	v_add_u32_e32 v10, -9, v8
	v_lshl_add_u64 v[46:47], v[10:11], 2, s[8:9]
	v_add_u32_e32 v10, -2, v8
	global_load_dword v34, v[34:35], off
	s_nop 0
	global_load_dword v45, v[38:39], off
	global_load_dword v48, v[46:47], off
	v_lshl_add_u64 v[38:39], v[10:11], 2, s[8:9]
	v_subrev_u32_e32 v10, 22, v8
	v_lshl_add_u64 v[46:47], v[10:11], 2, s[8:9]
	v_add_u32_e32 v10, 5, v12
	global_load_dword v49, v[38:39], off
	global_load_dword v50, v[46:47], off
	v_lshl_add_u64 v[38:39], v[10:11], 2, s[10:11]
	v_add_u32_e32 v10, -15, v8
	;; [unrolled: 16-line block ×3, first 2 shown]
	v_lshl_add_u64 v[52:53], v[10:11], 2, s[8:9]
	v_add_u32_e32 v10, -7, v8
	global_load_dword v46, v[46:47], off
	v_lshl_add_u64 v[58:59], v[10:11], 2, s[8:9]
	global_load_dword v57, v[52:53], off
	global_load_dword v60, v[58:59], off
	;; [unrolled: 1-line block ×3, first 2 shown]
	v_mov_b32_e32 v12, v63
	v_mov_b32_e32 v22, v64
	v_add_u32_e32 v8, 0xe0, v8
	s_waitcnt vmcnt(26)
	v_pk_fma_f32 v[6:7], v[26:27], v[16:17], v[6:7] op_sel_hi:[1,0,1]
	v_pk_fma_f32 v[4:5], v[28:29], v[16:17], v[4:5] op_sel_hi:[1,0,1]
	s_waitcnt vmcnt(25)
	v_pk_fma_f32 v[6:7], v[12:13], v[18:19], v[6:7] op_sel_hi:[1,0,1]
	s_waitcnt vmcnt(23)
	v_pk_fma_f32 v[4:5], v[30:31], v[18:19], v[4:5] op_sel_hi:[1,0,1]
	s_waitcnt vmcnt(21)
	v_pk_fma_f32 v[6:7], v[22:23], v[20:21], v[6:7] op_sel_hi:[1,0,1]
	s_waitcnt vmcnt(19)
	v_pk_fma_f32 v[4:5], v[36:37], v[20:21], v[4:5] op_sel_hi:[1,0,1]
	s_waitcnt vmcnt(17)
	v_pk_fma_f32 v[6:7], v[40:41], v[32:33], v[6:7] op_sel_hi:[1,0,1]
	s_waitcnt vmcnt(15)
	v_pk_fma_f32 v[4:5], v[42:43], v[32:33], v[4:5] op_sel_hi:[1,0,1]
	s_waitcnt vmcnt(12)
	v_pk_fma_f32 v[6:7], v[44:45], v[34:35], v[6:7] op_sel_hi:[1,0,1]
	s_waitcnt vmcnt(10)
	v_pk_fma_f32 v[4:5], v[48:49], v[34:35], v[4:5] op_sel_hi:[1,0,1]
	s_waitcnt vmcnt(7)
	v_pk_fma_f32 v[6:7], v[50:51], v[38:39], v[6:7] op_sel_hi:[1,0,1]
	s_waitcnt vmcnt(5)
	v_pk_fma_f32 v[4:5], v[54:55], v[38:39], v[4:5] op_sel_hi:[1,0,1]
	s_waitcnt vmcnt(2)
	v_pk_fma_f32 v[6:7], v[56:57], v[46:47], v[6:7] op_sel_hi:[1,0,1]
	s_waitcnt vmcnt(0)
	v_pk_fma_f32 v[4:5], v[60:61], v[46:47], v[4:5] op_sel_hi:[1,0,1]
	s_andn2_b64 exec, exec, s[2:3]
	s_cbranch_execnz .LBB26_15
; %bb.16:
	s_or_b64 exec, exec, s[2:3]
.LBB26_17:
	s_or_b64 exec, exec, s[4:5]
.LBB26_18:
	v_mov_b32_dpp v0, v6 row_shr:1 row_mask:0xf bank_mask:0xf
	v_mov_b32_dpp v1, v7 row_shr:1 row_mask:0xf bank_mask:0xf
	;; [unrolled: 1-line block ×4, first 2 shown]
	v_pk_add_f32 v[0:1], v[6:7], v[0:1]
	v_pk_add_f32 v[4:5], v[4:5], v[8:9]
	v_cmp_eq_u32_e32 vcc, 7, v3
	v_mov_b32_dpp v6, v0 row_shr:2 row_mask:0xf bank_mask:0xf
	v_mov_b32_dpp v7, v1 row_shr:2 row_mask:0xf bank_mask:0xf
	;; [unrolled: 1-line block ×4, first 2 shown]
	v_pk_add_f32 v[0:1], v[0:1], v[6:7]
	v_pk_add_f32 v[8:9], v[4:5], v[8:9]
	s_nop 0
	v_mov_b32_dpp v6, v0 row_shr:4 row_mask:0xf bank_mask:0xe
	v_mov_b32_dpp v7, v1 row_shr:4 row_mask:0xf bank_mask:0xe
	;; [unrolled: 1-line block ×4, first 2 shown]
	s_and_b64 exec, exec, vcc
	s_cbranch_execz .LBB26_22
; %bb.19:
	s_load_dwordx2 s[0:1], s[0:1], 0x38
	v_cmp_eq_f32_e64 s[2:3], s12, 0
	v_pk_add_f32 v[4:5], v[0:1], v[6:7]
	v_pk_add_f32 v[0:1], v[8:9], v[10:11]
	s_and_b64 vcc, exec, s[2:3]
	v_lshlrev_b32_e32 v2, 2, v2
	s_cbranch_vccz .LBB26_23
; %bb.20:
	v_ashrrev_i32_e32 v3, 31, v2
	s_waitcnt lgkmcnt(0)
	v_lshl_add_u64 v[10:11], v[2:3], 2, s[0:1]
	v_pk_mul_f32 v[6:7], s[14:15], v[4:5] op_sel_hi:[0,1]
	v_pk_mul_f32 v[8:9], s[14:15], v[0:1] op_sel_hi:[0,1]
	global_store_dwordx4 v[10:11], v[6:9], off
	s_cbranch_execnz .LBB26_22
.LBB26_21:
	v_ashrrev_i32_e32 v3, 31, v2
	s_waitcnt lgkmcnt(0)
	v_lshl_add_u64 v[10:11], v[2:3], 2, s[0:1]
	global_load_dwordx4 v[6:9], v[10:11], off
	v_pk_mul_f32 v[2:3], s[14:15], v[4:5] op_sel_hi:[0,1]
	v_pk_mul_f32 v[4:5], s[14:15], v[0:1] op_sel_hi:[0,1]
	s_waitcnt vmcnt(0)
	v_pk_fma_f32 v[0:1], s[12:13], v[6:7], v[2:3] op_sel_hi:[0,1,1]
	v_pk_fma_f32 v[2:3], s[12:13], v[8:9], v[4:5] op_sel_hi:[0,1,1]
	global_store_dwordx4 v[10:11], v[0:3], off
.LBB26_22:
	s_endpgm
.LBB26_23:
	s_branch .LBB26_21
	.section	.rodata,"a",@progbits
	.p2align	6, 0x0
	.amdhsa_kernel _ZN9rocsparseL19gebsrmvn_4xn_kernelILj128ELj7ELj8EfEEvi20rocsparse_direction_NS_24const_host_device_scalarIT2_EEPKiS6_PKS3_S8_S4_PS3_21rocsparse_index_base_b
		.amdhsa_group_segment_fixed_size 0
		.amdhsa_private_segment_fixed_size 0
		.amdhsa_kernarg_size 72
		.amdhsa_user_sgpr_count 2
		.amdhsa_user_sgpr_dispatch_ptr 0
		.amdhsa_user_sgpr_queue_ptr 0
		.amdhsa_user_sgpr_kernarg_segment_ptr 1
		.amdhsa_user_sgpr_dispatch_id 0
		.amdhsa_user_sgpr_kernarg_preload_length 0
		.amdhsa_user_sgpr_kernarg_preload_offset 0
		.amdhsa_user_sgpr_private_segment_size 0
		.amdhsa_uses_dynamic_stack 0
		.amdhsa_enable_private_segment 0
		.amdhsa_system_sgpr_workgroup_id_x 1
		.amdhsa_system_sgpr_workgroup_id_y 0
		.amdhsa_system_sgpr_workgroup_id_z 0
		.amdhsa_system_sgpr_workgroup_info 0
		.amdhsa_system_vgpr_workitem_id 0
		.amdhsa_next_free_vgpr 66
		.amdhsa_next_free_sgpr 20
		.amdhsa_accum_offset 68
		.amdhsa_reserve_vcc 1
		.amdhsa_float_round_mode_32 0
		.amdhsa_float_round_mode_16_64 0
		.amdhsa_float_denorm_mode_32 3
		.amdhsa_float_denorm_mode_16_64 3
		.amdhsa_dx10_clamp 1
		.amdhsa_ieee_mode 1
		.amdhsa_fp16_overflow 0
		.amdhsa_tg_split 0
		.amdhsa_exception_fp_ieee_invalid_op 0
		.amdhsa_exception_fp_denorm_src 0
		.amdhsa_exception_fp_ieee_div_zero 0
		.amdhsa_exception_fp_ieee_overflow 0
		.amdhsa_exception_fp_ieee_underflow 0
		.amdhsa_exception_fp_ieee_inexact 0
		.amdhsa_exception_int_div_zero 0
	.end_amdhsa_kernel
	.section	.text._ZN9rocsparseL19gebsrmvn_4xn_kernelILj128ELj7ELj8EfEEvi20rocsparse_direction_NS_24const_host_device_scalarIT2_EEPKiS6_PKS3_S8_S4_PS3_21rocsparse_index_base_b,"axG",@progbits,_ZN9rocsparseL19gebsrmvn_4xn_kernelILj128ELj7ELj8EfEEvi20rocsparse_direction_NS_24const_host_device_scalarIT2_EEPKiS6_PKS3_S8_S4_PS3_21rocsparse_index_base_b,comdat
.Lfunc_end26:
	.size	_ZN9rocsparseL19gebsrmvn_4xn_kernelILj128ELj7ELj8EfEEvi20rocsparse_direction_NS_24const_host_device_scalarIT2_EEPKiS6_PKS3_S8_S4_PS3_21rocsparse_index_base_b, .Lfunc_end26-_ZN9rocsparseL19gebsrmvn_4xn_kernelILj128ELj7ELj8EfEEvi20rocsparse_direction_NS_24const_host_device_scalarIT2_EEPKiS6_PKS3_S8_S4_PS3_21rocsparse_index_base_b
                                        ; -- End function
	.set _ZN9rocsparseL19gebsrmvn_4xn_kernelILj128ELj7ELj8EfEEvi20rocsparse_direction_NS_24const_host_device_scalarIT2_EEPKiS6_PKS3_S8_S4_PS3_21rocsparse_index_base_b.num_vgpr, 66
	.set _ZN9rocsparseL19gebsrmvn_4xn_kernelILj128ELj7ELj8EfEEvi20rocsparse_direction_NS_24const_host_device_scalarIT2_EEPKiS6_PKS3_S8_S4_PS3_21rocsparse_index_base_b.num_agpr, 0
	.set _ZN9rocsparseL19gebsrmvn_4xn_kernelILj128ELj7ELj8EfEEvi20rocsparse_direction_NS_24const_host_device_scalarIT2_EEPKiS6_PKS3_S8_S4_PS3_21rocsparse_index_base_b.numbered_sgpr, 20
	.set _ZN9rocsparseL19gebsrmvn_4xn_kernelILj128ELj7ELj8EfEEvi20rocsparse_direction_NS_24const_host_device_scalarIT2_EEPKiS6_PKS3_S8_S4_PS3_21rocsparse_index_base_b.num_named_barrier, 0
	.set _ZN9rocsparseL19gebsrmvn_4xn_kernelILj128ELj7ELj8EfEEvi20rocsparse_direction_NS_24const_host_device_scalarIT2_EEPKiS6_PKS3_S8_S4_PS3_21rocsparse_index_base_b.private_seg_size, 0
	.set _ZN9rocsparseL19gebsrmvn_4xn_kernelILj128ELj7ELj8EfEEvi20rocsparse_direction_NS_24const_host_device_scalarIT2_EEPKiS6_PKS3_S8_S4_PS3_21rocsparse_index_base_b.uses_vcc, 1
	.set _ZN9rocsparseL19gebsrmvn_4xn_kernelILj128ELj7ELj8EfEEvi20rocsparse_direction_NS_24const_host_device_scalarIT2_EEPKiS6_PKS3_S8_S4_PS3_21rocsparse_index_base_b.uses_flat_scratch, 0
	.set _ZN9rocsparseL19gebsrmvn_4xn_kernelILj128ELj7ELj8EfEEvi20rocsparse_direction_NS_24const_host_device_scalarIT2_EEPKiS6_PKS3_S8_S4_PS3_21rocsparse_index_base_b.has_dyn_sized_stack, 0
	.set _ZN9rocsparseL19gebsrmvn_4xn_kernelILj128ELj7ELj8EfEEvi20rocsparse_direction_NS_24const_host_device_scalarIT2_EEPKiS6_PKS3_S8_S4_PS3_21rocsparse_index_base_b.has_recursion, 0
	.set _ZN9rocsparseL19gebsrmvn_4xn_kernelILj128ELj7ELj8EfEEvi20rocsparse_direction_NS_24const_host_device_scalarIT2_EEPKiS6_PKS3_S8_S4_PS3_21rocsparse_index_base_b.has_indirect_call, 0
	.section	.AMDGPU.csdata,"",@progbits
; Kernel info:
; codeLenInByte = 2060
; TotalNumSgprs: 26
; NumVgprs: 66
; NumAgprs: 0
; TotalNumVgprs: 66
; ScratchSize: 0
; MemoryBound: 0
; FloatMode: 240
; IeeeMode: 1
; LDSByteSize: 0 bytes/workgroup (compile time only)
; SGPRBlocks: 3
; VGPRBlocks: 8
; NumSGPRsForWavesPerEU: 26
; NumVGPRsForWavesPerEU: 66
; AccumOffset: 68
; Occupancy: 7
; WaveLimiterHint : 1
; COMPUTE_PGM_RSRC2:SCRATCH_EN: 0
; COMPUTE_PGM_RSRC2:USER_SGPR: 2
; COMPUTE_PGM_RSRC2:TRAP_HANDLER: 0
; COMPUTE_PGM_RSRC2:TGID_X_EN: 1
; COMPUTE_PGM_RSRC2:TGID_Y_EN: 0
; COMPUTE_PGM_RSRC2:TGID_Z_EN: 0
; COMPUTE_PGM_RSRC2:TIDIG_COMP_CNT: 0
; COMPUTE_PGM_RSRC3_GFX90A:ACCUM_OFFSET: 16
; COMPUTE_PGM_RSRC3_GFX90A:TG_SPLIT: 0
	.section	.text._ZN9rocsparseL19gebsrmvn_4xn_kernelILj128ELj7ELj16EfEEvi20rocsparse_direction_NS_24const_host_device_scalarIT2_EEPKiS6_PKS3_S8_S4_PS3_21rocsparse_index_base_b,"axG",@progbits,_ZN9rocsparseL19gebsrmvn_4xn_kernelILj128ELj7ELj16EfEEvi20rocsparse_direction_NS_24const_host_device_scalarIT2_EEPKiS6_PKS3_S8_S4_PS3_21rocsparse_index_base_b,comdat
	.globl	_ZN9rocsparseL19gebsrmvn_4xn_kernelILj128ELj7ELj16EfEEvi20rocsparse_direction_NS_24const_host_device_scalarIT2_EEPKiS6_PKS3_S8_S4_PS3_21rocsparse_index_base_b ; -- Begin function _ZN9rocsparseL19gebsrmvn_4xn_kernelILj128ELj7ELj16EfEEvi20rocsparse_direction_NS_24const_host_device_scalarIT2_EEPKiS6_PKS3_S8_S4_PS3_21rocsparse_index_base_b
	.p2align	8
	.type	_ZN9rocsparseL19gebsrmvn_4xn_kernelILj128ELj7ELj16EfEEvi20rocsparse_direction_NS_24const_host_device_scalarIT2_EEPKiS6_PKS3_S8_S4_PS3_21rocsparse_index_base_b,@function
_ZN9rocsparseL19gebsrmvn_4xn_kernelILj128ELj7ELj16EfEEvi20rocsparse_direction_NS_24const_host_device_scalarIT2_EEPKiS6_PKS3_S8_S4_PS3_21rocsparse_index_base_b: ; @_ZN9rocsparseL19gebsrmvn_4xn_kernelILj128ELj7ELj16EfEEvi20rocsparse_direction_NS_24const_host_device_scalarIT2_EEPKiS6_PKS3_S8_S4_PS3_21rocsparse_index_base_b
; %bb.0:
	s_load_dwordx2 s[16:17], s[0:1], 0x40
	s_load_dwordx2 s[14:15], s[0:1], 0x8
	;; [unrolled: 1-line block ×3, first 2 shown]
	s_waitcnt lgkmcnt(0)
	s_bitcmp1_b32 s17, 0
	s_cselect_b64 s[6:7], -1, 0
	s_xor_b64 s[4:5], s[6:7], -1
	s_and_b64 vcc, exec, s[6:7]
	s_cbranch_vccnz .LBB27_2
; %bb.1:
	s_load_dword s14, s[14:15], 0x0
.LBB27_2:
	s_andn2_b64 vcc, exec, s[4:5]
	s_cbranch_vccnz .LBB27_4
; %bb.3:
	s_load_dword s12, s[12:13], 0x0
.LBB27_4:
	s_waitcnt lgkmcnt(0)
	v_cmp_eq_f32_e64 s[4:5], s14, 0
	v_cmp_eq_f32_e64 s[6:7], s12, 1.0
	s_and_b64 s[4:5], s[4:5], s[6:7]
	s_and_b64 vcc, exec, s[4:5]
	s_cbranch_vccnz .LBB27_22
; %bb.5:
	s_load_dwordx2 s[18:19], s[0:1], 0x0
	v_lshrrev_b32_e32 v1, 4, v0
	v_lshl_or_b32 v2, s2, 3, v1
	s_waitcnt lgkmcnt(0)
	v_cmp_gt_i32_e32 vcc, s18, v2
	s_and_saveexec_b64 s[2:3], vcc
	s_cbranch_execz .LBB27_22
; %bb.6:
	s_load_dwordx8 s[4:11], s[0:1], 0x10
	v_ashrrev_i32_e32 v3, 31, v2
	s_cmp_lg_u32 s19, 0
	s_waitcnt lgkmcnt(0)
	v_lshl_add_u64 v[4:5], v[2:3], 2, s[4:5]
	global_load_dwordx2 v[4:5], v[4:5], off
	v_and_b32_e32 v3, 15, v0
	s_waitcnt vmcnt(0)
	v_subrev_u32_e32 v0, s16, v4
	v_subrev_u32_e32 v14, s16, v5
	v_add_u32_e32 v4, v0, v3
	v_cmp_lt_i32_e64 s[2:3], v4, v14
	s_cbranch_scc0 .LBB27_12
; %bb.7:
	v_mov_b32_e32 v1, 0
	v_mov_b32_e32 v0, v1
	;; [unrolled: 1-line block ×4, first 2 shown]
	s_and_saveexec_b64 s[4:5], s[2:3]
	s_cbranch_execz .LBB27_11
; %bb.8:
	v_mad_u64_u32 v[8:9], s[18:19], v4, 28, 24
	v_mov_b32_e32 v11, 0
	s_mov_b64 s[18:19], 0
	v_mov_b32_e32 v12, v4
	v_mov_b32_e32 v0, v11
	v_mov_b32_e32 v1, v11
	v_mov_b32_e32 v6, v11
	v_mov_b32_e32 v7, v11
.LBB27_9:                               ; =>This Inner Loop Header: Depth=1
	v_ashrrev_i32_e32 v13, 31, v12
	v_lshl_add_u64 v[16:17], v[12:13], 2, s[6:7]
	global_load_dword v5, v[16:17], off
	v_subrev_u32_e32 v10, 24, v8
	v_mov_b32_e32 v9, v11
	v_mov_b32_e32 v45, v11
	v_lshl_add_u64 v[16:17], v[10:11], 2, s[8:9]
	v_subrev_u32_e32 v10, 20, v8
	v_lshl_add_u64 v[28:29], v[8:9], 2, s[8:9]
	global_load_dwordx4 v[16:19], v[16:17], off
	v_lshl_add_u64 v[30:31], v[10:11], 2, s[8:9]
	global_load_dwordx4 v[20:23], v[28:29], off
	global_load_dwordx4 v[24:27], v[30:31], off
	v_add_u32_e32 v12, 16, v12
	v_cmp_ge_i32_e32 vcc, v12, v14
	s_or_b64 s[18:19], vcc, s[18:19]
	s_waitcnt vmcnt(3)
	v_subrev_u32_e32 v5, s16, v5
	v_mul_lo_u32 v44, v5, 7
	v_lshl_add_u64 v[28:29], v[44:45], 2, s[10:11]
	v_add_u32_e32 v10, 1, v44
	global_load_dword v46, v[28:29], off
	v_lshl_add_u64 v[28:29], v[10:11], 2, s[10:11]
	v_add_u32_e32 v10, -16, v8
	global_load_dword v48, v[28:29], off
	v_lshl_add_u64 v[28:29], v[10:11], 2, s[8:9]
	v_add_u32_e32 v10, 2, v44
	v_lshl_add_u64 v[32:33], v[10:11], 2, s[10:11]
	v_add_u32_e32 v10, -12, v8
	global_load_dword v50, v[32:33], off
	v_lshl_add_u64 v[32:33], v[10:11], 2, s[8:9]
	v_add_u32_e32 v10, 3, v44
	;; [unrolled: 5-line block ×3, first 2 shown]
	global_load_dwordx4 v[28:31], v[28:29], off
	v_lshl_add_u64 v[40:41], v[10:11], 2, s[10:11]
	v_add_u32_e32 v10, -4, v8
	global_load_dwordx4 v[32:35], v[32:33], off
	v_add_u32_e32 v8, 0x1c0, v8
	global_load_dword v54, v[40:41], off
	v_lshl_add_u64 v[40:41], v[10:11], 2, s[8:9]
	v_add_u32_e32 v10, 5, v44
	global_load_dwordx4 v[36:39], v[36:37], off
	v_lshl_add_u64 v[56:57], v[10:11], 2, s[10:11]
	v_add_u32_e32 v10, 6, v44
	global_load_dwordx4 v[40:43], v[40:41], off
	s_waitcnt vmcnt(8)
	v_pk_fma_f32 v[6:7], v[16:17], v[46:47], v[6:7] op_sel_hi:[1,0,1]
	global_load_dword v44, v[56:57], off
	v_lshl_add_u64 v[56:57], v[10:11], 2, s[10:11]
	global_load_dword v10, v[56:57], off
	v_pk_fma_f32 v[0:1], v[18:19], v[46:47], v[0:1] op_sel_hi:[1,0,1]
	s_waitcnt vmcnt(9)
	v_pk_fma_f32 v[6:7], v[24:25], v[48:49], v[6:7] op_sel_hi:[1,0,1]
	v_pk_fma_f32 v[0:1], v[26:27], v[48:49], v[0:1] op_sel_hi:[1,0,1]
	s_waitcnt vmcnt(6)
	v_pk_fma_f32 v[6:7], v[28:29], v[50:51], v[6:7] op_sel_hi:[1,0,1]
	;; [unrolled: 3-line block ×6, first 2 shown]
	v_pk_fma_f32 v[0:1], v[22:23], v[10:11], v[0:1] op_sel_hi:[1,0,1]
	s_andn2_b64 exec, exec, s[18:19]
	s_cbranch_execnz .LBB27_9
; %bb.10:
	s_or_b64 exec, exec, s[18:19]
.LBB27_11:
	s_or_b64 exec, exec, s[4:5]
	s_cbranch_execz .LBB27_13
	s_branch .LBB27_18
.LBB27_12:
                                        ; implicit-def: $vgpr1
                                        ; implicit-def: $vgpr7
.LBB27_13:
	v_mov_b32_e32 v1, 0
	v_mov_b32_e32 v0, v1
	v_mov_b32_e32 v7, v1
	v_mov_b32_e32 v6, v1
	s_and_saveexec_b64 s[4:5], s[2:3]
	s_cbranch_execz .LBB27_17
; %bb.14:
	v_mad_u64_u32 v[8:9], s[2:3], v4, 28, 27
	v_mov_b32_e32 v11, 0
	s_mov_b64 s[2:3], 0
	v_mov_b32_e32 v0, v11
	v_mov_b32_e32 v1, v11
	;; [unrolled: 1-line block ×4, first 2 shown]
.LBB27_15:                              ; =>This Inner Loop Header: Depth=1
	v_ashrrev_i32_e32 v5, 31, v4
	v_lshl_add_u64 v[12:13], v[4:5], 2, s[6:7]
	global_load_dword v5, v[12:13], off
	v_subrev_u32_e32 v10, 27, v8
	v_add_u32_e32 v18, -13, v8
	v_mov_b32_e32 v19, v11
	v_subrev_u32_e32 v16, 20, v8
	v_add_u32_e32 v20, -6, v8
	v_mov_b32_e32 v17, v11
	v_mov_b32_e32 v21, v11
	v_lshl_add_u64 v[22:23], v[10:11], 2, s[8:9]
	v_lshl_add_u64 v[18:19], v[18:19], 2, s[8:9]
	;; [unrolled: 1-line block ×4, first 2 shown]
	global_load_dwordx4 v[62:65], v[22:23], off
	global_load_dword v27, v[16:17], off
	global_load_dword v28, v[18:19], off
	;; [unrolled: 1-line block ×3, first 2 shown]
	v_mov_b32_e32 v13, v11
	v_mov_b32_e32 v9, v11
	v_lshl_add_u64 v[24:25], v[8:9], 2, s[8:9]
	v_add_u32_e32 v4, 16, v4
	v_cmp_ge_i32_e32 vcc, v4, v14
	s_or_b64 s[2:3], vcc, s[2:3]
	s_waitcnt vmcnt(4)
	v_subrev_u32_e32 v5, s16, v5
	v_mul_lo_u32 v12, v5, 7
	v_add_u32_e32 v10, 1, v12
	v_lshl_add_u64 v[18:19], v[10:11], 2, s[10:11]
	v_subrev_u32_e32 v10, 19, v8
	v_lshl_add_u64 v[20:21], v[10:11], 2, s[8:9]
	v_add_u32_e32 v10, -12, v8
	v_lshl_add_u64 v[16:17], v[12:13], 2, s[10:11]
	global_load_dword v13, v[20:21], off
	v_lshl_add_u64 v[20:21], v[10:11], 2, s[8:9]
	v_add_u32_e32 v10, -5, v8
	v_lshl_add_u64 v[22:23], v[10:11], 2, s[8:9]
	v_add_u32_e32 v10, 2, v12
	global_load_dword v16, v[16:17], off
	s_waitcnt vmcnt(5)
	v_mov_b32_e32 v26, v62
	global_load_dword v18, v[18:19], off
	s_nop 0
	global_load_dword v30, v[20:21], off
	global_load_dword v31, v[22:23], off
	v_lshl_add_u64 v[20:21], v[10:11], 2, s[10:11]
	v_subrev_u32_e32 v10, 18, v8
	v_lshl_add_u64 v[22:23], v[10:11], 2, s[8:9]
	v_add_u32_e32 v10, -11, v8
	v_lshl_add_u64 v[32:33], v[10:11], 2, s[8:9]
	v_add_u32_e32 v10, -4, v8
	v_lshl_add_u64 v[34:35], v[10:11], 2, s[8:9]
	v_add_u32_e32 v10, 3, v12
	global_load_dword v20, v[20:21], off
	v_mov_b32_e32 v40, v65
	global_load_dword v23, v[22:23], off
	s_nop 0
	global_load_dword v36, v[32:33], off
	global_load_dword v37, v[34:35], off
	v_lshl_add_u64 v[32:33], v[10:11], 2, s[10:11]
	v_subrev_u32_e32 v10, 17, v8
	v_lshl_add_u64 v[34:35], v[10:11], 2, s[8:9]
	v_add_u32_e32 v10, -10, v8
	v_lshl_add_u64 v[38:39], v[10:11], 2, s[8:9]
	v_add_u32_e32 v10, -3, v8
	global_load_dword v32, v[32:33], off
	s_nop 0
	global_load_dword v41, v[34:35], off
	global_load_dword v42, v[38:39], off
	v_lshl_add_u64 v[34:35], v[10:11], 2, s[8:9]
	v_subrev_u32_e32 v10, 23, v8
	v_lshl_add_u64 v[38:39], v[10:11], 2, s[8:9]
	v_add_u32_e32 v10, 4, v12
	global_load_dword v43, v[34:35], off
	global_load_dword v44, v[38:39], off
	v_lshl_add_u64 v[34:35], v[10:11], 2, s[10:11]
	v_add_u32_e32 v10, -16, v8
	v_lshl_add_u64 v[38:39], v[10:11], 2, s[8:9]
	v_add_u32_e32 v10, -9, v8
	v_lshl_add_u64 v[46:47], v[10:11], 2, s[8:9]
	v_add_u32_e32 v10, -2, v8
	global_load_dword v34, v[34:35], off
	s_nop 0
	global_load_dword v45, v[38:39], off
	global_load_dword v48, v[46:47], off
	v_lshl_add_u64 v[38:39], v[10:11], 2, s[8:9]
	v_subrev_u32_e32 v10, 22, v8
	v_lshl_add_u64 v[46:47], v[10:11], 2, s[8:9]
	v_add_u32_e32 v10, 5, v12
	global_load_dword v49, v[38:39], off
	global_load_dword v50, v[46:47], off
	v_lshl_add_u64 v[38:39], v[10:11], 2, s[10:11]
	v_add_u32_e32 v10, -15, v8
	;; [unrolled: 16-line block ×3, first 2 shown]
	v_lshl_add_u64 v[52:53], v[10:11], 2, s[8:9]
	v_add_u32_e32 v10, -7, v8
	global_load_dword v46, v[46:47], off
	v_lshl_add_u64 v[58:59], v[10:11], 2, s[8:9]
	global_load_dword v57, v[52:53], off
	global_load_dword v60, v[58:59], off
	;; [unrolled: 1-line block ×3, first 2 shown]
	v_mov_b32_e32 v12, v63
	v_mov_b32_e32 v22, v64
	v_add_u32_e32 v8, 0x1c0, v8
	s_waitcnt vmcnt(26)
	v_pk_fma_f32 v[6:7], v[26:27], v[16:17], v[6:7] op_sel_hi:[1,0,1]
	v_pk_fma_f32 v[0:1], v[28:29], v[16:17], v[0:1] op_sel_hi:[1,0,1]
	s_waitcnt vmcnt(25)
	v_pk_fma_f32 v[6:7], v[12:13], v[18:19], v[6:7] op_sel_hi:[1,0,1]
	s_waitcnt vmcnt(23)
	;; [unrolled: 2-line block ×12, first 2 shown]
	v_pk_fma_f32 v[0:1], v[60:61], v[46:47], v[0:1] op_sel_hi:[1,0,1]
	s_andn2_b64 exec, exec, s[2:3]
	s_cbranch_execnz .LBB27_15
; %bb.16:
	s_or_b64 exec, exec, s[2:3]
.LBB27_17:
	s_or_b64 exec, exec, s[4:5]
.LBB27_18:
	v_mov_b32_dpp v4, v6 row_shr:1 row_mask:0xf bank_mask:0xf
	v_mov_b32_dpp v5, v7 row_shr:1 row_mask:0xf bank_mask:0xf
	;; [unrolled: 1-line block ×4, first 2 shown]
	v_pk_add_f32 v[4:5], v[6:7], v[4:5]
	v_pk_add_f32 v[0:1], v[0:1], v[8:9]
	v_cmp_eq_u32_e32 vcc, 15, v3
	v_mov_b32_dpp v6, v4 row_shr:2 row_mask:0xf bank_mask:0xf
	v_mov_b32_dpp v7, v5 row_shr:2 row_mask:0xf bank_mask:0xf
	;; [unrolled: 1-line block ×4, first 2 shown]
	v_pk_add_f32 v[4:5], v[4:5], v[6:7]
	v_pk_add_f32 v[0:1], v[0:1], v[8:9]
	s_nop 0
	v_mov_b32_dpp v6, v4 row_shr:4 row_mask:0xf bank_mask:0xe
	v_mov_b32_dpp v7, v5 row_shr:4 row_mask:0xf bank_mask:0xe
	;; [unrolled: 1-line block ×4, first 2 shown]
	v_pk_add_f32 v[4:5], v[4:5], v[6:7]
	v_pk_add_f32 v[0:1], v[0:1], v[8:9]
	s_nop 0
	v_mov_b32_dpp v6, v4 row_shr:8 row_mask:0xf bank_mask:0xc
	v_mov_b32_dpp v7, v5 row_shr:8 row_mask:0xf bank_mask:0xc
	;; [unrolled: 1-line block ×4, first 2 shown]
	s_and_b64 exec, exec, vcc
	s_cbranch_execz .LBB27_22
; %bb.19:
	s_load_dwordx2 s[0:1], s[0:1], 0x38
	v_cmp_eq_f32_e64 s[2:3], s12, 0
	v_pk_add_f32 v[4:5], v[4:5], v[6:7]
	v_pk_add_f32 v[0:1], v[0:1], v[8:9]
	s_and_b64 vcc, exec, s[2:3]
	v_lshlrev_b32_e32 v2, 2, v2
	s_cbranch_vccz .LBB27_23
; %bb.20:
	v_ashrrev_i32_e32 v3, 31, v2
	s_waitcnt lgkmcnt(0)
	v_lshl_add_u64 v[10:11], v[2:3], 2, s[0:1]
	v_pk_mul_f32 v[6:7], s[14:15], v[4:5] op_sel_hi:[0,1]
	v_pk_mul_f32 v[8:9], s[14:15], v[0:1] op_sel_hi:[0,1]
	global_store_dwordx4 v[10:11], v[6:9], off
	s_cbranch_execnz .LBB27_22
.LBB27_21:
	v_ashrrev_i32_e32 v3, 31, v2
	s_waitcnt lgkmcnt(0)
	v_lshl_add_u64 v[10:11], v[2:3], 2, s[0:1]
	global_load_dwordx4 v[6:9], v[10:11], off
	v_pk_mul_f32 v[2:3], s[14:15], v[4:5] op_sel_hi:[0,1]
	v_pk_mul_f32 v[4:5], s[14:15], v[0:1] op_sel_hi:[0,1]
	s_waitcnt vmcnt(0)
	v_pk_fma_f32 v[0:1], s[12:13], v[6:7], v[2:3] op_sel_hi:[0,1,1]
	v_pk_fma_f32 v[2:3], s[12:13], v[8:9], v[4:5] op_sel_hi:[0,1,1]
	global_store_dwordx4 v[10:11], v[0:3], off
.LBB27_22:
	s_endpgm
.LBB27_23:
	s_branch .LBB27_21
	.section	.rodata,"a",@progbits
	.p2align	6, 0x0
	.amdhsa_kernel _ZN9rocsparseL19gebsrmvn_4xn_kernelILj128ELj7ELj16EfEEvi20rocsparse_direction_NS_24const_host_device_scalarIT2_EEPKiS6_PKS3_S8_S4_PS3_21rocsparse_index_base_b
		.amdhsa_group_segment_fixed_size 0
		.amdhsa_private_segment_fixed_size 0
		.amdhsa_kernarg_size 72
		.amdhsa_user_sgpr_count 2
		.amdhsa_user_sgpr_dispatch_ptr 0
		.amdhsa_user_sgpr_queue_ptr 0
		.amdhsa_user_sgpr_kernarg_segment_ptr 1
		.amdhsa_user_sgpr_dispatch_id 0
		.amdhsa_user_sgpr_kernarg_preload_length 0
		.amdhsa_user_sgpr_kernarg_preload_offset 0
		.amdhsa_user_sgpr_private_segment_size 0
		.amdhsa_uses_dynamic_stack 0
		.amdhsa_enable_private_segment 0
		.amdhsa_system_sgpr_workgroup_id_x 1
		.amdhsa_system_sgpr_workgroup_id_y 0
		.amdhsa_system_sgpr_workgroup_id_z 0
		.amdhsa_system_sgpr_workgroup_info 0
		.amdhsa_system_vgpr_workitem_id 0
		.amdhsa_next_free_vgpr 66
		.amdhsa_next_free_sgpr 20
		.amdhsa_accum_offset 68
		.amdhsa_reserve_vcc 1
		.amdhsa_float_round_mode_32 0
		.amdhsa_float_round_mode_16_64 0
		.amdhsa_float_denorm_mode_32 3
		.amdhsa_float_denorm_mode_16_64 3
		.amdhsa_dx10_clamp 1
		.amdhsa_ieee_mode 1
		.amdhsa_fp16_overflow 0
		.amdhsa_tg_split 0
		.amdhsa_exception_fp_ieee_invalid_op 0
		.amdhsa_exception_fp_denorm_src 0
		.amdhsa_exception_fp_ieee_div_zero 0
		.amdhsa_exception_fp_ieee_overflow 0
		.amdhsa_exception_fp_ieee_underflow 0
		.amdhsa_exception_fp_ieee_inexact 0
		.amdhsa_exception_int_div_zero 0
	.end_amdhsa_kernel
	.section	.text._ZN9rocsparseL19gebsrmvn_4xn_kernelILj128ELj7ELj16EfEEvi20rocsparse_direction_NS_24const_host_device_scalarIT2_EEPKiS6_PKS3_S8_S4_PS3_21rocsparse_index_base_b,"axG",@progbits,_ZN9rocsparseL19gebsrmvn_4xn_kernelILj128ELj7ELj16EfEEvi20rocsparse_direction_NS_24const_host_device_scalarIT2_EEPKiS6_PKS3_S8_S4_PS3_21rocsparse_index_base_b,comdat
.Lfunc_end27:
	.size	_ZN9rocsparseL19gebsrmvn_4xn_kernelILj128ELj7ELj16EfEEvi20rocsparse_direction_NS_24const_host_device_scalarIT2_EEPKiS6_PKS3_S8_S4_PS3_21rocsparse_index_base_b, .Lfunc_end27-_ZN9rocsparseL19gebsrmvn_4xn_kernelILj128ELj7ELj16EfEEvi20rocsparse_direction_NS_24const_host_device_scalarIT2_EEPKiS6_PKS3_S8_S4_PS3_21rocsparse_index_base_b
                                        ; -- End function
	.set _ZN9rocsparseL19gebsrmvn_4xn_kernelILj128ELj7ELj16EfEEvi20rocsparse_direction_NS_24const_host_device_scalarIT2_EEPKiS6_PKS3_S8_S4_PS3_21rocsparse_index_base_b.num_vgpr, 66
	.set _ZN9rocsparseL19gebsrmvn_4xn_kernelILj128ELj7ELj16EfEEvi20rocsparse_direction_NS_24const_host_device_scalarIT2_EEPKiS6_PKS3_S8_S4_PS3_21rocsparse_index_base_b.num_agpr, 0
	.set _ZN9rocsparseL19gebsrmvn_4xn_kernelILj128ELj7ELj16EfEEvi20rocsparse_direction_NS_24const_host_device_scalarIT2_EEPKiS6_PKS3_S8_S4_PS3_21rocsparse_index_base_b.numbered_sgpr, 20
	.set _ZN9rocsparseL19gebsrmvn_4xn_kernelILj128ELj7ELj16EfEEvi20rocsparse_direction_NS_24const_host_device_scalarIT2_EEPKiS6_PKS3_S8_S4_PS3_21rocsparse_index_base_b.num_named_barrier, 0
	.set _ZN9rocsparseL19gebsrmvn_4xn_kernelILj128ELj7ELj16EfEEvi20rocsparse_direction_NS_24const_host_device_scalarIT2_EEPKiS6_PKS3_S8_S4_PS3_21rocsparse_index_base_b.private_seg_size, 0
	.set _ZN9rocsparseL19gebsrmvn_4xn_kernelILj128ELj7ELj16EfEEvi20rocsparse_direction_NS_24const_host_device_scalarIT2_EEPKiS6_PKS3_S8_S4_PS3_21rocsparse_index_base_b.uses_vcc, 1
	.set _ZN9rocsparseL19gebsrmvn_4xn_kernelILj128ELj7ELj16EfEEvi20rocsparse_direction_NS_24const_host_device_scalarIT2_EEPKiS6_PKS3_S8_S4_PS3_21rocsparse_index_base_b.uses_flat_scratch, 0
	.set _ZN9rocsparseL19gebsrmvn_4xn_kernelILj128ELj7ELj16EfEEvi20rocsparse_direction_NS_24const_host_device_scalarIT2_EEPKiS6_PKS3_S8_S4_PS3_21rocsparse_index_base_b.has_dyn_sized_stack, 0
	.set _ZN9rocsparseL19gebsrmvn_4xn_kernelILj128ELj7ELj16EfEEvi20rocsparse_direction_NS_24const_host_device_scalarIT2_EEPKiS6_PKS3_S8_S4_PS3_21rocsparse_index_base_b.has_recursion, 0
	.set _ZN9rocsparseL19gebsrmvn_4xn_kernelILj128ELj7ELj16EfEEvi20rocsparse_direction_NS_24const_host_device_scalarIT2_EEPKiS6_PKS3_S8_S4_PS3_21rocsparse_index_base_b.has_indirect_call, 0
	.section	.AMDGPU.csdata,"",@progbits
; Kernel info:
; codeLenInByte = 2112
; TotalNumSgprs: 26
; NumVgprs: 66
; NumAgprs: 0
; TotalNumVgprs: 66
; ScratchSize: 0
; MemoryBound: 0
; FloatMode: 240
; IeeeMode: 1
; LDSByteSize: 0 bytes/workgroup (compile time only)
; SGPRBlocks: 3
; VGPRBlocks: 8
; NumSGPRsForWavesPerEU: 26
; NumVGPRsForWavesPerEU: 66
; AccumOffset: 68
; Occupancy: 7
; WaveLimiterHint : 1
; COMPUTE_PGM_RSRC2:SCRATCH_EN: 0
; COMPUTE_PGM_RSRC2:USER_SGPR: 2
; COMPUTE_PGM_RSRC2:TRAP_HANDLER: 0
; COMPUTE_PGM_RSRC2:TGID_X_EN: 1
; COMPUTE_PGM_RSRC2:TGID_Y_EN: 0
; COMPUTE_PGM_RSRC2:TGID_Z_EN: 0
; COMPUTE_PGM_RSRC2:TIDIG_COMP_CNT: 0
; COMPUTE_PGM_RSRC3_GFX90A:ACCUM_OFFSET: 16
; COMPUTE_PGM_RSRC3_GFX90A:TG_SPLIT: 0
	.section	.text._ZN9rocsparseL19gebsrmvn_4xn_kernelILj128ELj7ELj32EfEEvi20rocsparse_direction_NS_24const_host_device_scalarIT2_EEPKiS6_PKS3_S8_S4_PS3_21rocsparse_index_base_b,"axG",@progbits,_ZN9rocsparseL19gebsrmvn_4xn_kernelILj128ELj7ELj32EfEEvi20rocsparse_direction_NS_24const_host_device_scalarIT2_EEPKiS6_PKS3_S8_S4_PS3_21rocsparse_index_base_b,comdat
	.globl	_ZN9rocsparseL19gebsrmvn_4xn_kernelILj128ELj7ELj32EfEEvi20rocsparse_direction_NS_24const_host_device_scalarIT2_EEPKiS6_PKS3_S8_S4_PS3_21rocsparse_index_base_b ; -- Begin function _ZN9rocsparseL19gebsrmvn_4xn_kernelILj128ELj7ELj32EfEEvi20rocsparse_direction_NS_24const_host_device_scalarIT2_EEPKiS6_PKS3_S8_S4_PS3_21rocsparse_index_base_b
	.p2align	8
	.type	_ZN9rocsparseL19gebsrmvn_4xn_kernelILj128ELj7ELj32EfEEvi20rocsparse_direction_NS_24const_host_device_scalarIT2_EEPKiS6_PKS3_S8_S4_PS3_21rocsparse_index_base_b,@function
_ZN9rocsparseL19gebsrmvn_4xn_kernelILj128ELj7ELj32EfEEvi20rocsparse_direction_NS_24const_host_device_scalarIT2_EEPKiS6_PKS3_S8_S4_PS3_21rocsparse_index_base_b: ; @_ZN9rocsparseL19gebsrmvn_4xn_kernelILj128ELj7ELj32EfEEvi20rocsparse_direction_NS_24const_host_device_scalarIT2_EEPKiS6_PKS3_S8_S4_PS3_21rocsparse_index_base_b
; %bb.0:
	s_load_dwordx2 s[16:17], s[0:1], 0x40
	s_load_dwordx2 s[14:15], s[0:1], 0x8
	;; [unrolled: 1-line block ×3, first 2 shown]
	s_waitcnt lgkmcnt(0)
	s_bitcmp1_b32 s17, 0
	s_cselect_b64 s[6:7], -1, 0
	s_xor_b64 s[4:5], s[6:7], -1
	s_and_b64 vcc, exec, s[6:7]
	s_cbranch_vccnz .LBB28_2
; %bb.1:
	s_load_dword s14, s[14:15], 0x0
.LBB28_2:
	s_andn2_b64 vcc, exec, s[4:5]
	s_cbranch_vccnz .LBB28_4
; %bb.3:
	s_load_dword s12, s[12:13], 0x0
.LBB28_4:
	s_waitcnt lgkmcnt(0)
	v_cmp_eq_f32_e64 s[4:5], s14, 0
	v_cmp_eq_f32_e64 s[6:7], s12, 1.0
	s_and_b64 s[4:5], s[4:5], s[6:7]
	s_and_b64 vcc, exec, s[4:5]
	s_cbranch_vccnz .LBB28_22
; %bb.5:
	s_load_dwordx2 s[18:19], s[0:1], 0x0
	v_lshrrev_b32_e32 v1, 5, v0
	v_lshl_or_b32 v2, s2, 2, v1
	s_waitcnt lgkmcnt(0)
	v_cmp_gt_i32_e32 vcc, s18, v2
	s_and_saveexec_b64 s[2:3], vcc
	s_cbranch_execz .LBB28_22
; %bb.6:
	s_load_dwordx8 s[4:11], s[0:1], 0x10
	v_ashrrev_i32_e32 v3, 31, v2
	s_cmp_lg_u32 s19, 0
	s_waitcnt lgkmcnt(0)
	v_lshl_add_u64 v[4:5], v[2:3], 2, s[4:5]
	global_load_dwordx2 v[4:5], v[4:5], off
	v_and_b32_e32 v3, 31, v0
	s_waitcnt vmcnt(0)
	v_subrev_u32_e32 v0, s16, v4
	v_subrev_u32_e32 v14, s16, v5
	v_add_u32_e32 v4, v0, v3
	v_cmp_lt_i32_e64 s[2:3], v4, v14
	s_cbranch_scc0 .LBB28_12
; %bb.7:
	v_mov_b32_e32 v1, 0
	v_mov_b32_e32 v0, v1
	;; [unrolled: 1-line block ×4, first 2 shown]
	s_and_saveexec_b64 s[4:5], s[2:3]
	s_cbranch_execz .LBB28_11
; %bb.8:
	v_mad_u64_u32 v[8:9], s[18:19], v4, 28, 24
	v_mov_b32_e32 v11, 0
	s_mov_b64 s[18:19], 0
	v_mov_b32_e32 v12, v4
	v_mov_b32_e32 v0, v11
	;; [unrolled: 1-line block ×5, first 2 shown]
.LBB28_9:                               ; =>This Inner Loop Header: Depth=1
	v_ashrrev_i32_e32 v13, 31, v12
	v_lshl_add_u64 v[16:17], v[12:13], 2, s[6:7]
	global_load_dword v5, v[16:17], off
	v_subrev_u32_e32 v10, 24, v8
	v_mov_b32_e32 v9, v11
	v_mov_b32_e32 v45, v11
	v_lshl_add_u64 v[16:17], v[10:11], 2, s[8:9]
	v_subrev_u32_e32 v10, 20, v8
	v_lshl_add_u64 v[28:29], v[8:9], 2, s[8:9]
	global_load_dwordx4 v[16:19], v[16:17], off
	v_lshl_add_u64 v[30:31], v[10:11], 2, s[8:9]
	global_load_dwordx4 v[20:23], v[28:29], off
	global_load_dwordx4 v[24:27], v[30:31], off
	v_add_u32_e32 v12, 32, v12
	v_cmp_ge_i32_e32 vcc, v12, v14
	s_or_b64 s[18:19], vcc, s[18:19]
	s_waitcnt vmcnt(3)
	v_subrev_u32_e32 v5, s16, v5
	v_mul_lo_u32 v44, v5, 7
	v_lshl_add_u64 v[28:29], v[44:45], 2, s[10:11]
	v_add_u32_e32 v10, 1, v44
	global_load_dword v46, v[28:29], off
	v_lshl_add_u64 v[28:29], v[10:11], 2, s[10:11]
	v_add_u32_e32 v10, -16, v8
	global_load_dword v48, v[28:29], off
	v_lshl_add_u64 v[28:29], v[10:11], 2, s[8:9]
	v_add_u32_e32 v10, 2, v44
	v_lshl_add_u64 v[32:33], v[10:11], 2, s[10:11]
	v_add_u32_e32 v10, -12, v8
	global_load_dword v50, v[32:33], off
	v_lshl_add_u64 v[32:33], v[10:11], 2, s[8:9]
	v_add_u32_e32 v10, 3, v44
	;; [unrolled: 5-line block ×3, first 2 shown]
	global_load_dwordx4 v[28:31], v[28:29], off
	v_lshl_add_u64 v[40:41], v[10:11], 2, s[10:11]
	v_add_u32_e32 v10, -4, v8
	global_load_dwordx4 v[32:35], v[32:33], off
	v_add_u32_e32 v8, 0x380, v8
	global_load_dword v54, v[40:41], off
	v_lshl_add_u64 v[40:41], v[10:11], 2, s[8:9]
	v_add_u32_e32 v10, 5, v44
	global_load_dwordx4 v[36:39], v[36:37], off
	v_lshl_add_u64 v[56:57], v[10:11], 2, s[10:11]
	v_add_u32_e32 v10, 6, v44
	global_load_dwordx4 v[40:43], v[40:41], off
	s_waitcnt vmcnt(8)
	v_pk_fma_f32 v[6:7], v[16:17], v[46:47], v[6:7] op_sel_hi:[1,0,1]
	global_load_dword v44, v[56:57], off
	v_lshl_add_u64 v[56:57], v[10:11], 2, s[10:11]
	global_load_dword v10, v[56:57], off
	v_pk_fma_f32 v[0:1], v[18:19], v[46:47], v[0:1] op_sel_hi:[1,0,1]
	s_waitcnt vmcnt(9)
	v_pk_fma_f32 v[6:7], v[24:25], v[48:49], v[6:7] op_sel_hi:[1,0,1]
	v_pk_fma_f32 v[0:1], v[26:27], v[48:49], v[0:1] op_sel_hi:[1,0,1]
	s_waitcnt vmcnt(6)
	v_pk_fma_f32 v[6:7], v[28:29], v[50:51], v[6:7] op_sel_hi:[1,0,1]
	;; [unrolled: 3-line block ×6, first 2 shown]
	v_pk_fma_f32 v[0:1], v[22:23], v[10:11], v[0:1] op_sel_hi:[1,0,1]
	s_andn2_b64 exec, exec, s[18:19]
	s_cbranch_execnz .LBB28_9
; %bb.10:
	s_or_b64 exec, exec, s[18:19]
.LBB28_11:
	s_or_b64 exec, exec, s[4:5]
	s_cbranch_execz .LBB28_13
	s_branch .LBB28_18
.LBB28_12:
                                        ; implicit-def: $vgpr1
                                        ; implicit-def: $vgpr7
.LBB28_13:
	v_mov_b32_e32 v1, 0
	v_mov_b32_e32 v0, v1
	;; [unrolled: 1-line block ×4, first 2 shown]
	s_and_saveexec_b64 s[4:5], s[2:3]
	s_cbranch_execz .LBB28_17
; %bb.14:
	v_mad_u64_u32 v[8:9], s[2:3], v4, 28, 27
	v_mov_b32_e32 v11, 0
	s_mov_b64 s[2:3], 0
	v_mov_b32_e32 v0, v11
	v_mov_b32_e32 v1, v11
	;; [unrolled: 1-line block ×4, first 2 shown]
.LBB28_15:                              ; =>This Inner Loop Header: Depth=1
	v_ashrrev_i32_e32 v5, 31, v4
	v_lshl_add_u64 v[12:13], v[4:5], 2, s[6:7]
	global_load_dword v5, v[12:13], off
	v_subrev_u32_e32 v10, 27, v8
	v_add_u32_e32 v18, -13, v8
	v_mov_b32_e32 v19, v11
	v_subrev_u32_e32 v16, 20, v8
	v_add_u32_e32 v20, -6, v8
	v_mov_b32_e32 v17, v11
	v_mov_b32_e32 v21, v11
	v_lshl_add_u64 v[22:23], v[10:11], 2, s[8:9]
	v_lshl_add_u64 v[18:19], v[18:19], 2, s[8:9]
	;; [unrolled: 1-line block ×4, first 2 shown]
	global_load_dwordx4 v[62:65], v[22:23], off
	global_load_dword v27, v[16:17], off
	global_load_dword v28, v[18:19], off
	;; [unrolled: 1-line block ×3, first 2 shown]
	v_mov_b32_e32 v13, v11
	v_mov_b32_e32 v9, v11
	v_lshl_add_u64 v[24:25], v[8:9], 2, s[8:9]
	v_add_u32_e32 v4, 32, v4
	v_cmp_ge_i32_e32 vcc, v4, v14
	s_or_b64 s[2:3], vcc, s[2:3]
	s_waitcnt vmcnt(4)
	v_subrev_u32_e32 v5, s16, v5
	v_mul_lo_u32 v12, v5, 7
	v_add_u32_e32 v10, 1, v12
	v_lshl_add_u64 v[18:19], v[10:11], 2, s[10:11]
	v_subrev_u32_e32 v10, 19, v8
	v_lshl_add_u64 v[20:21], v[10:11], 2, s[8:9]
	v_add_u32_e32 v10, -12, v8
	v_lshl_add_u64 v[16:17], v[12:13], 2, s[10:11]
	global_load_dword v13, v[20:21], off
	v_lshl_add_u64 v[20:21], v[10:11], 2, s[8:9]
	v_add_u32_e32 v10, -5, v8
	v_lshl_add_u64 v[22:23], v[10:11], 2, s[8:9]
	v_add_u32_e32 v10, 2, v12
	global_load_dword v16, v[16:17], off
	s_waitcnt vmcnt(5)
	v_mov_b32_e32 v26, v62
	global_load_dword v18, v[18:19], off
	s_nop 0
	global_load_dword v30, v[20:21], off
	global_load_dword v31, v[22:23], off
	v_lshl_add_u64 v[20:21], v[10:11], 2, s[10:11]
	v_subrev_u32_e32 v10, 18, v8
	v_lshl_add_u64 v[22:23], v[10:11], 2, s[8:9]
	v_add_u32_e32 v10, -11, v8
	v_lshl_add_u64 v[32:33], v[10:11], 2, s[8:9]
	v_add_u32_e32 v10, -4, v8
	v_lshl_add_u64 v[34:35], v[10:11], 2, s[8:9]
	v_add_u32_e32 v10, 3, v12
	global_load_dword v20, v[20:21], off
	v_mov_b32_e32 v40, v65
	global_load_dword v23, v[22:23], off
	s_nop 0
	global_load_dword v36, v[32:33], off
	global_load_dword v37, v[34:35], off
	v_lshl_add_u64 v[32:33], v[10:11], 2, s[10:11]
	v_subrev_u32_e32 v10, 17, v8
	v_lshl_add_u64 v[34:35], v[10:11], 2, s[8:9]
	v_add_u32_e32 v10, -10, v8
	v_lshl_add_u64 v[38:39], v[10:11], 2, s[8:9]
	v_add_u32_e32 v10, -3, v8
	global_load_dword v32, v[32:33], off
	s_nop 0
	global_load_dword v41, v[34:35], off
	global_load_dword v42, v[38:39], off
	v_lshl_add_u64 v[34:35], v[10:11], 2, s[8:9]
	v_subrev_u32_e32 v10, 23, v8
	v_lshl_add_u64 v[38:39], v[10:11], 2, s[8:9]
	v_add_u32_e32 v10, 4, v12
	global_load_dword v43, v[34:35], off
	global_load_dword v44, v[38:39], off
	v_lshl_add_u64 v[34:35], v[10:11], 2, s[10:11]
	v_add_u32_e32 v10, -16, v8
	v_lshl_add_u64 v[38:39], v[10:11], 2, s[8:9]
	v_add_u32_e32 v10, -9, v8
	v_lshl_add_u64 v[46:47], v[10:11], 2, s[8:9]
	v_add_u32_e32 v10, -2, v8
	global_load_dword v34, v[34:35], off
	s_nop 0
	global_load_dword v45, v[38:39], off
	global_load_dword v48, v[46:47], off
	v_lshl_add_u64 v[38:39], v[10:11], 2, s[8:9]
	v_subrev_u32_e32 v10, 22, v8
	v_lshl_add_u64 v[46:47], v[10:11], 2, s[8:9]
	v_add_u32_e32 v10, 5, v12
	global_load_dword v49, v[38:39], off
	global_load_dword v50, v[46:47], off
	v_lshl_add_u64 v[38:39], v[10:11], 2, s[10:11]
	v_add_u32_e32 v10, -15, v8
	;; [unrolled: 16-line block ×3, first 2 shown]
	v_lshl_add_u64 v[52:53], v[10:11], 2, s[8:9]
	v_add_u32_e32 v10, -7, v8
	global_load_dword v46, v[46:47], off
	v_lshl_add_u64 v[58:59], v[10:11], 2, s[8:9]
	global_load_dword v57, v[52:53], off
	global_load_dword v60, v[58:59], off
	;; [unrolled: 1-line block ×3, first 2 shown]
	v_mov_b32_e32 v12, v63
	v_mov_b32_e32 v22, v64
	v_add_u32_e32 v8, 0x380, v8
	s_waitcnt vmcnt(26)
	v_pk_fma_f32 v[6:7], v[26:27], v[16:17], v[6:7] op_sel_hi:[1,0,1]
	v_pk_fma_f32 v[0:1], v[28:29], v[16:17], v[0:1] op_sel_hi:[1,0,1]
	s_waitcnt vmcnt(25)
	v_pk_fma_f32 v[6:7], v[12:13], v[18:19], v[6:7] op_sel_hi:[1,0,1]
	s_waitcnt vmcnt(23)
	;; [unrolled: 2-line block ×12, first 2 shown]
	v_pk_fma_f32 v[0:1], v[60:61], v[46:47], v[0:1] op_sel_hi:[1,0,1]
	s_andn2_b64 exec, exec, s[2:3]
	s_cbranch_execnz .LBB28_15
; %bb.16:
	s_or_b64 exec, exec, s[2:3]
.LBB28_17:
	s_or_b64 exec, exec, s[4:5]
.LBB28_18:
	v_mov_b32_dpp v4, v6 row_shr:1 row_mask:0xf bank_mask:0xf
	v_mov_b32_dpp v5, v7 row_shr:1 row_mask:0xf bank_mask:0xf
	;; [unrolled: 1-line block ×4, first 2 shown]
	v_pk_add_f32 v[4:5], v[6:7], v[4:5]
	v_pk_add_f32 v[0:1], v[0:1], v[8:9]
	v_cmp_eq_u32_e32 vcc, 31, v3
	v_mov_b32_dpp v6, v4 row_shr:2 row_mask:0xf bank_mask:0xf
	v_mov_b32_dpp v7, v5 row_shr:2 row_mask:0xf bank_mask:0xf
	v_mov_b32_dpp v8, v0 row_shr:2 row_mask:0xf bank_mask:0xf
	v_mov_b32_dpp v9, v1 row_shr:2 row_mask:0xf bank_mask:0xf
	v_pk_add_f32 v[4:5], v[4:5], v[6:7]
	v_pk_add_f32 v[0:1], v[0:1], v[8:9]
	s_nop 0
	v_mov_b32_dpp v6, v4 row_shr:4 row_mask:0xf bank_mask:0xe
	v_mov_b32_dpp v7, v5 row_shr:4 row_mask:0xf bank_mask:0xe
	v_mov_b32_dpp v8, v0 row_shr:4 row_mask:0xf bank_mask:0xe
	v_mov_b32_dpp v9, v1 row_shr:4 row_mask:0xf bank_mask:0xe
	v_pk_add_f32 v[4:5], v[4:5], v[6:7]
	v_pk_add_f32 v[0:1], v[0:1], v[8:9]
	s_nop 0
	;; [unrolled: 7-line block ×3, first 2 shown]
	v_mov_b32_dpp v6, v4 row_bcast:15 row_mask:0xa bank_mask:0xf
	v_mov_b32_dpp v7, v5 row_bcast:15 row_mask:0xa bank_mask:0xf
	;; [unrolled: 1-line block ×4, first 2 shown]
	s_and_b64 exec, exec, vcc
	s_cbranch_execz .LBB28_22
; %bb.19:
	s_load_dwordx2 s[0:1], s[0:1], 0x38
	v_cmp_eq_f32_e64 s[2:3], s12, 0
	v_pk_add_f32 v[4:5], v[4:5], v[6:7]
	v_pk_add_f32 v[0:1], v[0:1], v[8:9]
	s_and_b64 vcc, exec, s[2:3]
	v_lshlrev_b32_e32 v2, 2, v2
	s_cbranch_vccz .LBB28_23
; %bb.20:
	v_ashrrev_i32_e32 v3, 31, v2
	s_waitcnt lgkmcnt(0)
	v_lshl_add_u64 v[10:11], v[2:3], 2, s[0:1]
	v_pk_mul_f32 v[6:7], s[14:15], v[4:5] op_sel_hi:[0,1]
	v_pk_mul_f32 v[8:9], s[14:15], v[0:1] op_sel_hi:[0,1]
	global_store_dwordx4 v[10:11], v[6:9], off
	s_cbranch_execnz .LBB28_22
.LBB28_21:
	v_ashrrev_i32_e32 v3, 31, v2
	s_waitcnt lgkmcnt(0)
	v_lshl_add_u64 v[10:11], v[2:3], 2, s[0:1]
	global_load_dwordx4 v[6:9], v[10:11], off
	v_pk_mul_f32 v[2:3], s[14:15], v[4:5] op_sel_hi:[0,1]
	v_pk_mul_f32 v[4:5], s[14:15], v[0:1] op_sel_hi:[0,1]
	s_waitcnt vmcnt(0)
	v_pk_fma_f32 v[0:1], s[12:13], v[6:7], v[2:3] op_sel_hi:[0,1,1]
	v_pk_fma_f32 v[2:3], s[12:13], v[8:9], v[4:5] op_sel_hi:[0,1,1]
	global_store_dwordx4 v[10:11], v[0:3], off
.LBB28_22:
	s_endpgm
.LBB28_23:
	s_branch .LBB28_21
	.section	.rodata,"a",@progbits
	.p2align	6, 0x0
	.amdhsa_kernel _ZN9rocsparseL19gebsrmvn_4xn_kernelILj128ELj7ELj32EfEEvi20rocsparse_direction_NS_24const_host_device_scalarIT2_EEPKiS6_PKS3_S8_S4_PS3_21rocsparse_index_base_b
		.amdhsa_group_segment_fixed_size 0
		.amdhsa_private_segment_fixed_size 0
		.amdhsa_kernarg_size 72
		.amdhsa_user_sgpr_count 2
		.amdhsa_user_sgpr_dispatch_ptr 0
		.amdhsa_user_sgpr_queue_ptr 0
		.amdhsa_user_sgpr_kernarg_segment_ptr 1
		.amdhsa_user_sgpr_dispatch_id 0
		.amdhsa_user_sgpr_kernarg_preload_length 0
		.amdhsa_user_sgpr_kernarg_preload_offset 0
		.amdhsa_user_sgpr_private_segment_size 0
		.amdhsa_uses_dynamic_stack 0
		.amdhsa_enable_private_segment 0
		.amdhsa_system_sgpr_workgroup_id_x 1
		.amdhsa_system_sgpr_workgroup_id_y 0
		.amdhsa_system_sgpr_workgroup_id_z 0
		.amdhsa_system_sgpr_workgroup_info 0
		.amdhsa_system_vgpr_workitem_id 0
		.amdhsa_next_free_vgpr 66
		.amdhsa_next_free_sgpr 20
		.amdhsa_accum_offset 68
		.amdhsa_reserve_vcc 1
		.amdhsa_float_round_mode_32 0
		.amdhsa_float_round_mode_16_64 0
		.amdhsa_float_denorm_mode_32 3
		.amdhsa_float_denorm_mode_16_64 3
		.amdhsa_dx10_clamp 1
		.amdhsa_ieee_mode 1
		.amdhsa_fp16_overflow 0
		.amdhsa_tg_split 0
		.amdhsa_exception_fp_ieee_invalid_op 0
		.amdhsa_exception_fp_denorm_src 0
		.amdhsa_exception_fp_ieee_div_zero 0
		.amdhsa_exception_fp_ieee_overflow 0
		.amdhsa_exception_fp_ieee_underflow 0
		.amdhsa_exception_fp_ieee_inexact 0
		.amdhsa_exception_int_div_zero 0
	.end_amdhsa_kernel
	.section	.text._ZN9rocsparseL19gebsrmvn_4xn_kernelILj128ELj7ELj32EfEEvi20rocsparse_direction_NS_24const_host_device_scalarIT2_EEPKiS6_PKS3_S8_S4_PS3_21rocsparse_index_base_b,"axG",@progbits,_ZN9rocsparseL19gebsrmvn_4xn_kernelILj128ELj7ELj32EfEEvi20rocsparse_direction_NS_24const_host_device_scalarIT2_EEPKiS6_PKS3_S8_S4_PS3_21rocsparse_index_base_b,comdat
.Lfunc_end28:
	.size	_ZN9rocsparseL19gebsrmvn_4xn_kernelILj128ELj7ELj32EfEEvi20rocsparse_direction_NS_24const_host_device_scalarIT2_EEPKiS6_PKS3_S8_S4_PS3_21rocsparse_index_base_b, .Lfunc_end28-_ZN9rocsparseL19gebsrmvn_4xn_kernelILj128ELj7ELj32EfEEvi20rocsparse_direction_NS_24const_host_device_scalarIT2_EEPKiS6_PKS3_S8_S4_PS3_21rocsparse_index_base_b
                                        ; -- End function
	.set _ZN9rocsparseL19gebsrmvn_4xn_kernelILj128ELj7ELj32EfEEvi20rocsparse_direction_NS_24const_host_device_scalarIT2_EEPKiS6_PKS3_S8_S4_PS3_21rocsparse_index_base_b.num_vgpr, 66
	.set _ZN9rocsparseL19gebsrmvn_4xn_kernelILj128ELj7ELj32EfEEvi20rocsparse_direction_NS_24const_host_device_scalarIT2_EEPKiS6_PKS3_S8_S4_PS3_21rocsparse_index_base_b.num_agpr, 0
	.set _ZN9rocsparseL19gebsrmvn_4xn_kernelILj128ELj7ELj32EfEEvi20rocsparse_direction_NS_24const_host_device_scalarIT2_EEPKiS6_PKS3_S8_S4_PS3_21rocsparse_index_base_b.numbered_sgpr, 20
	.set _ZN9rocsparseL19gebsrmvn_4xn_kernelILj128ELj7ELj32EfEEvi20rocsparse_direction_NS_24const_host_device_scalarIT2_EEPKiS6_PKS3_S8_S4_PS3_21rocsparse_index_base_b.num_named_barrier, 0
	.set _ZN9rocsparseL19gebsrmvn_4xn_kernelILj128ELj7ELj32EfEEvi20rocsparse_direction_NS_24const_host_device_scalarIT2_EEPKiS6_PKS3_S8_S4_PS3_21rocsparse_index_base_b.private_seg_size, 0
	.set _ZN9rocsparseL19gebsrmvn_4xn_kernelILj128ELj7ELj32EfEEvi20rocsparse_direction_NS_24const_host_device_scalarIT2_EEPKiS6_PKS3_S8_S4_PS3_21rocsparse_index_base_b.uses_vcc, 1
	.set _ZN9rocsparseL19gebsrmvn_4xn_kernelILj128ELj7ELj32EfEEvi20rocsparse_direction_NS_24const_host_device_scalarIT2_EEPKiS6_PKS3_S8_S4_PS3_21rocsparse_index_base_b.uses_flat_scratch, 0
	.set _ZN9rocsparseL19gebsrmvn_4xn_kernelILj128ELj7ELj32EfEEvi20rocsparse_direction_NS_24const_host_device_scalarIT2_EEPKiS6_PKS3_S8_S4_PS3_21rocsparse_index_base_b.has_dyn_sized_stack, 0
	.set _ZN9rocsparseL19gebsrmvn_4xn_kernelILj128ELj7ELj32EfEEvi20rocsparse_direction_NS_24const_host_device_scalarIT2_EEPKiS6_PKS3_S8_S4_PS3_21rocsparse_index_base_b.has_recursion, 0
	.set _ZN9rocsparseL19gebsrmvn_4xn_kernelILj128ELj7ELj32EfEEvi20rocsparse_direction_NS_24const_host_device_scalarIT2_EEPKiS6_PKS3_S8_S4_PS3_21rocsparse_index_base_b.has_indirect_call, 0
	.section	.AMDGPU.csdata,"",@progbits
; Kernel info:
; codeLenInByte = 2164
; TotalNumSgprs: 26
; NumVgprs: 66
; NumAgprs: 0
; TotalNumVgprs: 66
; ScratchSize: 0
; MemoryBound: 0
; FloatMode: 240
; IeeeMode: 1
; LDSByteSize: 0 bytes/workgroup (compile time only)
; SGPRBlocks: 3
; VGPRBlocks: 8
; NumSGPRsForWavesPerEU: 26
; NumVGPRsForWavesPerEU: 66
; AccumOffset: 68
; Occupancy: 7
; WaveLimiterHint : 1
; COMPUTE_PGM_RSRC2:SCRATCH_EN: 0
; COMPUTE_PGM_RSRC2:USER_SGPR: 2
; COMPUTE_PGM_RSRC2:TRAP_HANDLER: 0
; COMPUTE_PGM_RSRC2:TGID_X_EN: 1
; COMPUTE_PGM_RSRC2:TGID_Y_EN: 0
; COMPUTE_PGM_RSRC2:TGID_Z_EN: 0
; COMPUTE_PGM_RSRC2:TIDIG_COMP_CNT: 0
; COMPUTE_PGM_RSRC3_GFX90A:ACCUM_OFFSET: 16
; COMPUTE_PGM_RSRC3_GFX90A:TG_SPLIT: 0
	.section	.text._ZN9rocsparseL19gebsrmvn_4xn_kernelILj128ELj7ELj64EfEEvi20rocsparse_direction_NS_24const_host_device_scalarIT2_EEPKiS6_PKS3_S8_S4_PS3_21rocsparse_index_base_b,"axG",@progbits,_ZN9rocsparseL19gebsrmvn_4xn_kernelILj128ELj7ELj64EfEEvi20rocsparse_direction_NS_24const_host_device_scalarIT2_EEPKiS6_PKS3_S8_S4_PS3_21rocsparse_index_base_b,comdat
	.globl	_ZN9rocsparseL19gebsrmvn_4xn_kernelILj128ELj7ELj64EfEEvi20rocsparse_direction_NS_24const_host_device_scalarIT2_EEPKiS6_PKS3_S8_S4_PS3_21rocsparse_index_base_b ; -- Begin function _ZN9rocsparseL19gebsrmvn_4xn_kernelILj128ELj7ELj64EfEEvi20rocsparse_direction_NS_24const_host_device_scalarIT2_EEPKiS6_PKS3_S8_S4_PS3_21rocsparse_index_base_b
	.p2align	8
	.type	_ZN9rocsparseL19gebsrmvn_4xn_kernelILj128ELj7ELj64EfEEvi20rocsparse_direction_NS_24const_host_device_scalarIT2_EEPKiS6_PKS3_S8_S4_PS3_21rocsparse_index_base_b,@function
_ZN9rocsparseL19gebsrmvn_4xn_kernelILj128ELj7ELj64EfEEvi20rocsparse_direction_NS_24const_host_device_scalarIT2_EEPKiS6_PKS3_S8_S4_PS3_21rocsparse_index_base_b: ; @_ZN9rocsparseL19gebsrmvn_4xn_kernelILj128ELj7ELj64EfEEvi20rocsparse_direction_NS_24const_host_device_scalarIT2_EEPKiS6_PKS3_S8_S4_PS3_21rocsparse_index_base_b
; %bb.0:
	s_load_dwordx2 s[16:17], s[0:1], 0x40
	s_load_dwordx2 s[14:15], s[0:1], 0x8
	;; [unrolled: 1-line block ×3, first 2 shown]
	s_waitcnt lgkmcnt(0)
	s_bitcmp1_b32 s17, 0
	s_cselect_b64 s[6:7], -1, 0
	s_xor_b64 s[4:5], s[6:7], -1
	s_and_b64 vcc, exec, s[6:7]
	s_cbranch_vccnz .LBB29_2
; %bb.1:
	s_load_dword s14, s[14:15], 0x0
.LBB29_2:
	s_andn2_b64 vcc, exec, s[4:5]
	s_cbranch_vccnz .LBB29_4
; %bb.3:
	s_load_dword s12, s[12:13], 0x0
.LBB29_4:
	s_waitcnt lgkmcnt(0)
	v_cmp_eq_f32_e64 s[4:5], s14, 0
	v_cmp_eq_f32_e64 s[6:7], s12, 1.0
	s_and_b64 s[4:5], s[4:5], s[6:7]
	s_and_b64 vcc, exec, s[4:5]
	s_cbranch_vccnz .LBB29_22
; %bb.5:
	s_load_dwordx2 s[18:19], s[0:1], 0x0
	v_lshrrev_b32_e32 v1, 6, v0
	v_lshl_or_b32 v2, s2, 1, v1
	s_waitcnt lgkmcnt(0)
	v_cmp_gt_i32_e32 vcc, s18, v2
	s_and_saveexec_b64 s[2:3], vcc
	s_cbranch_execz .LBB29_22
; %bb.6:
	s_load_dwordx8 s[4:11], s[0:1], 0x10
	v_ashrrev_i32_e32 v3, 31, v2
	s_cmp_lg_u32 s19, 0
	s_waitcnt lgkmcnt(0)
	v_lshl_add_u64 v[4:5], v[2:3], 2, s[4:5]
	global_load_dwordx2 v[4:5], v[4:5], off
	v_and_b32_e32 v3, 63, v0
	s_waitcnt vmcnt(0)
	v_subrev_u32_e32 v0, s16, v4
	v_subrev_u32_e32 v14, s16, v5
	v_add_u32_e32 v4, v0, v3
	v_cmp_lt_i32_e64 s[2:3], v4, v14
	s_cbranch_scc0 .LBB29_12
; %bb.7:
	v_mov_b32_e32 v1, 0
	v_mov_b32_e32 v0, v1
	;; [unrolled: 1-line block ×4, first 2 shown]
	s_and_saveexec_b64 s[4:5], s[2:3]
	s_cbranch_execz .LBB29_11
; %bb.8:
	v_mad_u64_u32 v[8:9], s[18:19], v4, 28, 24
	v_mov_b32_e32 v11, 0
	s_mov_b64 s[18:19], 0
	v_mov_b32_e32 v12, v4
	v_mov_b32_e32 v0, v11
	;; [unrolled: 1-line block ×5, first 2 shown]
.LBB29_9:                               ; =>This Inner Loop Header: Depth=1
	v_ashrrev_i32_e32 v13, 31, v12
	v_lshl_add_u64 v[16:17], v[12:13], 2, s[6:7]
	global_load_dword v5, v[16:17], off
	v_subrev_u32_e32 v10, 24, v8
	v_mov_b32_e32 v9, v11
	v_mov_b32_e32 v45, v11
	v_lshl_add_u64 v[16:17], v[10:11], 2, s[8:9]
	v_subrev_u32_e32 v10, 20, v8
	v_lshl_add_u64 v[28:29], v[8:9], 2, s[8:9]
	global_load_dwordx4 v[16:19], v[16:17], off
	v_lshl_add_u64 v[30:31], v[10:11], 2, s[8:9]
	global_load_dwordx4 v[20:23], v[28:29], off
	global_load_dwordx4 v[24:27], v[30:31], off
	v_add_u32_e32 v12, 64, v12
	v_cmp_ge_i32_e32 vcc, v12, v14
	s_or_b64 s[18:19], vcc, s[18:19]
	s_waitcnt vmcnt(3)
	v_subrev_u32_e32 v5, s16, v5
	v_mul_lo_u32 v44, v5, 7
	v_lshl_add_u64 v[28:29], v[44:45], 2, s[10:11]
	v_add_u32_e32 v10, 1, v44
	global_load_dword v46, v[28:29], off
	v_lshl_add_u64 v[28:29], v[10:11], 2, s[10:11]
	v_add_u32_e32 v10, -16, v8
	global_load_dword v48, v[28:29], off
	v_lshl_add_u64 v[28:29], v[10:11], 2, s[8:9]
	v_add_u32_e32 v10, 2, v44
	v_lshl_add_u64 v[32:33], v[10:11], 2, s[10:11]
	v_add_u32_e32 v10, -12, v8
	global_load_dword v50, v[32:33], off
	v_lshl_add_u64 v[32:33], v[10:11], 2, s[8:9]
	v_add_u32_e32 v10, 3, v44
	v_lshl_add_u64 v[36:37], v[10:11], 2, s[10:11]
	v_add_u32_e32 v10, -8, v8
	global_load_dword v52, v[36:37], off
	v_lshl_add_u64 v[36:37], v[10:11], 2, s[8:9]
	v_add_u32_e32 v10, 4, v44
	global_load_dwordx4 v[28:31], v[28:29], off
	v_lshl_add_u64 v[40:41], v[10:11], 2, s[10:11]
	v_add_u32_e32 v10, -4, v8
	global_load_dwordx4 v[32:35], v[32:33], off
	v_add_u32_e32 v8, 0x700, v8
	global_load_dword v54, v[40:41], off
	v_lshl_add_u64 v[40:41], v[10:11], 2, s[8:9]
	v_add_u32_e32 v10, 5, v44
	global_load_dwordx4 v[36:39], v[36:37], off
	v_lshl_add_u64 v[56:57], v[10:11], 2, s[10:11]
	v_add_u32_e32 v10, 6, v44
	global_load_dwordx4 v[40:43], v[40:41], off
	s_waitcnt vmcnt(8)
	v_pk_fma_f32 v[6:7], v[16:17], v[46:47], v[6:7] op_sel_hi:[1,0,1]
	global_load_dword v44, v[56:57], off
	v_lshl_add_u64 v[56:57], v[10:11], 2, s[10:11]
	global_load_dword v10, v[56:57], off
	v_pk_fma_f32 v[0:1], v[18:19], v[46:47], v[0:1] op_sel_hi:[1,0,1]
	s_waitcnt vmcnt(9)
	v_pk_fma_f32 v[6:7], v[24:25], v[48:49], v[6:7] op_sel_hi:[1,0,1]
	v_pk_fma_f32 v[0:1], v[26:27], v[48:49], v[0:1] op_sel_hi:[1,0,1]
	s_waitcnt vmcnt(6)
	v_pk_fma_f32 v[6:7], v[28:29], v[50:51], v[6:7] op_sel_hi:[1,0,1]
	;; [unrolled: 3-line block ×6, first 2 shown]
	v_pk_fma_f32 v[0:1], v[22:23], v[10:11], v[0:1] op_sel_hi:[1,0,1]
	s_andn2_b64 exec, exec, s[18:19]
	s_cbranch_execnz .LBB29_9
; %bb.10:
	s_or_b64 exec, exec, s[18:19]
.LBB29_11:
	s_or_b64 exec, exec, s[4:5]
	s_cbranch_execz .LBB29_13
	s_branch .LBB29_18
.LBB29_12:
                                        ; implicit-def: $vgpr1
                                        ; implicit-def: $vgpr7
.LBB29_13:
	v_mov_b32_e32 v1, 0
	v_mov_b32_e32 v0, v1
	;; [unrolled: 1-line block ×4, first 2 shown]
	s_and_saveexec_b64 s[4:5], s[2:3]
	s_cbranch_execz .LBB29_17
; %bb.14:
	v_mad_u64_u32 v[8:9], s[2:3], v4, 28, 27
	v_mov_b32_e32 v11, 0
	s_mov_b64 s[2:3], 0
	v_mov_b32_e32 v0, v11
	v_mov_b32_e32 v1, v11
	;; [unrolled: 1-line block ×4, first 2 shown]
.LBB29_15:                              ; =>This Inner Loop Header: Depth=1
	v_ashrrev_i32_e32 v5, 31, v4
	v_lshl_add_u64 v[12:13], v[4:5], 2, s[6:7]
	global_load_dword v5, v[12:13], off
	v_subrev_u32_e32 v10, 27, v8
	v_add_u32_e32 v18, -13, v8
	v_mov_b32_e32 v19, v11
	v_subrev_u32_e32 v16, 20, v8
	v_add_u32_e32 v20, -6, v8
	v_mov_b32_e32 v17, v11
	v_mov_b32_e32 v21, v11
	v_lshl_add_u64 v[22:23], v[10:11], 2, s[8:9]
	v_lshl_add_u64 v[18:19], v[18:19], 2, s[8:9]
	;; [unrolled: 1-line block ×4, first 2 shown]
	global_load_dwordx4 v[62:65], v[22:23], off
	global_load_dword v27, v[16:17], off
	global_load_dword v28, v[18:19], off
	;; [unrolled: 1-line block ×3, first 2 shown]
	v_mov_b32_e32 v13, v11
	v_mov_b32_e32 v9, v11
	v_lshl_add_u64 v[24:25], v[8:9], 2, s[8:9]
	v_add_u32_e32 v4, 64, v4
	v_cmp_ge_i32_e32 vcc, v4, v14
	s_or_b64 s[2:3], vcc, s[2:3]
	s_waitcnt vmcnt(4)
	v_subrev_u32_e32 v5, s16, v5
	v_mul_lo_u32 v12, v5, 7
	v_add_u32_e32 v10, 1, v12
	v_lshl_add_u64 v[18:19], v[10:11], 2, s[10:11]
	v_subrev_u32_e32 v10, 19, v8
	v_lshl_add_u64 v[20:21], v[10:11], 2, s[8:9]
	v_add_u32_e32 v10, -12, v8
	v_lshl_add_u64 v[16:17], v[12:13], 2, s[10:11]
	global_load_dword v13, v[20:21], off
	v_lshl_add_u64 v[20:21], v[10:11], 2, s[8:9]
	v_add_u32_e32 v10, -5, v8
	v_lshl_add_u64 v[22:23], v[10:11], 2, s[8:9]
	v_add_u32_e32 v10, 2, v12
	global_load_dword v16, v[16:17], off
	s_waitcnt vmcnt(5)
	v_mov_b32_e32 v26, v62
	global_load_dword v18, v[18:19], off
	s_nop 0
	global_load_dword v30, v[20:21], off
	global_load_dword v31, v[22:23], off
	v_lshl_add_u64 v[20:21], v[10:11], 2, s[10:11]
	v_subrev_u32_e32 v10, 18, v8
	v_lshl_add_u64 v[22:23], v[10:11], 2, s[8:9]
	v_add_u32_e32 v10, -11, v8
	v_lshl_add_u64 v[32:33], v[10:11], 2, s[8:9]
	v_add_u32_e32 v10, -4, v8
	v_lshl_add_u64 v[34:35], v[10:11], 2, s[8:9]
	v_add_u32_e32 v10, 3, v12
	global_load_dword v20, v[20:21], off
	v_mov_b32_e32 v40, v65
	global_load_dword v23, v[22:23], off
	s_nop 0
	global_load_dword v36, v[32:33], off
	global_load_dword v37, v[34:35], off
	v_lshl_add_u64 v[32:33], v[10:11], 2, s[10:11]
	v_subrev_u32_e32 v10, 17, v8
	v_lshl_add_u64 v[34:35], v[10:11], 2, s[8:9]
	v_add_u32_e32 v10, -10, v8
	v_lshl_add_u64 v[38:39], v[10:11], 2, s[8:9]
	v_add_u32_e32 v10, -3, v8
	global_load_dword v32, v[32:33], off
	s_nop 0
	global_load_dword v41, v[34:35], off
	global_load_dword v42, v[38:39], off
	v_lshl_add_u64 v[34:35], v[10:11], 2, s[8:9]
	v_subrev_u32_e32 v10, 23, v8
	v_lshl_add_u64 v[38:39], v[10:11], 2, s[8:9]
	v_add_u32_e32 v10, 4, v12
	global_load_dword v43, v[34:35], off
	global_load_dword v44, v[38:39], off
	v_lshl_add_u64 v[34:35], v[10:11], 2, s[10:11]
	v_add_u32_e32 v10, -16, v8
	v_lshl_add_u64 v[38:39], v[10:11], 2, s[8:9]
	v_add_u32_e32 v10, -9, v8
	v_lshl_add_u64 v[46:47], v[10:11], 2, s[8:9]
	v_add_u32_e32 v10, -2, v8
	global_load_dword v34, v[34:35], off
	s_nop 0
	global_load_dword v45, v[38:39], off
	global_load_dword v48, v[46:47], off
	v_lshl_add_u64 v[38:39], v[10:11], 2, s[8:9]
	v_subrev_u32_e32 v10, 22, v8
	v_lshl_add_u64 v[46:47], v[10:11], 2, s[8:9]
	v_add_u32_e32 v10, 5, v12
	global_load_dword v49, v[38:39], off
	global_load_dword v50, v[46:47], off
	v_lshl_add_u64 v[38:39], v[10:11], 2, s[10:11]
	v_add_u32_e32 v10, -15, v8
	;; [unrolled: 16-line block ×3, first 2 shown]
	v_lshl_add_u64 v[52:53], v[10:11], 2, s[8:9]
	v_add_u32_e32 v10, -7, v8
	global_load_dword v46, v[46:47], off
	v_lshl_add_u64 v[58:59], v[10:11], 2, s[8:9]
	global_load_dword v57, v[52:53], off
	global_load_dword v60, v[58:59], off
	;; [unrolled: 1-line block ×3, first 2 shown]
	v_mov_b32_e32 v12, v63
	v_mov_b32_e32 v22, v64
	v_add_u32_e32 v8, 0x700, v8
	s_waitcnt vmcnt(26)
	v_pk_fma_f32 v[6:7], v[26:27], v[16:17], v[6:7] op_sel_hi:[1,0,1]
	v_pk_fma_f32 v[0:1], v[28:29], v[16:17], v[0:1] op_sel_hi:[1,0,1]
	s_waitcnt vmcnt(25)
	v_pk_fma_f32 v[6:7], v[12:13], v[18:19], v[6:7] op_sel_hi:[1,0,1]
	s_waitcnt vmcnt(23)
	;; [unrolled: 2-line block ×12, first 2 shown]
	v_pk_fma_f32 v[0:1], v[60:61], v[46:47], v[0:1] op_sel_hi:[1,0,1]
	s_andn2_b64 exec, exec, s[2:3]
	s_cbranch_execnz .LBB29_15
; %bb.16:
	s_or_b64 exec, exec, s[2:3]
.LBB29_17:
	s_or_b64 exec, exec, s[4:5]
.LBB29_18:
	v_mov_b32_dpp v4, v6 row_shr:1 row_mask:0xf bank_mask:0xf
	v_mov_b32_dpp v5, v7 row_shr:1 row_mask:0xf bank_mask:0xf
	;; [unrolled: 1-line block ×4, first 2 shown]
	v_pk_add_f32 v[4:5], v[6:7], v[4:5]
	v_pk_add_f32 v[0:1], v[0:1], v[8:9]
	v_cmp_eq_u32_e32 vcc, 63, v3
	v_mov_b32_dpp v6, v4 row_shr:2 row_mask:0xf bank_mask:0xf
	v_mov_b32_dpp v7, v5 row_shr:2 row_mask:0xf bank_mask:0xf
	v_mov_b32_dpp v8, v0 row_shr:2 row_mask:0xf bank_mask:0xf
	v_mov_b32_dpp v9, v1 row_shr:2 row_mask:0xf bank_mask:0xf
	v_pk_add_f32 v[4:5], v[4:5], v[6:7]
	v_pk_add_f32 v[0:1], v[0:1], v[8:9]
	s_nop 0
	v_mov_b32_dpp v6, v4 row_shr:4 row_mask:0xf bank_mask:0xe
	v_mov_b32_dpp v7, v5 row_shr:4 row_mask:0xf bank_mask:0xe
	v_mov_b32_dpp v8, v0 row_shr:4 row_mask:0xf bank_mask:0xe
	v_mov_b32_dpp v9, v1 row_shr:4 row_mask:0xf bank_mask:0xe
	v_pk_add_f32 v[4:5], v[4:5], v[6:7]
	v_pk_add_f32 v[0:1], v[0:1], v[8:9]
	s_nop 0
	;; [unrolled: 7-line block ×3, first 2 shown]
	v_mov_b32_dpp v6, v4 row_bcast:15 row_mask:0xa bank_mask:0xf
	v_mov_b32_dpp v7, v5 row_bcast:15 row_mask:0xa bank_mask:0xf
	;; [unrolled: 1-line block ×4, first 2 shown]
	v_pk_add_f32 v[4:5], v[4:5], v[6:7]
	v_pk_add_f32 v[0:1], v[0:1], v[8:9]
	s_nop 0
	v_mov_b32_dpp v6, v4 row_bcast:31 row_mask:0xc bank_mask:0xf
	v_mov_b32_dpp v7, v5 row_bcast:31 row_mask:0xc bank_mask:0xf
	;; [unrolled: 1-line block ×4, first 2 shown]
	s_and_b64 exec, exec, vcc
	s_cbranch_execz .LBB29_22
; %bb.19:
	s_load_dwordx2 s[0:1], s[0:1], 0x38
	v_cmp_eq_f32_e64 s[2:3], s12, 0
	v_pk_add_f32 v[4:5], v[4:5], v[6:7]
	v_pk_add_f32 v[0:1], v[0:1], v[8:9]
	s_and_b64 vcc, exec, s[2:3]
	v_lshlrev_b32_e32 v2, 2, v2
	s_cbranch_vccz .LBB29_23
; %bb.20:
	v_ashrrev_i32_e32 v3, 31, v2
	s_waitcnt lgkmcnt(0)
	v_lshl_add_u64 v[10:11], v[2:3], 2, s[0:1]
	v_pk_mul_f32 v[6:7], s[14:15], v[4:5] op_sel_hi:[0,1]
	v_pk_mul_f32 v[8:9], s[14:15], v[0:1] op_sel_hi:[0,1]
	global_store_dwordx4 v[10:11], v[6:9], off
	s_cbranch_execnz .LBB29_22
.LBB29_21:
	v_ashrrev_i32_e32 v3, 31, v2
	s_waitcnt lgkmcnt(0)
	v_lshl_add_u64 v[10:11], v[2:3], 2, s[0:1]
	global_load_dwordx4 v[6:9], v[10:11], off
	v_pk_mul_f32 v[2:3], s[14:15], v[4:5] op_sel_hi:[0,1]
	v_pk_mul_f32 v[4:5], s[14:15], v[0:1] op_sel_hi:[0,1]
	s_waitcnt vmcnt(0)
	v_pk_fma_f32 v[0:1], s[12:13], v[6:7], v[2:3] op_sel_hi:[0,1,1]
	v_pk_fma_f32 v[2:3], s[12:13], v[8:9], v[4:5] op_sel_hi:[0,1,1]
	global_store_dwordx4 v[10:11], v[0:3], off
.LBB29_22:
	s_endpgm
.LBB29_23:
	s_branch .LBB29_21
	.section	.rodata,"a",@progbits
	.p2align	6, 0x0
	.amdhsa_kernel _ZN9rocsparseL19gebsrmvn_4xn_kernelILj128ELj7ELj64EfEEvi20rocsparse_direction_NS_24const_host_device_scalarIT2_EEPKiS6_PKS3_S8_S4_PS3_21rocsparse_index_base_b
		.amdhsa_group_segment_fixed_size 0
		.amdhsa_private_segment_fixed_size 0
		.amdhsa_kernarg_size 72
		.amdhsa_user_sgpr_count 2
		.amdhsa_user_sgpr_dispatch_ptr 0
		.amdhsa_user_sgpr_queue_ptr 0
		.amdhsa_user_sgpr_kernarg_segment_ptr 1
		.amdhsa_user_sgpr_dispatch_id 0
		.amdhsa_user_sgpr_kernarg_preload_length 0
		.amdhsa_user_sgpr_kernarg_preload_offset 0
		.amdhsa_user_sgpr_private_segment_size 0
		.amdhsa_uses_dynamic_stack 0
		.amdhsa_enable_private_segment 0
		.amdhsa_system_sgpr_workgroup_id_x 1
		.amdhsa_system_sgpr_workgroup_id_y 0
		.amdhsa_system_sgpr_workgroup_id_z 0
		.amdhsa_system_sgpr_workgroup_info 0
		.amdhsa_system_vgpr_workitem_id 0
		.amdhsa_next_free_vgpr 66
		.amdhsa_next_free_sgpr 20
		.amdhsa_accum_offset 68
		.amdhsa_reserve_vcc 1
		.amdhsa_float_round_mode_32 0
		.amdhsa_float_round_mode_16_64 0
		.amdhsa_float_denorm_mode_32 3
		.amdhsa_float_denorm_mode_16_64 3
		.amdhsa_dx10_clamp 1
		.amdhsa_ieee_mode 1
		.amdhsa_fp16_overflow 0
		.amdhsa_tg_split 0
		.amdhsa_exception_fp_ieee_invalid_op 0
		.amdhsa_exception_fp_denorm_src 0
		.amdhsa_exception_fp_ieee_div_zero 0
		.amdhsa_exception_fp_ieee_overflow 0
		.amdhsa_exception_fp_ieee_underflow 0
		.amdhsa_exception_fp_ieee_inexact 0
		.amdhsa_exception_int_div_zero 0
	.end_amdhsa_kernel
	.section	.text._ZN9rocsparseL19gebsrmvn_4xn_kernelILj128ELj7ELj64EfEEvi20rocsparse_direction_NS_24const_host_device_scalarIT2_EEPKiS6_PKS3_S8_S4_PS3_21rocsparse_index_base_b,"axG",@progbits,_ZN9rocsparseL19gebsrmvn_4xn_kernelILj128ELj7ELj64EfEEvi20rocsparse_direction_NS_24const_host_device_scalarIT2_EEPKiS6_PKS3_S8_S4_PS3_21rocsparse_index_base_b,comdat
.Lfunc_end29:
	.size	_ZN9rocsparseL19gebsrmvn_4xn_kernelILj128ELj7ELj64EfEEvi20rocsparse_direction_NS_24const_host_device_scalarIT2_EEPKiS6_PKS3_S8_S4_PS3_21rocsparse_index_base_b, .Lfunc_end29-_ZN9rocsparseL19gebsrmvn_4xn_kernelILj128ELj7ELj64EfEEvi20rocsparse_direction_NS_24const_host_device_scalarIT2_EEPKiS6_PKS3_S8_S4_PS3_21rocsparse_index_base_b
                                        ; -- End function
	.set _ZN9rocsparseL19gebsrmvn_4xn_kernelILj128ELj7ELj64EfEEvi20rocsparse_direction_NS_24const_host_device_scalarIT2_EEPKiS6_PKS3_S8_S4_PS3_21rocsparse_index_base_b.num_vgpr, 66
	.set _ZN9rocsparseL19gebsrmvn_4xn_kernelILj128ELj7ELj64EfEEvi20rocsparse_direction_NS_24const_host_device_scalarIT2_EEPKiS6_PKS3_S8_S4_PS3_21rocsparse_index_base_b.num_agpr, 0
	.set _ZN9rocsparseL19gebsrmvn_4xn_kernelILj128ELj7ELj64EfEEvi20rocsparse_direction_NS_24const_host_device_scalarIT2_EEPKiS6_PKS3_S8_S4_PS3_21rocsparse_index_base_b.numbered_sgpr, 20
	.set _ZN9rocsparseL19gebsrmvn_4xn_kernelILj128ELj7ELj64EfEEvi20rocsparse_direction_NS_24const_host_device_scalarIT2_EEPKiS6_PKS3_S8_S4_PS3_21rocsparse_index_base_b.num_named_barrier, 0
	.set _ZN9rocsparseL19gebsrmvn_4xn_kernelILj128ELj7ELj64EfEEvi20rocsparse_direction_NS_24const_host_device_scalarIT2_EEPKiS6_PKS3_S8_S4_PS3_21rocsparse_index_base_b.private_seg_size, 0
	.set _ZN9rocsparseL19gebsrmvn_4xn_kernelILj128ELj7ELj64EfEEvi20rocsparse_direction_NS_24const_host_device_scalarIT2_EEPKiS6_PKS3_S8_S4_PS3_21rocsparse_index_base_b.uses_vcc, 1
	.set _ZN9rocsparseL19gebsrmvn_4xn_kernelILj128ELj7ELj64EfEEvi20rocsparse_direction_NS_24const_host_device_scalarIT2_EEPKiS6_PKS3_S8_S4_PS3_21rocsparse_index_base_b.uses_flat_scratch, 0
	.set _ZN9rocsparseL19gebsrmvn_4xn_kernelILj128ELj7ELj64EfEEvi20rocsparse_direction_NS_24const_host_device_scalarIT2_EEPKiS6_PKS3_S8_S4_PS3_21rocsparse_index_base_b.has_dyn_sized_stack, 0
	.set _ZN9rocsparseL19gebsrmvn_4xn_kernelILj128ELj7ELj64EfEEvi20rocsparse_direction_NS_24const_host_device_scalarIT2_EEPKiS6_PKS3_S8_S4_PS3_21rocsparse_index_base_b.has_recursion, 0
	.set _ZN9rocsparseL19gebsrmvn_4xn_kernelILj128ELj7ELj64EfEEvi20rocsparse_direction_NS_24const_host_device_scalarIT2_EEPKiS6_PKS3_S8_S4_PS3_21rocsparse_index_base_b.has_indirect_call, 0
	.section	.AMDGPU.csdata,"",@progbits
; Kernel info:
; codeLenInByte = 2216
; TotalNumSgprs: 26
; NumVgprs: 66
; NumAgprs: 0
; TotalNumVgprs: 66
; ScratchSize: 0
; MemoryBound: 0
; FloatMode: 240
; IeeeMode: 1
; LDSByteSize: 0 bytes/workgroup (compile time only)
; SGPRBlocks: 3
; VGPRBlocks: 8
; NumSGPRsForWavesPerEU: 26
; NumVGPRsForWavesPerEU: 66
; AccumOffset: 68
; Occupancy: 7
; WaveLimiterHint : 1
; COMPUTE_PGM_RSRC2:SCRATCH_EN: 0
; COMPUTE_PGM_RSRC2:USER_SGPR: 2
; COMPUTE_PGM_RSRC2:TRAP_HANDLER: 0
; COMPUTE_PGM_RSRC2:TGID_X_EN: 1
; COMPUTE_PGM_RSRC2:TGID_Y_EN: 0
; COMPUTE_PGM_RSRC2:TGID_Z_EN: 0
; COMPUTE_PGM_RSRC2:TIDIG_COMP_CNT: 0
; COMPUTE_PGM_RSRC3_GFX90A:ACCUM_OFFSET: 16
; COMPUTE_PGM_RSRC3_GFX90A:TG_SPLIT: 0
	.section	.text._ZN9rocsparseL19gebsrmvn_4xn_kernelILj128ELj8ELj4EfEEvi20rocsparse_direction_NS_24const_host_device_scalarIT2_EEPKiS6_PKS3_S8_S4_PS3_21rocsparse_index_base_b,"axG",@progbits,_ZN9rocsparseL19gebsrmvn_4xn_kernelILj128ELj8ELj4EfEEvi20rocsparse_direction_NS_24const_host_device_scalarIT2_EEPKiS6_PKS3_S8_S4_PS3_21rocsparse_index_base_b,comdat
	.globl	_ZN9rocsparseL19gebsrmvn_4xn_kernelILj128ELj8ELj4EfEEvi20rocsparse_direction_NS_24const_host_device_scalarIT2_EEPKiS6_PKS3_S8_S4_PS3_21rocsparse_index_base_b ; -- Begin function _ZN9rocsparseL19gebsrmvn_4xn_kernelILj128ELj8ELj4EfEEvi20rocsparse_direction_NS_24const_host_device_scalarIT2_EEPKiS6_PKS3_S8_S4_PS3_21rocsparse_index_base_b
	.p2align	8
	.type	_ZN9rocsparseL19gebsrmvn_4xn_kernelILj128ELj8ELj4EfEEvi20rocsparse_direction_NS_24const_host_device_scalarIT2_EEPKiS6_PKS3_S8_S4_PS3_21rocsparse_index_base_b,@function
_ZN9rocsparseL19gebsrmvn_4xn_kernelILj128ELj8ELj4EfEEvi20rocsparse_direction_NS_24const_host_device_scalarIT2_EEPKiS6_PKS3_S8_S4_PS3_21rocsparse_index_base_b: ; @_ZN9rocsparseL19gebsrmvn_4xn_kernelILj128ELj8ELj4EfEEvi20rocsparse_direction_NS_24const_host_device_scalarIT2_EEPKiS6_PKS3_S8_S4_PS3_21rocsparse_index_base_b
; %bb.0:
	s_load_dwordx2 s[16:17], s[0:1], 0x40
	s_load_dwordx2 s[14:15], s[0:1], 0x8
	;; [unrolled: 1-line block ×3, first 2 shown]
	s_waitcnt lgkmcnt(0)
	s_bitcmp1_b32 s17, 0
	s_cselect_b64 s[6:7], -1, 0
	s_xor_b64 s[4:5], s[6:7], -1
	s_and_b64 vcc, exec, s[6:7]
	s_cbranch_vccnz .LBB30_2
; %bb.1:
	s_load_dword s14, s[14:15], 0x0
.LBB30_2:
	s_andn2_b64 vcc, exec, s[4:5]
	s_cbranch_vccnz .LBB30_4
; %bb.3:
	s_load_dword s12, s[12:13], 0x0
.LBB30_4:
	s_waitcnt lgkmcnt(0)
	v_cmp_eq_f32_e64 s[4:5], s14, 0
	v_cmp_eq_f32_e64 s[6:7], s12, 1.0
	s_and_b64 s[4:5], s[4:5], s[6:7]
	s_and_b64 vcc, exec, s[4:5]
	s_cbranch_vccnz .LBB30_22
; %bb.5:
	s_load_dwordx2 s[18:19], s[0:1], 0x0
	v_lshrrev_b32_e32 v1, 2, v0
	v_lshl_or_b32 v2, s2, 5, v1
	s_waitcnt lgkmcnt(0)
	v_cmp_gt_i32_e32 vcc, s18, v2
	s_and_saveexec_b64 s[2:3], vcc
	s_cbranch_execz .LBB30_22
; %bb.6:
	s_load_dwordx8 s[4:11], s[0:1], 0x10
	v_ashrrev_i32_e32 v3, 31, v2
	s_cmp_lg_u32 s19, 0
	s_waitcnt lgkmcnt(0)
	v_lshl_add_u64 v[4:5], v[2:3], 2, s[4:5]
	global_load_dwordx2 v[4:5], v[4:5], off
	v_and_b32_e32 v3, 3, v0
	s_waitcnt vmcnt(0)
	v_subrev_u32_e32 v0, s16, v4
	v_subrev_u32_e32 v12, s16, v5
	v_add_u32_e32 v0, v0, v3
	v_cmp_lt_i32_e64 s[2:3], v0, v12
	s_cbranch_scc0 .LBB30_12
; %bb.7:
	v_mov_b32_e32 v5, 0
	v_mov_b32_e32 v4, v5
	;; [unrolled: 1-line block ×4, first 2 shown]
	s_and_saveexec_b64 s[4:5], s[2:3]
	s_cbranch_execz .LBB30_11
; %bb.8:
	v_mov_b32_e32 v9, 0
	v_lshlrev_b32_e32 v8, 5, v0
	s_mov_b64 s[18:19], 0
	v_mov_b32_e32 v10, v0
	v_mov_b32_e32 v4, v9
	;; [unrolled: 1-line block ×5, first 2 shown]
.LBB30_9:                               ; =>This Inner Loop Header: Depth=1
	v_ashrrev_i32_e32 v11, 31, v10
	v_lshl_add_u64 v[14:15], v[10:11], 2, s[6:7]
	global_load_dword v1, v[14:15], off
	v_lshl_add_u64 v[54:55], v[8:9], 2, s[8:9]
	global_load_dwordx4 v[14:17], v[54:55], off offset:48
	global_load_dwordx4 v[18:21], v[54:55], off offset:32
	;; [unrolled: 1-line block ×3, first 2 shown]
	global_load_dwordx4 v[26:29], v[54:55], off
	v_mov_b32_e32 v31, v9
	v_add_u32_e32 v10, 4, v10
	v_cmp_ge_i32_e32 vcc, v10, v12
	v_add_u32_e32 v8, 0x80, v8
	s_or_b64 s[18:19], vcc, s[18:19]
	s_waitcnt vmcnt(4)
	v_subrev_u32_e32 v1, s16, v1
	v_lshlrev_b32_e32 v30, 3, v1
	v_lshl_add_u64 v[56:57], v[30:31], 2, s[10:11]
	global_load_dwordx4 v[30:33], v[56:57], off
	global_load_dwordx4 v[34:37], v[56:57], off offset:16
	global_load_dwordx4 v[38:41], v[54:55], off offset:64
	;; [unrolled: 1-line block ×5, first 2 shown]
	s_waitcnt vmcnt(5)
	v_pk_fma_f32 v[6:7], v[26:27], v[30:31], v[6:7] op_sel_hi:[1,0,1]
	v_pk_fma_f32 v[4:5], v[28:29], v[30:31], v[4:5] op_sel_hi:[1,0,1]
	v_pk_fma_f32 v[6:7], v[22:23], v[30:31], v[6:7] op_sel:[0,1,0]
	v_pk_fma_f32 v[4:5], v[24:25], v[30:31], v[4:5] op_sel:[0,1,0]
	v_mov_b32_e32 v26, v33
	v_pk_fma_f32 v[6:7], v[18:19], v[32:33], v[6:7] op_sel_hi:[1,0,1]
	v_pk_fma_f32 v[4:5], v[20:21], v[32:33], v[4:5] op_sel_hi:[1,0,1]
	;; [unrolled: 1-line block ×4, first 2 shown]
	s_waitcnt vmcnt(3)
	v_pk_fma_f32 v[6:7], v[38:39], v[34:35], v[6:7] op_sel_hi:[1,0,1]
	v_pk_fma_f32 v[4:5], v[40:41], v[34:35], v[4:5] op_sel_hi:[1,0,1]
	s_waitcnt vmcnt(2)
	v_pk_fma_f32 v[6:7], v[42:43], v[34:35], v[6:7] op_sel:[0,1,0]
	v_pk_fma_f32 v[4:5], v[44:45], v[34:35], v[4:5] op_sel:[0,1,0]
	v_mov_b32_e32 v28, v37
	s_waitcnt vmcnt(1)
	v_pk_fma_f32 v[6:7], v[46:47], v[36:37], v[6:7] op_sel_hi:[1,0,1]
	v_pk_fma_f32 v[4:5], v[48:49], v[36:37], v[4:5] op_sel_hi:[1,0,1]
	s_waitcnt vmcnt(0)
	v_pk_fma_f32 v[6:7], v[50:51], v[28:29], v[6:7] op_sel_hi:[1,0,1]
	v_pk_fma_f32 v[4:5], v[52:53], v[28:29], v[4:5] op_sel_hi:[1,0,1]
	s_andn2_b64 exec, exec, s[18:19]
	s_cbranch_execnz .LBB30_9
; %bb.10:
	s_or_b64 exec, exec, s[18:19]
.LBB30_11:
	s_or_b64 exec, exec, s[4:5]
	s_cbranch_execz .LBB30_13
	s_branch .LBB30_18
.LBB30_12:
                                        ; implicit-def: $vgpr5
                                        ; implicit-def: $vgpr7
.LBB30_13:
	v_mov_b32_e32 v5, 0
	v_mov_b32_e32 v4, v5
	;; [unrolled: 1-line block ×4, first 2 shown]
	s_and_saveexec_b64 s[4:5], s[2:3]
	s_cbranch_execz .LBB30_17
; %bb.14:
	v_mov_b32_e32 v9, 0
	v_lshlrev_b32_e32 v8, 5, v0
	s_mov_b64 s[2:3], 0
	v_mov_b32_e32 v4, v9
	v_mov_b32_e32 v5, v9
	;; [unrolled: 1-line block ×4, first 2 shown]
.LBB30_15:                              ; =>This Inner Loop Header: Depth=1
	v_ashrrev_i32_e32 v1, 31, v0
	v_lshl_add_u64 v[10:11], v[0:1], 2, s[6:7]
	global_load_dword v1, v[10:11], off
	v_lshl_add_u64 v[10:11], v[8:9], 2, s[8:9]
	v_mov_b32_e32 v31, v9
	global_load_dwordx4 v[40:43], v[10:11], off
	global_load_dwordx4 v[14:17], v[10:11], off offset:32
	global_load_dwordx4 v[46:49], v[10:11], off offset:64
	;; [unrolled: 1-line block ×7, first 2 shown]
	v_add_u32_e32 v0, 4, v0
	v_cmp_ge_i32_e32 vcc, v0, v12
	v_add_u32_e32 v8, 0x80, v8
	s_or_b64 s[2:3], vcc, s[2:3]
	s_waitcnt vmcnt(5)
	v_mov_b32_e32 v38, v46
	s_waitcnt vmcnt(4)
	v_mov_b32_e32 v39, v18
	v_subrev_u32_e32 v1, s16, v1
	v_lshlrev_b32_e32 v30, 3, v1
	v_lshl_add_u64 v[10:11], v[30:31], 2, s[10:11]
	global_load_dwordx4 v[30:33], v[10:11], off
	global_load_dwordx4 v[34:37], v[10:11], off offset:16
	v_mov_b32_e32 v10, v40
	v_mov_b32_e32 v11, v14
	;; [unrolled: 1-line block ×10, first 2 shown]
	s_waitcnt vmcnt(5)
	v_mov_b32_e32 v42, v50
	s_waitcnt vmcnt(4)
	v_mov_b32_e32 v43, v22
	;; [unrolled: 2-line block ×4, first 2 shown]
	v_mov_b32_e32 v22, v51
	v_mov_b32_e32 v26, v55
	;; [unrolled: 1-line block ×8, first 2 shown]
	s_waitcnt vmcnt(1)
	v_pk_fma_f32 v[6:7], v[10:11], v[30:31], v[6:7] op_sel_hi:[1,0,1]
	v_pk_fma_f32 v[4:5], v[38:39], v[30:31], v[4:5] op_sel_hi:[1,0,1]
	v_pk_fma_f32 v[6:7], v[14:15], v[30:31], v[6:7] op_sel:[0,1,0]
	v_pk_fma_f32 v[4:5], v[18:19], v[30:31], v[4:5] op_sel:[0,1,0]
	v_mov_b32_e32 v10, v33
	v_pk_fma_f32 v[6:7], v[40:41], v[32:33], v[6:7] op_sel_hi:[1,0,1]
	v_pk_fma_f32 v[4:5], v[46:47], v[32:33], v[4:5] op_sel_hi:[1,0,1]
	;; [unrolled: 1-line block ×4, first 2 shown]
	s_waitcnt vmcnt(0)
	v_pk_fma_f32 v[6:7], v[42:43], v[34:35], v[6:7] op_sel_hi:[1,0,1]
	v_pk_fma_f32 v[4:5], v[48:49], v[34:35], v[4:5] op_sel_hi:[1,0,1]
	v_pk_fma_f32 v[6:7], v[22:23], v[34:35], v[6:7] op_sel:[0,1,0]
	v_pk_fma_f32 v[4:5], v[26:27], v[34:35], v[4:5] op_sel:[0,1,0]
	v_mov_b32_e32 v38, v37
	v_pk_fma_f32 v[6:7], v[44:45], v[36:37], v[6:7] op_sel_hi:[1,0,1]
	v_pk_fma_f32 v[4:5], v[50:51], v[36:37], v[4:5] op_sel_hi:[1,0,1]
	;; [unrolled: 1-line block ×4, first 2 shown]
	s_andn2_b64 exec, exec, s[2:3]
	s_cbranch_execnz .LBB30_15
; %bb.16:
	s_or_b64 exec, exec, s[2:3]
.LBB30_17:
	s_or_b64 exec, exec, s[4:5]
.LBB30_18:
	v_mov_b32_dpp v0, v6 row_shr:1 row_mask:0xf bank_mask:0xf
	v_mov_b32_dpp v1, v7 row_shr:1 row_mask:0xf bank_mask:0xf
	;; [unrolled: 1-line block ×4, first 2 shown]
	v_pk_add_f32 v[0:1], v[6:7], v[0:1]
	v_pk_add_f32 v[8:9], v[4:5], v[8:9]
	v_cmp_eq_u32_e32 vcc, 3, v3
	v_mov_b32_dpp v6, v0 row_shr:2 row_mask:0xf bank_mask:0xf
	v_mov_b32_dpp v7, v1 row_shr:2 row_mask:0xf bank_mask:0xf
	v_mov_b32_dpp v10, v8 row_shr:2 row_mask:0xf bank_mask:0xf
	v_mov_b32_dpp v11, v9 row_shr:2 row_mask:0xf bank_mask:0xf
	s_and_b64 exec, exec, vcc
	s_cbranch_execz .LBB30_22
; %bb.19:
	s_load_dwordx2 s[0:1], s[0:1], 0x38
	v_cmp_eq_f32_e64 s[2:3], s12, 0
	v_pk_add_f32 v[4:5], v[0:1], v[6:7]
	v_pk_add_f32 v[0:1], v[8:9], v[10:11]
	s_and_b64 vcc, exec, s[2:3]
	v_lshlrev_b32_e32 v2, 2, v2
	s_cbranch_vccz .LBB30_23
; %bb.20:
	v_ashrrev_i32_e32 v3, 31, v2
	s_waitcnt lgkmcnt(0)
	v_lshl_add_u64 v[10:11], v[2:3], 2, s[0:1]
	v_pk_mul_f32 v[6:7], s[14:15], v[4:5] op_sel_hi:[0,1]
	v_pk_mul_f32 v[8:9], s[14:15], v[0:1] op_sel_hi:[0,1]
	global_store_dwordx4 v[10:11], v[6:9], off
	s_cbranch_execnz .LBB30_22
.LBB30_21:
	v_ashrrev_i32_e32 v3, 31, v2
	s_waitcnt lgkmcnt(0)
	v_lshl_add_u64 v[10:11], v[2:3], 2, s[0:1]
	global_load_dwordx4 v[6:9], v[10:11], off
	v_pk_mul_f32 v[2:3], s[14:15], v[4:5] op_sel_hi:[0,1]
	v_pk_mul_f32 v[4:5], s[14:15], v[0:1] op_sel_hi:[0,1]
	s_waitcnt vmcnt(0)
	v_pk_fma_f32 v[0:1], s[12:13], v[6:7], v[2:3] op_sel_hi:[0,1,1]
	v_pk_fma_f32 v[2:3], s[12:13], v[8:9], v[4:5] op_sel_hi:[0,1,1]
	global_store_dwordx4 v[10:11], v[0:3], off
.LBB30_22:
	s_endpgm
.LBB30_23:
	s_branch .LBB30_21
	.section	.rodata,"a",@progbits
	.p2align	6, 0x0
	.amdhsa_kernel _ZN9rocsparseL19gebsrmvn_4xn_kernelILj128ELj8ELj4EfEEvi20rocsparse_direction_NS_24const_host_device_scalarIT2_EEPKiS6_PKS3_S8_S4_PS3_21rocsparse_index_base_b
		.amdhsa_group_segment_fixed_size 0
		.amdhsa_private_segment_fixed_size 0
		.amdhsa_kernarg_size 72
		.amdhsa_user_sgpr_count 2
		.amdhsa_user_sgpr_dispatch_ptr 0
		.amdhsa_user_sgpr_queue_ptr 0
		.amdhsa_user_sgpr_kernarg_segment_ptr 1
		.amdhsa_user_sgpr_dispatch_id 0
		.amdhsa_user_sgpr_kernarg_preload_length 0
		.amdhsa_user_sgpr_kernarg_preload_offset 0
		.amdhsa_user_sgpr_private_segment_size 0
		.amdhsa_uses_dynamic_stack 0
		.amdhsa_enable_private_segment 0
		.amdhsa_system_sgpr_workgroup_id_x 1
		.amdhsa_system_sgpr_workgroup_id_y 0
		.amdhsa_system_sgpr_workgroup_id_z 0
		.amdhsa_system_sgpr_workgroup_info 0
		.amdhsa_system_vgpr_workitem_id 0
		.amdhsa_next_free_vgpr 58
		.amdhsa_next_free_sgpr 20
		.amdhsa_accum_offset 60
		.amdhsa_reserve_vcc 1
		.amdhsa_float_round_mode_32 0
		.amdhsa_float_round_mode_16_64 0
		.amdhsa_float_denorm_mode_32 3
		.amdhsa_float_denorm_mode_16_64 3
		.amdhsa_dx10_clamp 1
		.amdhsa_ieee_mode 1
		.amdhsa_fp16_overflow 0
		.amdhsa_tg_split 0
		.amdhsa_exception_fp_ieee_invalid_op 0
		.amdhsa_exception_fp_denorm_src 0
		.amdhsa_exception_fp_ieee_div_zero 0
		.amdhsa_exception_fp_ieee_overflow 0
		.amdhsa_exception_fp_ieee_underflow 0
		.amdhsa_exception_fp_ieee_inexact 0
		.amdhsa_exception_int_div_zero 0
	.end_amdhsa_kernel
	.section	.text._ZN9rocsparseL19gebsrmvn_4xn_kernelILj128ELj8ELj4EfEEvi20rocsparse_direction_NS_24const_host_device_scalarIT2_EEPKiS6_PKS3_S8_S4_PS3_21rocsparse_index_base_b,"axG",@progbits,_ZN9rocsparseL19gebsrmvn_4xn_kernelILj128ELj8ELj4EfEEvi20rocsparse_direction_NS_24const_host_device_scalarIT2_EEPKiS6_PKS3_S8_S4_PS3_21rocsparse_index_base_b,comdat
.Lfunc_end30:
	.size	_ZN9rocsparseL19gebsrmvn_4xn_kernelILj128ELj8ELj4EfEEvi20rocsparse_direction_NS_24const_host_device_scalarIT2_EEPKiS6_PKS3_S8_S4_PS3_21rocsparse_index_base_b, .Lfunc_end30-_ZN9rocsparseL19gebsrmvn_4xn_kernelILj128ELj8ELj4EfEEvi20rocsparse_direction_NS_24const_host_device_scalarIT2_EEPKiS6_PKS3_S8_S4_PS3_21rocsparse_index_base_b
                                        ; -- End function
	.set _ZN9rocsparseL19gebsrmvn_4xn_kernelILj128ELj8ELj4EfEEvi20rocsparse_direction_NS_24const_host_device_scalarIT2_EEPKiS6_PKS3_S8_S4_PS3_21rocsparse_index_base_b.num_vgpr, 58
	.set _ZN9rocsparseL19gebsrmvn_4xn_kernelILj128ELj8ELj4EfEEvi20rocsparse_direction_NS_24const_host_device_scalarIT2_EEPKiS6_PKS3_S8_S4_PS3_21rocsparse_index_base_b.num_agpr, 0
	.set _ZN9rocsparseL19gebsrmvn_4xn_kernelILj128ELj8ELj4EfEEvi20rocsparse_direction_NS_24const_host_device_scalarIT2_EEPKiS6_PKS3_S8_S4_PS3_21rocsparse_index_base_b.numbered_sgpr, 20
	.set _ZN9rocsparseL19gebsrmvn_4xn_kernelILj128ELj8ELj4EfEEvi20rocsparse_direction_NS_24const_host_device_scalarIT2_EEPKiS6_PKS3_S8_S4_PS3_21rocsparse_index_base_b.num_named_barrier, 0
	.set _ZN9rocsparseL19gebsrmvn_4xn_kernelILj128ELj8ELj4EfEEvi20rocsparse_direction_NS_24const_host_device_scalarIT2_EEPKiS6_PKS3_S8_S4_PS3_21rocsparse_index_base_b.private_seg_size, 0
	.set _ZN9rocsparseL19gebsrmvn_4xn_kernelILj128ELj8ELj4EfEEvi20rocsparse_direction_NS_24const_host_device_scalarIT2_EEPKiS6_PKS3_S8_S4_PS3_21rocsparse_index_base_b.uses_vcc, 1
	.set _ZN9rocsparseL19gebsrmvn_4xn_kernelILj128ELj8ELj4EfEEvi20rocsparse_direction_NS_24const_host_device_scalarIT2_EEPKiS6_PKS3_S8_S4_PS3_21rocsparse_index_base_b.uses_flat_scratch, 0
	.set _ZN9rocsparseL19gebsrmvn_4xn_kernelILj128ELj8ELj4EfEEvi20rocsparse_direction_NS_24const_host_device_scalarIT2_EEPKiS6_PKS3_S8_S4_PS3_21rocsparse_index_base_b.has_dyn_sized_stack, 0
	.set _ZN9rocsparseL19gebsrmvn_4xn_kernelILj128ELj8ELj4EfEEvi20rocsparse_direction_NS_24const_host_device_scalarIT2_EEPKiS6_PKS3_S8_S4_PS3_21rocsparse_index_base_b.has_recursion, 0
	.set _ZN9rocsparseL19gebsrmvn_4xn_kernelILj128ELj8ELj4EfEEvi20rocsparse_direction_NS_24const_host_device_scalarIT2_EEPKiS6_PKS3_S8_S4_PS3_21rocsparse_index_base_b.has_indirect_call, 0
	.section	.AMDGPU.csdata,"",@progbits
; Kernel info:
; codeLenInByte = 1332
; TotalNumSgprs: 26
; NumVgprs: 58
; NumAgprs: 0
; TotalNumVgprs: 58
; ScratchSize: 0
; MemoryBound: 0
; FloatMode: 240
; IeeeMode: 1
; LDSByteSize: 0 bytes/workgroup (compile time only)
; SGPRBlocks: 3
; VGPRBlocks: 7
; NumSGPRsForWavesPerEU: 26
; NumVGPRsForWavesPerEU: 58
; AccumOffset: 60
; Occupancy: 8
; WaveLimiterHint : 1
; COMPUTE_PGM_RSRC2:SCRATCH_EN: 0
; COMPUTE_PGM_RSRC2:USER_SGPR: 2
; COMPUTE_PGM_RSRC2:TRAP_HANDLER: 0
; COMPUTE_PGM_RSRC2:TGID_X_EN: 1
; COMPUTE_PGM_RSRC2:TGID_Y_EN: 0
; COMPUTE_PGM_RSRC2:TGID_Z_EN: 0
; COMPUTE_PGM_RSRC2:TIDIG_COMP_CNT: 0
; COMPUTE_PGM_RSRC3_GFX90A:ACCUM_OFFSET: 14
; COMPUTE_PGM_RSRC3_GFX90A:TG_SPLIT: 0
	.section	.text._ZN9rocsparseL19gebsrmvn_4xn_kernelILj128ELj8ELj8EfEEvi20rocsparse_direction_NS_24const_host_device_scalarIT2_EEPKiS6_PKS3_S8_S4_PS3_21rocsparse_index_base_b,"axG",@progbits,_ZN9rocsparseL19gebsrmvn_4xn_kernelILj128ELj8ELj8EfEEvi20rocsparse_direction_NS_24const_host_device_scalarIT2_EEPKiS6_PKS3_S8_S4_PS3_21rocsparse_index_base_b,comdat
	.globl	_ZN9rocsparseL19gebsrmvn_4xn_kernelILj128ELj8ELj8EfEEvi20rocsparse_direction_NS_24const_host_device_scalarIT2_EEPKiS6_PKS3_S8_S4_PS3_21rocsparse_index_base_b ; -- Begin function _ZN9rocsparseL19gebsrmvn_4xn_kernelILj128ELj8ELj8EfEEvi20rocsparse_direction_NS_24const_host_device_scalarIT2_EEPKiS6_PKS3_S8_S4_PS3_21rocsparse_index_base_b
	.p2align	8
	.type	_ZN9rocsparseL19gebsrmvn_4xn_kernelILj128ELj8ELj8EfEEvi20rocsparse_direction_NS_24const_host_device_scalarIT2_EEPKiS6_PKS3_S8_S4_PS3_21rocsparse_index_base_b,@function
_ZN9rocsparseL19gebsrmvn_4xn_kernelILj128ELj8ELj8EfEEvi20rocsparse_direction_NS_24const_host_device_scalarIT2_EEPKiS6_PKS3_S8_S4_PS3_21rocsparse_index_base_b: ; @_ZN9rocsparseL19gebsrmvn_4xn_kernelILj128ELj8ELj8EfEEvi20rocsparse_direction_NS_24const_host_device_scalarIT2_EEPKiS6_PKS3_S8_S4_PS3_21rocsparse_index_base_b
; %bb.0:
	s_load_dwordx2 s[16:17], s[0:1], 0x40
	s_load_dwordx2 s[14:15], s[0:1], 0x8
	;; [unrolled: 1-line block ×3, first 2 shown]
	s_waitcnt lgkmcnt(0)
	s_bitcmp1_b32 s17, 0
	s_cselect_b64 s[6:7], -1, 0
	s_xor_b64 s[4:5], s[6:7], -1
	s_and_b64 vcc, exec, s[6:7]
	s_cbranch_vccnz .LBB31_2
; %bb.1:
	s_load_dword s14, s[14:15], 0x0
.LBB31_2:
	s_andn2_b64 vcc, exec, s[4:5]
	s_cbranch_vccnz .LBB31_4
; %bb.3:
	s_load_dword s12, s[12:13], 0x0
.LBB31_4:
	s_waitcnt lgkmcnt(0)
	v_cmp_eq_f32_e64 s[4:5], s14, 0
	v_cmp_eq_f32_e64 s[6:7], s12, 1.0
	s_and_b64 s[4:5], s[4:5], s[6:7]
	s_and_b64 vcc, exec, s[4:5]
	s_cbranch_vccnz .LBB31_22
; %bb.5:
	s_load_dwordx2 s[18:19], s[0:1], 0x0
	v_lshrrev_b32_e32 v1, 3, v0
	v_lshl_or_b32 v2, s2, 4, v1
	s_waitcnt lgkmcnt(0)
	v_cmp_gt_i32_e32 vcc, s18, v2
	s_and_saveexec_b64 s[2:3], vcc
	s_cbranch_execz .LBB31_22
; %bb.6:
	s_load_dwordx8 s[4:11], s[0:1], 0x10
	v_ashrrev_i32_e32 v3, 31, v2
	s_cmp_lg_u32 s19, 0
	s_waitcnt lgkmcnt(0)
	v_lshl_add_u64 v[4:5], v[2:3], 2, s[4:5]
	global_load_dwordx2 v[4:5], v[4:5], off
	v_and_b32_e32 v3, 7, v0
	s_waitcnt vmcnt(0)
	v_subrev_u32_e32 v0, s16, v4
	v_subrev_u32_e32 v12, s16, v5
	v_add_u32_e32 v0, v0, v3
	v_cmp_lt_i32_e64 s[2:3], v0, v12
	s_cbranch_scc0 .LBB31_12
; %bb.7:
	v_mov_b32_e32 v5, 0
	v_mov_b32_e32 v4, v5
	;; [unrolled: 1-line block ×4, first 2 shown]
	s_and_saveexec_b64 s[4:5], s[2:3]
	s_cbranch_execz .LBB31_11
; %bb.8:
	v_mov_b32_e32 v9, 0
	v_lshlrev_b32_e32 v8, 5, v0
	s_mov_b64 s[18:19], 0
	v_mov_b32_e32 v10, v0
	v_mov_b32_e32 v4, v9
	;; [unrolled: 1-line block ×5, first 2 shown]
.LBB31_9:                               ; =>This Inner Loop Header: Depth=1
	v_ashrrev_i32_e32 v11, 31, v10
	v_lshl_add_u64 v[14:15], v[10:11], 2, s[6:7]
	global_load_dword v1, v[14:15], off
	v_lshl_add_u64 v[54:55], v[8:9], 2, s[8:9]
	global_load_dwordx4 v[14:17], v[54:55], off offset:48
	global_load_dwordx4 v[18:21], v[54:55], off offset:32
	;; [unrolled: 1-line block ×3, first 2 shown]
	global_load_dwordx4 v[26:29], v[54:55], off
	v_mov_b32_e32 v31, v9
	v_add_u32_e32 v10, 8, v10
	v_cmp_ge_i32_e32 vcc, v10, v12
	v_add_u32_e32 v8, 0x100, v8
	s_or_b64 s[18:19], vcc, s[18:19]
	s_waitcnt vmcnt(4)
	v_subrev_u32_e32 v1, s16, v1
	v_lshlrev_b32_e32 v30, 3, v1
	v_lshl_add_u64 v[56:57], v[30:31], 2, s[10:11]
	global_load_dwordx4 v[30:33], v[56:57], off
	global_load_dwordx4 v[34:37], v[56:57], off offset:16
	global_load_dwordx4 v[38:41], v[54:55], off offset:64
	global_load_dwordx4 v[42:45], v[54:55], off offset:80
	global_load_dwordx4 v[46:49], v[54:55], off offset:96
	global_load_dwordx4 v[50:53], v[54:55], off offset:112
	s_waitcnt vmcnt(5)
	v_pk_fma_f32 v[6:7], v[26:27], v[30:31], v[6:7] op_sel_hi:[1,0,1]
	v_pk_fma_f32 v[4:5], v[28:29], v[30:31], v[4:5] op_sel_hi:[1,0,1]
	v_pk_fma_f32 v[6:7], v[22:23], v[30:31], v[6:7] op_sel:[0,1,0]
	v_pk_fma_f32 v[4:5], v[24:25], v[30:31], v[4:5] op_sel:[0,1,0]
	v_mov_b32_e32 v26, v33
	v_pk_fma_f32 v[6:7], v[18:19], v[32:33], v[6:7] op_sel_hi:[1,0,1]
	v_pk_fma_f32 v[4:5], v[20:21], v[32:33], v[4:5] op_sel_hi:[1,0,1]
	;; [unrolled: 1-line block ×4, first 2 shown]
	s_waitcnt vmcnt(3)
	v_pk_fma_f32 v[6:7], v[38:39], v[34:35], v[6:7] op_sel_hi:[1,0,1]
	v_pk_fma_f32 v[4:5], v[40:41], v[34:35], v[4:5] op_sel_hi:[1,0,1]
	s_waitcnt vmcnt(2)
	v_pk_fma_f32 v[6:7], v[42:43], v[34:35], v[6:7] op_sel:[0,1,0]
	v_pk_fma_f32 v[4:5], v[44:45], v[34:35], v[4:5] op_sel:[0,1,0]
	v_mov_b32_e32 v28, v37
	s_waitcnt vmcnt(1)
	v_pk_fma_f32 v[6:7], v[46:47], v[36:37], v[6:7] op_sel_hi:[1,0,1]
	v_pk_fma_f32 v[4:5], v[48:49], v[36:37], v[4:5] op_sel_hi:[1,0,1]
	s_waitcnt vmcnt(0)
	v_pk_fma_f32 v[6:7], v[50:51], v[28:29], v[6:7] op_sel_hi:[1,0,1]
	v_pk_fma_f32 v[4:5], v[52:53], v[28:29], v[4:5] op_sel_hi:[1,0,1]
	s_andn2_b64 exec, exec, s[18:19]
	s_cbranch_execnz .LBB31_9
; %bb.10:
	s_or_b64 exec, exec, s[18:19]
.LBB31_11:
	s_or_b64 exec, exec, s[4:5]
	s_cbranch_execz .LBB31_13
	s_branch .LBB31_18
.LBB31_12:
                                        ; implicit-def: $vgpr5
                                        ; implicit-def: $vgpr7
.LBB31_13:
	v_mov_b32_e32 v5, 0
	v_mov_b32_e32 v4, v5
	;; [unrolled: 1-line block ×4, first 2 shown]
	s_and_saveexec_b64 s[4:5], s[2:3]
	s_cbranch_execz .LBB31_17
; %bb.14:
	v_mov_b32_e32 v9, 0
	v_lshlrev_b32_e32 v8, 5, v0
	s_mov_b64 s[2:3], 0
	v_mov_b32_e32 v4, v9
	v_mov_b32_e32 v5, v9
	;; [unrolled: 1-line block ×4, first 2 shown]
.LBB31_15:                              ; =>This Inner Loop Header: Depth=1
	v_ashrrev_i32_e32 v1, 31, v0
	v_lshl_add_u64 v[10:11], v[0:1], 2, s[6:7]
	global_load_dword v1, v[10:11], off
	v_lshl_add_u64 v[10:11], v[8:9], 2, s[8:9]
	v_mov_b32_e32 v31, v9
	global_load_dwordx4 v[42:45], v[10:11], off
	global_load_dwordx4 v[14:17], v[10:11], off offset:32
	global_load_dwordx4 v[46:49], v[10:11], off offset:64
	;; [unrolled: 1-line block ×7, first 2 shown]
	v_add_u32_e32 v0, 8, v0
	v_cmp_ge_i32_e32 vcc, v0, v12
	v_add_u32_e32 v8, 0x100, v8
	s_or_b64 s[2:3], vcc, s[2:3]
	s_waitcnt vmcnt(7)
	v_mov_b32_e32 v38, v44
	s_waitcnt vmcnt(6)
	v_mov_b32_e32 v39, v16
	;; [unrolled: 2-line block ×4, first 2 shown]
	v_subrev_u32_e32 v1, s16, v1
	v_lshlrev_b32_e32 v30, 3, v1
	v_lshl_add_u64 v[10:11], v[30:31], 2, s[10:11]
	global_load_dwordx4 v[30:33], v[10:11], off
	global_load_dwordx4 v[34:37], v[10:11], off offset:16
	v_mov_b32_e32 v10, v42
	v_mov_b32_e32 v11, v14
	;; [unrolled: 1-line block ×8, first 2 shown]
	s_waitcnt vmcnt(5)
	v_mov_b32_e32 v44, v50
	s_waitcnt vmcnt(4)
	v_mov_b32_e32 v45, v22
	;; [unrolled: 2-line block ×4, first 2 shown]
	v_mov_b32_e32 v22, v51
	v_mov_b32_e32 v26, v55
	;; [unrolled: 1-line block ×8, first 2 shown]
	s_waitcnt vmcnt(1)
	v_pk_fma_f32 v[6:7], v[10:11], v[30:31], v[6:7] op_sel_hi:[1,0,1]
	v_pk_fma_f32 v[4:5], v[40:41], v[30:31], v[4:5] op_sel_hi:[1,0,1]
	v_pk_fma_f32 v[6:7], v[14:15], v[30:31], v[6:7] op_sel:[0,1,0]
	v_pk_fma_f32 v[4:5], v[18:19], v[30:31], v[4:5] op_sel:[0,1,0]
	v_mov_b32_e32 v10, v33
	v_pk_fma_f32 v[6:7], v[38:39], v[32:33], v[6:7] op_sel_hi:[1,0,1]
	v_pk_fma_f32 v[4:5], v[42:43], v[32:33], v[4:5] op_sel_hi:[1,0,1]
	;; [unrolled: 1-line block ×4, first 2 shown]
	s_waitcnt vmcnt(0)
	v_pk_fma_f32 v[6:7], v[44:45], v[34:35], v[6:7] op_sel_hi:[1,0,1]
	v_pk_fma_f32 v[4:5], v[48:49], v[34:35], v[4:5] op_sel_hi:[1,0,1]
	v_pk_fma_f32 v[6:7], v[22:23], v[34:35], v[6:7] op_sel:[0,1,0]
	v_pk_fma_f32 v[4:5], v[26:27], v[34:35], v[4:5] op_sel:[0,1,0]
	v_mov_b32_e32 v40, v37
	v_pk_fma_f32 v[6:7], v[46:47], v[36:37], v[6:7] op_sel_hi:[1,0,1]
	v_pk_fma_f32 v[4:5], v[50:51], v[36:37], v[4:5] op_sel_hi:[1,0,1]
	;; [unrolled: 1-line block ×4, first 2 shown]
	s_andn2_b64 exec, exec, s[2:3]
	s_cbranch_execnz .LBB31_15
; %bb.16:
	s_or_b64 exec, exec, s[2:3]
.LBB31_17:
	s_or_b64 exec, exec, s[4:5]
.LBB31_18:
	v_mov_b32_dpp v0, v6 row_shr:1 row_mask:0xf bank_mask:0xf
	v_mov_b32_dpp v1, v7 row_shr:1 row_mask:0xf bank_mask:0xf
	;; [unrolled: 1-line block ×4, first 2 shown]
	v_pk_add_f32 v[0:1], v[6:7], v[0:1]
	v_pk_add_f32 v[4:5], v[4:5], v[8:9]
	v_cmp_eq_u32_e32 vcc, 7, v3
	v_mov_b32_dpp v6, v0 row_shr:2 row_mask:0xf bank_mask:0xf
	v_mov_b32_dpp v7, v1 row_shr:2 row_mask:0xf bank_mask:0xf
	;; [unrolled: 1-line block ×4, first 2 shown]
	v_pk_add_f32 v[0:1], v[0:1], v[6:7]
	v_pk_add_f32 v[8:9], v[4:5], v[8:9]
	s_nop 0
	v_mov_b32_dpp v6, v0 row_shr:4 row_mask:0xf bank_mask:0xe
	v_mov_b32_dpp v7, v1 row_shr:4 row_mask:0xf bank_mask:0xe
	;; [unrolled: 1-line block ×4, first 2 shown]
	s_and_b64 exec, exec, vcc
	s_cbranch_execz .LBB31_22
; %bb.19:
	s_load_dwordx2 s[0:1], s[0:1], 0x38
	v_cmp_eq_f32_e64 s[2:3], s12, 0
	v_pk_add_f32 v[4:5], v[0:1], v[6:7]
	v_pk_add_f32 v[0:1], v[8:9], v[10:11]
	s_and_b64 vcc, exec, s[2:3]
	v_lshlrev_b32_e32 v2, 2, v2
	s_cbranch_vccz .LBB31_23
; %bb.20:
	v_ashrrev_i32_e32 v3, 31, v2
	s_waitcnt lgkmcnt(0)
	v_lshl_add_u64 v[10:11], v[2:3], 2, s[0:1]
	v_pk_mul_f32 v[6:7], s[14:15], v[4:5] op_sel_hi:[0,1]
	v_pk_mul_f32 v[8:9], s[14:15], v[0:1] op_sel_hi:[0,1]
	global_store_dwordx4 v[10:11], v[6:9], off
	s_cbranch_execnz .LBB31_22
.LBB31_21:
	v_ashrrev_i32_e32 v3, 31, v2
	s_waitcnt lgkmcnt(0)
	v_lshl_add_u64 v[10:11], v[2:3], 2, s[0:1]
	global_load_dwordx4 v[6:9], v[10:11], off
	v_pk_mul_f32 v[2:3], s[14:15], v[4:5] op_sel_hi:[0,1]
	v_pk_mul_f32 v[4:5], s[14:15], v[0:1] op_sel_hi:[0,1]
	s_waitcnt vmcnt(0)
	v_pk_fma_f32 v[0:1], s[12:13], v[6:7], v[2:3] op_sel_hi:[0,1,1]
	v_pk_fma_f32 v[2:3], s[12:13], v[8:9], v[4:5] op_sel_hi:[0,1,1]
	global_store_dwordx4 v[10:11], v[0:3], off
.LBB31_22:
	s_endpgm
.LBB31_23:
	s_branch .LBB31_21
	.section	.rodata,"a",@progbits
	.p2align	6, 0x0
	.amdhsa_kernel _ZN9rocsparseL19gebsrmvn_4xn_kernelILj128ELj8ELj8EfEEvi20rocsparse_direction_NS_24const_host_device_scalarIT2_EEPKiS6_PKS3_S8_S4_PS3_21rocsparse_index_base_b
		.amdhsa_group_segment_fixed_size 0
		.amdhsa_private_segment_fixed_size 0
		.amdhsa_kernarg_size 72
		.amdhsa_user_sgpr_count 2
		.amdhsa_user_sgpr_dispatch_ptr 0
		.amdhsa_user_sgpr_queue_ptr 0
		.amdhsa_user_sgpr_kernarg_segment_ptr 1
		.amdhsa_user_sgpr_dispatch_id 0
		.amdhsa_user_sgpr_kernarg_preload_length 0
		.amdhsa_user_sgpr_kernarg_preload_offset 0
		.amdhsa_user_sgpr_private_segment_size 0
		.amdhsa_uses_dynamic_stack 0
		.amdhsa_enable_private_segment 0
		.amdhsa_system_sgpr_workgroup_id_x 1
		.amdhsa_system_sgpr_workgroup_id_y 0
		.amdhsa_system_sgpr_workgroup_id_z 0
		.amdhsa_system_sgpr_workgroup_info 0
		.amdhsa_system_vgpr_workitem_id 0
		.amdhsa_next_free_vgpr 58
		.amdhsa_next_free_sgpr 20
		.amdhsa_accum_offset 60
		.amdhsa_reserve_vcc 1
		.amdhsa_float_round_mode_32 0
		.amdhsa_float_round_mode_16_64 0
		.amdhsa_float_denorm_mode_32 3
		.amdhsa_float_denorm_mode_16_64 3
		.amdhsa_dx10_clamp 1
		.amdhsa_ieee_mode 1
		.amdhsa_fp16_overflow 0
		.amdhsa_tg_split 0
		.amdhsa_exception_fp_ieee_invalid_op 0
		.amdhsa_exception_fp_denorm_src 0
		.amdhsa_exception_fp_ieee_div_zero 0
		.amdhsa_exception_fp_ieee_overflow 0
		.amdhsa_exception_fp_ieee_underflow 0
		.amdhsa_exception_fp_ieee_inexact 0
		.amdhsa_exception_int_div_zero 0
	.end_amdhsa_kernel
	.section	.text._ZN9rocsparseL19gebsrmvn_4xn_kernelILj128ELj8ELj8EfEEvi20rocsparse_direction_NS_24const_host_device_scalarIT2_EEPKiS6_PKS3_S8_S4_PS3_21rocsparse_index_base_b,"axG",@progbits,_ZN9rocsparseL19gebsrmvn_4xn_kernelILj128ELj8ELj8EfEEvi20rocsparse_direction_NS_24const_host_device_scalarIT2_EEPKiS6_PKS3_S8_S4_PS3_21rocsparse_index_base_b,comdat
.Lfunc_end31:
	.size	_ZN9rocsparseL19gebsrmvn_4xn_kernelILj128ELj8ELj8EfEEvi20rocsparse_direction_NS_24const_host_device_scalarIT2_EEPKiS6_PKS3_S8_S4_PS3_21rocsparse_index_base_b, .Lfunc_end31-_ZN9rocsparseL19gebsrmvn_4xn_kernelILj128ELj8ELj8EfEEvi20rocsparse_direction_NS_24const_host_device_scalarIT2_EEPKiS6_PKS3_S8_S4_PS3_21rocsparse_index_base_b
                                        ; -- End function
	.set _ZN9rocsparseL19gebsrmvn_4xn_kernelILj128ELj8ELj8EfEEvi20rocsparse_direction_NS_24const_host_device_scalarIT2_EEPKiS6_PKS3_S8_S4_PS3_21rocsparse_index_base_b.num_vgpr, 58
	.set _ZN9rocsparseL19gebsrmvn_4xn_kernelILj128ELj8ELj8EfEEvi20rocsparse_direction_NS_24const_host_device_scalarIT2_EEPKiS6_PKS3_S8_S4_PS3_21rocsparse_index_base_b.num_agpr, 0
	.set _ZN9rocsparseL19gebsrmvn_4xn_kernelILj128ELj8ELj8EfEEvi20rocsparse_direction_NS_24const_host_device_scalarIT2_EEPKiS6_PKS3_S8_S4_PS3_21rocsparse_index_base_b.numbered_sgpr, 20
	.set _ZN9rocsparseL19gebsrmvn_4xn_kernelILj128ELj8ELj8EfEEvi20rocsparse_direction_NS_24const_host_device_scalarIT2_EEPKiS6_PKS3_S8_S4_PS3_21rocsparse_index_base_b.num_named_barrier, 0
	.set _ZN9rocsparseL19gebsrmvn_4xn_kernelILj128ELj8ELj8EfEEvi20rocsparse_direction_NS_24const_host_device_scalarIT2_EEPKiS6_PKS3_S8_S4_PS3_21rocsparse_index_base_b.private_seg_size, 0
	.set _ZN9rocsparseL19gebsrmvn_4xn_kernelILj128ELj8ELj8EfEEvi20rocsparse_direction_NS_24const_host_device_scalarIT2_EEPKiS6_PKS3_S8_S4_PS3_21rocsparse_index_base_b.uses_vcc, 1
	.set _ZN9rocsparseL19gebsrmvn_4xn_kernelILj128ELj8ELj8EfEEvi20rocsparse_direction_NS_24const_host_device_scalarIT2_EEPKiS6_PKS3_S8_S4_PS3_21rocsparse_index_base_b.uses_flat_scratch, 0
	.set _ZN9rocsparseL19gebsrmvn_4xn_kernelILj128ELj8ELj8EfEEvi20rocsparse_direction_NS_24const_host_device_scalarIT2_EEPKiS6_PKS3_S8_S4_PS3_21rocsparse_index_base_b.has_dyn_sized_stack, 0
	.set _ZN9rocsparseL19gebsrmvn_4xn_kernelILj128ELj8ELj8EfEEvi20rocsparse_direction_NS_24const_host_device_scalarIT2_EEPKiS6_PKS3_S8_S4_PS3_21rocsparse_index_base_b.has_recursion, 0
	.set _ZN9rocsparseL19gebsrmvn_4xn_kernelILj128ELj8ELj8EfEEvi20rocsparse_direction_NS_24const_host_device_scalarIT2_EEPKiS6_PKS3_S8_S4_PS3_21rocsparse_index_base_b.has_indirect_call, 0
	.section	.AMDGPU.csdata,"",@progbits
; Kernel info:
; codeLenInByte = 1392
; TotalNumSgprs: 26
; NumVgprs: 58
; NumAgprs: 0
; TotalNumVgprs: 58
; ScratchSize: 0
; MemoryBound: 0
; FloatMode: 240
; IeeeMode: 1
; LDSByteSize: 0 bytes/workgroup (compile time only)
; SGPRBlocks: 3
; VGPRBlocks: 7
; NumSGPRsForWavesPerEU: 26
; NumVGPRsForWavesPerEU: 58
; AccumOffset: 60
; Occupancy: 8
; WaveLimiterHint : 1
; COMPUTE_PGM_RSRC2:SCRATCH_EN: 0
; COMPUTE_PGM_RSRC2:USER_SGPR: 2
; COMPUTE_PGM_RSRC2:TRAP_HANDLER: 0
; COMPUTE_PGM_RSRC2:TGID_X_EN: 1
; COMPUTE_PGM_RSRC2:TGID_Y_EN: 0
; COMPUTE_PGM_RSRC2:TGID_Z_EN: 0
; COMPUTE_PGM_RSRC2:TIDIG_COMP_CNT: 0
; COMPUTE_PGM_RSRC3_GFX90A:ACCUM_OFFSET: 14
; COMPUTE_PGM_RSRC3_GFX90A:TG_SPLIT: 0
	.section	.text._ZN9rocsparseL19gebsrmvn_4xn_kernelILj128ELj8ELj16EfEEvi20rocsparse_direction_NS_24const_host_device_scalarIT2_EEPKiS6_PKS3_S8_S4_PS3_21rocsparse_index_base_b,"axG",@progbits,_ZN9rocsparseL19gebsrmvn_4xn_kernelILj128ELj8ELj16EfEEvi20rocsparse_direction_NS_24const_host_device_scalarIT2_EEPKiS6_PKS3_S8_S4_PS3_21rocsparse_index_base_b,comdat
	.globl	_ZN9rocsparseL19gebsrmvn_4xn_kernelILj128ELj8ELj16EfEEvi20rocsparse_direction_NS_24const_host_device_scalarIT2_EEPKiS6_PKS3_S8_S4_PS3_21rocsparse_index_base_b ; -- Begin function _ZN9rocsparseL19gebsrmvn_4xn_kernelILj128ELj8ELj16EfEEvi20rocsparse_direction_NS_24const_host_device_scalarIT2_EEPKiS6_PKS3_S8_S4_PS3_21rocsparse_index_base_b
	.p2align	8
	.type	_ZN9rocsparseL19gebsrmvn_4xn_kernelILj128ELj8ELj16EfEEvi20rocsparse_direction_NS_24const_host_device_scalarIT2_EEPKiS6_PKS3_S8_S4_PS3_21rocsparse_index_base_b,@function
_ZN9rocsparseL19gebsrmvn_4xn_kernelILj128ELj8ELj16EfEEvi20rocsparse_direction_NS_24const_host_device_scalarIT2_EEPKiS6_PKS3_S8_S4_PS3_21rocsparse_index_base_b: ; @_ZN9rocsparseL19gebsrmvn_4xn_kernelILj128ELj8ELj16EfEEvi20rocsparse_direction_NS_24const_host_device_scalarIT2_EEPKiS6_PKS3_S8_S4_PS3_21rocsparse_index_base_b
; %bb.0:
	s_load_dwordx2 s[16:17], s[0:1], 0x40
	s_load_dwordx2 s[14:15], s[0:1], 0x8
	;; [unrolled: 1-line block ×3, first 2 shown]
	s_waitcnt lgkmcnt(0)
	s_bitcmp1_b32 s17, 0
	s_cselect_b64 s[6:7], -1, 0
	s_xor_b64 s[4:5], s[6:7], -1
	s_and_b64 vcc, exec, s[6:7]
	s_cbranch_vccnz .LBB32_2
; %bb.1:
	s_load_dword s14, s[14:15], 0x0
.LBB32_2:
	s_andn2_b64 vcc, exec, s[4:5]
	s_cbranch_vccnz .LBB32_4
; %bb.3:
	s_load_dword s12, s[12:13], 0x0
.LBB32_4:
	s_waitcnt lgkmcnt(0)
	v_cmp_eq_f32_e64 s[4:5], s14, 0
	v_cmp_eq_f32_e64 s[6:7], s12, 1.0
	s_and_b64 s[4:5], s[4:5], s[6:7]
	s_and_b64 vcc, exec, s[4:5]
	s_cbranch_vccnz .LBB32_22
; %bb.5:
	s_load_dwordx2 s[18:19], s[0:1], 0x0
	v_lshrrev_b32_e32 v1, 4, v0
	v_lshl_or_b32 v2, s2, 3, v1
	s_waitcnt lgkmcnt(0)
	v_cmp_gt_i32_e32 vcc, s18, v2
	s_and_saveexec_b64 s[2:3], vcc
	s_cbranch_execz .LBB32_22
; %bb.6:
	s_load_dwordx8 s[4:11], s[0:1], 0x10
	v_ashrrev_i32_e32 v3, 31, v2
	s_cmp_lg_u32 s19, 0
	s_waitcnt lgkmcnt(0)
	v_lshl_add_u64 v[4:5], v[2:3], 2, s[4:5]
	global_load_dwordx2 v[4:5], v[4:5], off
	v_and_b32_e32 v3, 15, v0
	s_waitcnt vmcnt(0)
	v_subrev_u32_e32 v0, s16, v4
	v_subrev_u32_e32 v12, s16, v5
	v_add_u32_e32 v0, v0, v3
	v_cmp_lt_i32_e64 s[2:3], v0, v12
	s_cbranch_scc0 .LBB32_12
; %bb.7:
	v_mov_b32_e32 v5, 0
	v_mov_b32_e32 v4, v5
	;; [unrolled: 1-line block ×4, first 2 shown]
	s_and_saveexec_b64 s[4:5], s[2:3]
	s_cbranch_execz .LBB32_11
; %bb.8:
	v_mov_b32_e32 v9, 0
	v_lshlrev_b32_e32 v8, 5, v0
	s_mov_b64 s[18:19], 0
	v_mov_b32_e32 v10, v0
	v_mov_b32_e32 v4, v9
	;; [unrolled: 1-line block ×5, first 2 shown]
.LBB32_9:                               ; =>This Inner Loop Header: Depth=1
	v_ashrrev_i32_e32 v11, 31, v10
	v_lshl_add_u64 v[14:15], v[10:11], 2, s[6:7]
	global_load_dword v1, v[14:15], off
	v_lshl_add_u64 v[54:55], v[8:9], 2, s[8:9]
	global_load_dwordx4 v[14:17], v[54:55], off offset:48
	global_load_dwordx4 v[18:21], v[54:55], off offset:32
	;; [unrolled: 1-line block ×3, first 2 shown]
	global_load_dwordx4 v[26:29], v[54:55], off
	v_mov_b32_e32 v31, v9
	v_add_u32_e32 v10, 16, v10
	v_cmp_ge_i32_e32 vcc, v10, v12
	v_add_u32_e32 v8, 0x200, v8
	s_or_b64 s[18:19], vcc, s[18:19]
	s_waitcnt vmcnt(4)
	v_subrev_u32_e32 v1, s16, v1
	v_lshlrev_b32_e32 v30, 3, v1
	v_lshl_add_u64 v[56:57], v[30:31], 2, s[10:11]
	global_load_dwordx4 v[30:33], v[56:57], off
	global_load_dwordx4 v[34:37], v[56:57], off offset:16
	global_load_dwordx4 v[38:41], v[54:55], off offset:64
	;; [unrolled: 1-line block ×5, first 2 shown]
	s_waitcnt vmcnt(5)
	v_pk_fma_f32 v[6:7], v[26:27], v[30:31], v[6:7] op_sel_hi:[1,0,1]
	v_pk_fma_f32 v[4:5], v[28:29], v[30:31], v[4:5] op_sel_hi:[1,0,1]
	v_pk_fma_f32 v[6:7], v[22:23], v[30:31], v[6:7] op_sel:[0,1,0]
	v_pk_fma_f32 v[4:5], v[24:25], v[30:31], v[4:5] op_sel:[0,1,0]
	v_mov_b32_e32 v26, v33
	v_pk_fma_f32 v[6:7], v[18:19], v[32:33], v[6:7] op_sel_hi:[1,0,1]
	v_pk_fma_f32 v[4:5], v[20:21], v[32:33], v[4:5] op_sel_hi:[1,0,1]
	;; [unrolled: 1-line block ×4, first 2 shown]
	s_waitcnt vmcnt(3)
	v_pk_fma_f32 v[6:7], v[38:39], v[34:35], v[6:7] op_sel_hi:[1,0,1]
	v_pk_fma_f32 v[4:5], v[40:41], v[34:35], v[4:5] op_sel_hi:[1,0,1]
	s_waitcnt vmcnt(2)
	v_pk_fma_f32 v[6:7], v[42:43], v[34:35], v[6:7] op_sel:[0,1,0]
	v_pk_fma_f32 v[4:5], v[44:45], v[34:35], v[4:5] op_sel:[0,1,0]
	v_mov_b32_e32 v28, v37
	s_waitcnt vmcnt(1)
	v_pk_fma_f32 v[6:7], v[46:47], v[36:37], v[6:7] op_sel_hi:[1,0,1]
	v_pk_fma_f32 v[4:5], v[48:49], v[36:37], v[4:5] op_sel_hi:[1,0,1]
	s_waitcnt vmcnt(0)
	v_pk_fma_f32 v[6:7], v[50:51], v[28:29], v[6:7] op_sel_hi:[1,0,1]
	v_pk_fma_f32 v[4:5], v[52:53], v[28:29], v[4:5] op_sel_hi:[1,0,1]
	s_andn2_b64 exec, exec, s[18:19]
	s_cbranch_execnz .LBB32_9
; %bb.10:
	s_or_b64 exec, exec, s[18:19]
.LBB32_11:
	s_or_b64 exec, exec, s[4:5]
	s_cbranch_execz .LBB32_13
	s_branch .LBB32_18
.LBB32_12:
                                        ; implicit-def: $vgpr5
                                        ; implicit-def: $vgpr7
.LBB32_13:
	v_mov_b32_e32 v5, 0
	v_mov_b32_e32 v4, v5
	;; [unrolled: 1-line block ×4, first 2 shown]
	s_and_saveexec_b64 s[4:5], s[2:3]
	s_cbranch_execz .LBB32_17
; %bb.14:
	v_mov_b32_e32 v9, 0
	v_lshlrev_b32_e32 v8, 5, v0
	s_mov_b64 s[2:3], 0
	v_mov_b32_e32 v4, v9
	v_mov_b32_e32 v5, v9
	;; [unrolled: 1-line block ×4, first 2 shown]
.LBB32_15:                              ; =>This Inner Loop Header: Depth=1
	v_ashrrev_i32_e32 v1, 31, v0
	v_lshl_add_u64 v[10:11], v[0:1], 2, s[6:7]
	global_load_dword v1, v[10:11], off
	v_lshl_add_u64 v[10:11], v[8:9], 2, s[8:9]
	v_mov_b32_e32 v31, v9
	global_load_dwordx4 v[38:41], v[10:11], off
	global_load_dwordx4 v[14:17], v[10:11], off offset:32
	global_load_dwordx4 v[42:45], v[10:11], off offset:64
	;; [unrolled: 1-line block ×7, first 2 shown]
	v_add_u32_e32 v0, 16, v0
	v_cmp_ge_i32_e32 vcc, v0, v12
	v_add_u32_e32 v8, 0x200, v8
	s_or_b64 s[2:3], vcc, s[2:3]
	s_waitcnt vmcnt(3)
	v_mov_b32_e32 v46, v52
	v_subrev_u32_e32 v1, s16, v1
	v_lshlrev_b32_e32 v30, 3, v1
	v_lshl_add_u64 v[10:11], v[30:31], 2, s[10:11]
	global_load_dwordx4 v[30:33], v[10:11], off
	global_load_dwordx4 v[34:37], v[10:11], off offset:16
	v_mov_b32_e32 v10, v38
	v_mov_b32_e32 v11, v14
	;; [unrolled: 1-line block ×13, first 2 shown]
	s_waitcnt vmcnt(4)
	v_mov_b32_e32 v45, v22
	s_waitcnt vmcnt(3)
	v_mov_b32_e32 v48, v54
	;; [unrolled: 2-line block ×3, first 2 shown]
	v_mov_b32_e32 v22, v51
	v_mov_b32_e32 v26, v55
	;; [unrolled: 1-line block ×7, first 2 shown]
	s_waitcnt vmcnt(1)
	v_pk_fma_f32 v[6:7], v[10:11], v[30:31], v[6:7] op_sel_hi:[1,0,1]
	v_pk_fma_f32 v[4:5], v[40:41], v[30:31], v[4:5] op_sel_hi:[1,0,1]
	v_pk_fma_f32 v[6:7], v[14:15], v[30:31], v[6:7] op_sel:[0,1,0]
	v_pk_fma_f32 v[4:5], v[18:19], v[30:31], v[4:5] op_sel:[0,1,0]
	v_mov_b32_e32 v10, v33
	v_pk_fma_f32 v[6:7], v[38:39], v[32:33], v[6:7] op_sel_hi:[1,0,1]
	v_pk_fma_f32 v[4:5], v[42:43], v[32:33], v[4:5] op_sel_hi:[1,0,1]
	;; [unrolled: 1-line block ×4, first 2 shown]
	s_waitcnt vmcnt(0)
	v_pk_fma_f32 v[6:7], v[44:45], v[34:35], v[6:7] op_sel_hi:[1,0,1]
	v_pk_fma_f32 v[4:5], v[48:49], v[34:35], v[4:5] op_sel_hi:[1,0,1]
	v_pk_fma_f32 v[6:7], v[22:23], v[34:35], v[6:7] op_sel:[0,1,0]
	v_pk_fma_f32 v[4:5], v[26:27], v[34:35], v[4:5] op_sel:[0,1,0]
	v_mov_b32_e32 v40, v37
	v_pk_fma_f32 v[6:7], v[46:47], v[36:37], v[6:7] op_sel_hi:[1,0,1]
	v_pk_fma_f32 v[4:5], v[50:51], v[36:37], v[4:5] op_sel_hi:[1,0,1]
	;; [unrolled: 1-line block ×4, first 2 shown]
	s_andn2_b64 exec, exec, s[2:3]
	s_cbranch_execnz .LBB32_15
; %bb.16:
	s_or_b64 exec, exec, s[2:3]
.LBB32_17:
	s_or_b64 exec, exec, s[4:5]
.LBB32_18:
	v_mov_b32_dpp v0, v6 row_shr:1 row_mask:0xf bank_mask:0xf
	v_mov_b32_dpp v1, v7 row_shr:1 row_mask:0xf bank_mask:0xf
	;; [unrolled: 1-line block ×4, first 2 shown]
	v_pk_add_f32 v[0:1], v[6:7], v[0:1]
	v_pk_add_f32 v[4:5], v[4:5], v[8:9]
	v_cmp_eq_u32_e32 vcc, 15, v3
	v_mov_b32_dpp v6, v0 row_shr:2 row_mask:0xf bank_mask:0xf
	v_mov_b32_dpp v7, v1 row_shr:2 row_mask:0xf bank_mask:0xf
	;; [unrolled: 1-line block ×4, first 2 shown]
	v_pk_add_f32 v[0:1], v[0:1], v[6:7]
	v_pk_add_f32 v[4:5], v[4:5], v[8:9]
	s_nop 0
	v_mov_b32_dpp v6, v0 row_shr:4 row_mask:0xf bank_mask:0xe
	v_mov_b32_dpp v7, v1 row_shr:4 row_mask:0xf bank_mask:0xe
	v_mov_b32_dpp v8, v4 row_shr:4 row_mask:0xf bank_mask:0xe
	v_mov_b32_dpp v9, v5 row_shr:4 row_mask:0xf bank_mask:0xe
	v_pk_add_f32 v[0:1], v[0:1], v[6:7]
	v_pk_add_f32 v[8:9], v[4:5], v[8:9]
	s_nop 0
	v_mov_b32_dpp v6, v0 row_shr:8 row_mask:0xf bank_mask:0xc
	v_mov_b32_dpp v7, v1 row_shr:8 row_mask:0xf bank_mask:0xc
	;; [unrolled: 1-line block ×4, first 2 shown]
	s_and_b64 exec, exec, vcc
	s_cbranch_execz .LBB32_22
; %bb.19:
	s_load_dwordx2 s[0:1], s[0:1], 0x38
	v_cmp_eq_f32_e64 s[2:3], s12, 0
	v_pk_add_f32 v[4:5], v[0:1], v[6:7]
	v_pk_add_f32 v[0:1], v[8:9], v[10:11]
	s_and_b64 vcc, exec, s[2:3]
	v_lshlrev_b32_e32 v2, 2, v2
	s_cbranch_vccz .LBB32_23
; %bb.20:
	v_ashrrev_i32_e32 v3, 31, v2
	s_waitcnt lgkmcnt(0)
	v_lshl_add_u64 v[10:11], v[2:3], 2, s[0:1]
	v_pk_mul_f32 v[6:7], s[14:15], v[4:5] op_sel_hi:[0,1]
	v_pk_mul_f32 v[8:9], s[14:15], v[0:1] op_sel_hi:[0,1]
	global_store_dwordx4 v[10:11], v[6:9], off
	s_cbranch_execnz .LBB32_22
.LBB32_21:
	v_ashrrev_i32_e32 v3, 31, v2
	s_waitcnt lgkmcnt(0)
	v_lshl_add_u64 v[10:11], v[2:3], 2, s[0:1]
	global_load_dwordx4 v[6:9], v[10:11], off
	v_pk_mul_f32 v[2:3], s[14:15], v[4:5] op_sel_hi:[0,1]
	v_pk_mul_f32 v[4:5], s[14:15], v[0:1] op_sel_hi:[0,1]
	s_waitcnt vmcnt(0)
	v_pk_fma_f32 v[0:1], s[12:13], v[6:7], v[2:3] op_sel_hi:[0,1,1]
	v_pk_fma_f32 v[2:3], s[12:13], v[8:9], v[4:5] op_sel_hi:[0,1,1]
	global_store_dwordx4 v[10:11], v[0:3], off
.LBB32_22:
	s_endpgm
.LBB32_23:
	s_branch .LBB32_21
	.section	.rodata,"a",@progbits
	.p2align	6, 0x0
	.amdhsa_kernel _ZN9rocsparseL19gebsrmvn_4xn_kernelILj128ELj8ELj16EfEEvi20rocsparse_direction_NS_24const_host_device_scalarIT2_EEPKiS6_PKS3_S8_S4_PS3_21rocsparse_index_base_b
		.amdhsa_group_segment_fixed_size 0
		.amdhsa_private_segment_fixed_size 0
		.amdhsa_kernarg_size 72
		.amdhsa_user_sgpr_count 2
		.amdhsa_user_sgpr_dispatch_ptr 0
		.amdhsa_user_sgpr_queue_ptr 0
		.amdhsa_user_sgpr_kernarg_segment_ptr 1
		.amdhsa_user_sgpr_dispatch_id 0
		.amdhsa_user_sgpr_kernarg_preload_length 0
		.amdhsa_user_sgpr_kernarg_preload_offset 0
		.amdhsa_user_sgpr_private_segment_size 0
		.amdhsa_uses_dynamic_stack 0
		.amdhsa_enable_private_segment 0
		.amdhsa_system_sgpr_workgroup_id_x 1
		.amdhsa_system_sgpr_workgroup_id_y 0
		.amdhsa_system_sgpr_workgroup_id_z 0
		.amdhsa_system_sgpr_workgroup_info 0
		.amdhsa_system_vgpr_workitem_id 0
		.amdhsa_next_free_vgpr 58
		.amdhsa_next_free_sgpr 20
		.amdhsa_accum_offset 60
		.amdhsa_reserve_vcc 1
		.amdhsa_float_round_mode_32 0
		.amdhsa_float_round_mode_16_64 0
		.amdhsa_float_denorm_mode_32 3
		.amdhsa_float_denorm_mode_16_64 3
		.amdhsa_dx10_clamp 1
		.amdhsa_ieee_mode 1
		.amdhsa_fp16_overflow 0
		.amdhsa_tg_split 0
		.amdhsa_exception_fp_ieee_invalid_op 0
		.amdhsa_exception_fp_denorm_src 0
		.amdhsa_exception_fp_ieee_div_zero 0
		.amdhsa_exception_fp_ieee_overflow 0
		.amdhsa_exception_fp_ieee_underflow 0
		.amdhsa_exception_fp_ieee_inexact 0
		.amdhsa_exception_int_div_zero 0
	.end_amdhsa_kernel
	.section	.text._ZN9rocsparseL19gebsrmvn_4xn_kernelILj128ELj8ELj16EfEEvi20rocsparse_direction_NS_24const_host_device_scalarIT2_EEPKiS6_PKS3_S8_S4_PS3_21rocsparse_index_base_b,"axG",@progbits,_ZN9rocsparseL19gebsrmvn_4xn_kernelILj128ELj8ELj16EfEEvi20rocsparse_direction_NS_24const_host_device_scalarIT2_EEPKiS6_PKS3_S8_S4_PS3_21rocsparse_index_base_b,comdat
.Lfunc_end32:
	.size	_ZN9rocsparseL19gebsrmvn_4xn_kernelILj128ELj8ELj16EfEEvi20rocsparse_direction_NS_24const_host_device_scalarIT2_EEPKiS6_PKS3_S8_S4_PS3_21rocsparse_index_base_b, .Lfunc_end32-_ZN9rocsparseL19gebsrmvn_4xn_kernelILj128ELj8ELj16EfEEvi20rocsparse_direction_NS_24const_host_device_scalarIT2_EEPKiS6_PKS3_S8_S4_PS3_21rocsparse_index_base_b
                                        ; -- End function
	.set _ZN9rocsparseL19gebsrmvn_4xn_kernelILj128ELj8ELj16EfEEvi20rocsparse_direction_NS_24const_host_device_scalarIT2_EEPKiS6_PKS3_S8_S4_PS3_21rocsparse_index_base_b.num_vgpr, 58
	.set _ZN9rocsparseL19gebsrmvn_4xn_kernelILj128ELj8ELj16EfEEvi20rocsparse_direction_NS_24const_host_device_scalarIT2_EEPKiS6_PKS3_S8_S4_PS3_21rocsparse_index_base_b.num_agpr, 0
	.set _ZN9rocsparseL19gebsrmvn_4xn_kernelILj128ELj8ELj16EfEEvi20rocsparse_direction_NS_24const_host_device_scalarIT2_EEPKiS6_PKS3_S8_S4_PS3_21rocsparse_index_base_b.numbered_sgpr, 20
	.set _ZN9rocsparseL19gebsrmvn_4xn_kernelILj128ELj8ELj16EfEEvi20rocsparse_direction_NS_24const_host_device_scalarIT2_EEPKiS6_PKS3_S8_S4_PS3_21rocsparse_index_base_b.num_named_barrier, 0
	.set _ZN9rocsparseL19gebsrmvn_4xn_kernelILj128ELj8ELj16EfEEvi20rocsparse_direction_NS_24const_host_device_scalarIT2_EEPKiS6_PKS3_S8_S4_PS3_21rocsparse_index_base_b.private_seg_size, 0
	.set _ZN9rocsparseL19gebsrmvn_4xn_kernelILj128ELj8ELj16EfEEvi20rocsparse_direction_NS_24const_host_device_scalarIT2_EEPKiS6_PKS3_S8_S4_PS3_21rocsparse_index_base_b.uses_vcc, 1
	.set _ZN9rocsparseL19gebsrmvn_4xn_kernelILj128ELj8ELj16EfEEvi20rocsparse_direction_NS_24const_host_device_scalarIT2_EEPKiS6_PKS3_S8_S4_PS3_21rocsparse_index_base_b.uses_flat_scratch, 0
	.set _ZN9rocsparseL19gebsrmvn_4xn_kernelILj128ELj8ELj16EfEEvi20rocsparse_direction_NS_24const_host_device_scalarIT2_EEPKiS6_PKS3_S8_S4_PS3_21rocsparse_index_base_b.has_dyn_sized_stack, 0
	.set _ZN9rocsparseL19gebsrmvn_4xn_kernelILj128ELj8ELj16EfEEvi20rocsparse_direction_NS_24const_host_device_scalarIT2_EEPKiS6_PKS3_S8_S4_PS3_21rocsparse_index_base_b.has_recursion, 0
	.set _ZN9rocsparseL19gebsrmvn_4xn_kernelILj128ELj8ELj16EfEEvi20rocsparse_direction_NS_24const_host_device_scalarIT2_EEPKiS6_PKS3_S8_S4_PS3_21rocsparse_index_base_b.has_indirect_call, 0
	.section	.AMDGPU.csdata,"",@progbits
; Kernel info:
; codeLenInByte = 1428
; TotalNumSgprs: 26
; NumVgprs: 58
; NumAgprs: 0
; TotalNumVgprs: 58
; ScratchSize: 0
; MemoryBound: 0
; FloatMode: 240
; IeeeMode: 1
; LDSByteSize: 0 bytes/workgroup (compile time only)
; SGPRBlocks: 3
; VGPRBlocks: 7
; NumSGPRsForWavesPerEU: 26
; NumVGPRsForWavesPerEU: 58
; AccumOffset: 60
; Occupancy: 8
; WaveLimiterHint : 1
; COMPUTE_PGM_RSRC2:SCRATCH_EN: 0
; COMPUTE_PGM_RSRC2:USER_SGPR: 2
; COMPUTE_PGM_RSRC2:TRAP_HANDLER: 0
; COMPUTE_PGM_RSRC2:TGID_X_EN: 1
; COMPUTE_PGM_RSRC2:TGID_Y_EN: 0
; COMPUTE_PGM_RSRC2:TGID_Z_EN: 0
; COMPUTE_PGM_RSRC2:TIDIG_COMP_CNT: 0
; COMPUTE_PGM_RSRC3_GFX90A:ACCUM_OFFSET: 14
; COMPUTE_PGM_RSRC3_GFX90A:TG_SPLIT: 0
	.section	.text._ZN9rocsparseL19gebsrmvn_4xn_kernelILj128ELj8ELj32EfEEvi20rocsparse_direction_NS_24const_host_device_scalarIT2_EEPKiS6_PKS3_S8_S4_PS3_21rocsparse_index_base_b,"axG",@progbits,_ZN9rocsparseL19gebsrmvn_4xn_kernelILj128ELj8ELj32EfEEvi20rocsparse_direction_NS_24const_host_device_scalarIT2_EEPKiS6_PKS3_S8_S4_PS3_21rocsparse_index_base_b,comdat
	.globl	_ZN9rocsparseL19gebsrmvn_4xn_kernelILj128ELj8ELj32EfEEvi20rocsparse_direction_NS_24const_host_device_scalarIT2_EEPKiS6_PKS3_S8_S4_PS3_21rocsparse_index_base_b ; -- Begin function _ZN9rocsparseL19gebsrmvn_4xn_kernelILj128ELj8ELj32EfEEvi20rocsparse_direction_NS_24const_host_device_scalarIT2_EEPKiS6_PKS3_S8_S4_PS3_21rocsparse_index_base_b
	.p2align	8
	.type	_ZN9rocsparseL19gebsrmvn_4xn_kernelILj128ELj8ELj32EfEEvi20rocsparse_direction_NS_24const_host_device_scalarIT2_EEPKiS6_PKS3_S8_S4_PS3_21rocsparse_index_base_b,@function
_ZN9rocsparseL19gebsrmvn_4xn_kernelILj128ELj8ELj32EfEEvi20rocsparse_direction_NS_24const_host_device_scalarIT2_EEPKiS6_PKS3_S8_S4_PS3_21rocsparse_index_base_b: ; @_ZN9rocsparseL19gebsrmvn_4xn_kernelILj128ELj8ELj32EfEEvi20rocsparse_direction_NS_24const_host_device_scalarIT2_EEPKiS6_PKS3_S8_S4_PS3_21rocsparse_index_base_b
; %bb.0:
	s_load_dwordx2 s[16:17], s[0:1], 0x40
	s_load_dwordx2 s[14:15], s[0:1], 0x8
	;; [unrolled: 1-line block ×3, first 2 shown]
	s_waitcnt lgkmcnt(0)
	s_bitcmp1_b32 s17, 0
	s_cselect_b64 s[6:7], -1, 0
	s_xor_b64 s[4:5], s[6:7], -1
	s_and_b64 vcc, exec, s[6:7]
	s_cbranch_vccnz .LBB33_2
; %bb.1:
	s_load_dword s14, s[14:15], 0x0
.LBB33_2:
	s_andn2_b64 vcc, exec, s[4:5]
	s_cbranch_vccnz .LBB33_4
; %bb.3:
	s_load_dword s12, s[12:13], 0x0
.LBB33_4:
	s_waitcnt lgkmcnt(0)
	v_cmp_eq_f32_e64 s[4:5], s14, 0
	v_cmp_eq_f32_e64 s[6:7], s12, 1.0
	s_and_b64 s[4:5], s[4:5], s[6:7]
	s_and_b64 vcc, exec, s[4:5]
	s_cbranch_vccnz .LBB33_22
; %bb.5:
	s_load_dwordx2 s[18:19], s[0:1], 0x0
	v_lshrrev_b32_e32 v1, 5, v0
	v_lshl_or_b32 v2, s2, 2, v1
	s_waitcnt lgkmcnt(0)
	v_cmp_gt_i32_e32 vcc, s18, v2
	s_and_saveexec_b64 s[2:3], vcc
	s_cbranch_execz .LBB33_22
; %bb.6:
	s_load_dwordx8 s[4:11], s[0:1], 0x10
	v_ashrrev_i32_e32 v3, 31, v2
	s_cmp_lg_u32 s19, 0
	s_waitcnt lgkmcnt(0)
	v_lshl_add_u64 v[4:5], v[2:3], 2, s[4:5]
	global_load_dwordx2 v[4:5], v[4:5], off
	v_and_b32_e32 v3, 31, v0
	s_waitcnt vmcnt(0)
	v_subrev_u32_e32 v0, s16, v4
	v_subrev_u32_e32 v12, s16, v5
	v_add_u32_e32 v4, v0, v3
	v_cmp_lt_i32_e64 s[2:3], v4, v12
	s_cbranch_scc0 .LBB33_12
; %bb.7:
	v_mov_b32_e32 v1, 0
	v_mov_b32_e32 v0, v1
	v_mov_b32_e32 v7, v1
	v_mov_b32_e32 v6, v1
	s_and_saveexec_b64 s[4:5], s[2:3]
	s_cbranch_execz .LBB33_11
; %bb.8:
	v_mov_b32_e32 v9, 0
	v_lshlrev_b32_e32 v8, 5, v4
	s_mov_b64 s[18:19], 0
	v_mov_b32_e32 v10, v4
	v_mov_b32_e32 v0, v9
	;; [unrolled: 1-line block ×5, first 2 shown]
.LBB33_9:                               ; =>This Inner Loop Header: Depth=1
	v_ashrrev_i32_e32 v11, 31, v10
	v_lshl_add_u64 v[14:15], v[10:11], 2, s[6:7]
	global_load_dword v5, v[14:15], off
	v_lshl_add_u64 v[54:55], v[8:9], 2, s[8:9]
	global_load_dwordx4 v[14:17], v[54:55], off offset:48
	global_load_dwordx4 v[18:21], v[54:55], off offset:32
	;; [unrolled: 1-line block ×3, first 2 shown]
	global_load_dwordx4 v[26:29], v[54:55], off
	v_mov_b32_e32 v31, v9
	v_add_u32_e32 v10, 32, v10
	v_cmp_ge_i32_e32 vcc, v10, v12
	v_add_u32_e32 v8, 0x400, v8
	s_or_b64 s[18:19], vcc, s[18:19]
	s_waitcnt vmcnt(4)
	v_subrev_u32_e32 v5, s16, v5
	v_lshlrev_b32_e32 v30, 3, v5
	v_lshl_add_u64 v[56:57], v[30:31], 2, s[10:11]
	global_load_dwordx4 v[30:33], v[56:57], off
	global_load_dwordx4 v[34:37], v[56:57], off offset:16
	global_load_dwordx4 v[38:41], v[54:55], off offset:64
	;; [unrolled: 1-line block ×5, first 2 shown]
	s_waitcnt vmcnt(5)
	v_pk_fma_f32 v[6:7], v[26:27], v[30:31], v[6:7] op_sel_hi:[1,0,1]
	v_pk_fma_f32 v[0:1], v[28:29], v[30:31], v[0:1] op_sel_hi:[1,0,1]
	v_pk_fma_f32 v[6:7], v[22:23], v[30:31], v[6:7] op_sel:[0,1,0]
	v_pk_fma_f32 v[0:1], v[24:25], v[30:31], v[0:1] op_sel:[0,1,0]
	v_mov_b32_e32 v26, v33
	v_pk_fma_f32 v[6:7], v[18:19], v[32:33], v[6:7] op_sel_hi:[1,0,1]
	v_pk_fma_f32 v[0:1], v[20:21], v[32:33], v[0:1] op_sel_hi:[1,0,1]
	;; [unrolled: 1-line block ×4, first 2 shown]
	s_waitcnt vmcnt(3)
	v_pk_fma_f32 v[6:7], v[38:39], v[34:35], v[6:7] op_sel_hi:[1,0,1]
	v_pk_fma_f32 v[0:1], v[40:41], v[34:35], v[0:1] op_sel_hi:[1,0,1]
	s_waitcnt vmcnt(2)
	v_pk_fma_f32 v[6:7], v[42:43], v[34:35], v[6:7] op_sel:[0,1,0]
	v_pk_fma_f32 v[0:1], v[44:45], v[34:35], v[0:1] op_sel:[0,1,0]
	v_mov_b32_e32 v28, v37
	s_waitcnt vmcnt(1)
	v_pk_fma_f32 v[6:7], v[46:47], v[36:37], v[6:7] op_sel_hi:[1,0,1]
	v_pk_fma_f32 v[0:1], v[48:49], v[36:37], v[0:1] op_sel_hi:[1,0,1]
	s_waitcnt vmcnt(0)
	v_pk_fma_f32 v[6:7], v[50:51], v[28:29], v[6:7] op_sel_hi:[1,0,1]
	v_pk_fma_f32 v[0:1], v[52:53], v[28:29], v[0:1] op_sel_hi:[1,0,1]
	s_andn2_b64 exec, exec, s[18:19]
	s_cbranch_execnz .LBB33_9
; %bb.10:
	s_or_b64 exec, exec, s[18:19]
.LBB33_11:
	s_or_b64 exec, exec, s[4:5]
	s_cbranch_execz .LBB33_13
	s_branch .LBB33_18
.LBB33_12:
                                        ; implicit-def: $vgpr1
                                        ; implicit-def: $vgpr7
.LBB33_13:
	v_mov_b32_e32 v1, 0
	v_mov_b32_e32 v0, v1
	;; [unrolled: 1-line block ×4, first 2 shown]
	s_and_saveexec_b64 s[4:5], s[2:3]
	s_cbranch_execz .LBB33_17
; %bb.14:
	v_mov_b32_e32 v9, 0
	v_lshlrev_b32_e32 v8, 5, v4
	s_mov_b64 s[2:3], 0
	v_mov_b32_e32 v0, v9
	v_mov_b32_e32 v1, v9
	v_mov_b32_e32 v6, v9
	v_mov_b32_e32 v7, v9
.LBB33_15:                              ; =>This Inner Loop Header: Depth=1
	v_ashrrev_i32_e32 v5, 31, v4
	v_lshl_add_u64 v[10:11], v[4:5], 2, s[6:7]
	global_load_dword v5, v[10:11], off
	v_lshl_add_u64 v[10:11], v[8:9], 2, s[8:9]
	v_mov_b32_e32 v31, v9
	global_load_dwordx4 v[38:41], v[10:11], off
	global_load_dwordx4 v[14:17], v[10:11], off offset:32
	global_load_dwordx4 v[50:53], v[10:11], off offset:16
	;; [unrolled: 1-line block ×7, first 2 shown]
	v_add_u32_e32 v4, 32, v4
	v_cmp_ge_i32_e32 vcc, v4, v12
	v_add_u32_e32 v8, 0x400, v8
	s_or_b64 s[2:3], vcc, s[2:3]
	s_waitcnt vmcnt(5)
	v_mov_b32_e32 v48, v52
	s_waitcnt vmcnt(4)
	v_mov_b32_e32 v49, v20
	v_subrev_u32_e32 v5, s16, v5
	v_lshlrev_b32_e32 v30, 3, v5
	v_lshl_add_u64 v[10:11], v[30:31], 2, s[10:11]
	global_load_dwordx4 v[30:33], v[10:11], off
	global_load_dwordx4 v[34:37], v[10:11], off offset:16
	v_mov_b32_e32 v10, v38
	v_mov_b32_e32 v11, v14
	s_waitcnt vmcnt(5)
	v_mov_b32_e32 v42, v44
	s_waitcnt vmcnt(4)
	v_mov_b32_e32 v43, v22
	v_mov_b32_e32 v14, v39
	;; [unrolled: 1-line block ×11, first 2 shown]
	s_waitcnt vmcnt(3)
	v_mov_b32_e32 v46, v54
	s_waitcnt vmcnt(2)
	v_mov_b32_e32 v47, v26
	v_mov_b32_e32 v18, v51
	;; [unrolled: 1-line block ×7, first 2 shown]
	s_waitcnt vmcnt(1)
	v_pk_fma_f32 v[6:7], v[10:11], v[30:31], v[6:7] op_sel_hi:[1,0,1]
	v_pk_fma_f32 v[0:1], v[42:43], v[30:31], v[0:1] op_sel_hi:[1,0,1]
	v_pk_fma_f32 v[6:7], v[14:15], v[30:31], v[6:7] op_sel:[0,1,0]
	v_pk_fma_f32 v[0:1], v[22:23], v[30:31], v[0:1] op_sel:[0,1,0]
	v_mov_b32_e32 v10, v33
	v_pk_fma_f32 v[6:7], v[38:39], v[32:33], v[6:7] op_sel_hi:[1,0,1]
	v_pk_fma_f32 v[0:1], v[44:45], v[32:33], v[0:1] op_sel_hi:[1,0,1]
	;; [unrolled: 1-line block ×4, first 2 shown]
	s_waitcnt vmcnt(0)
	v_pk_fma_f32 v[6:7], v[40:41], v[34:35], v[6:7] op_sel_hi:[1,0,1]
	v_pk_fma_f32 v[0:1], v[46:47], v[34:35], v[0:1] op_sel_hi:[1,0,1]
	v_pk_fma_f32 v[6:7], v[18:19], v[34:35], v[6:7] op_sel:[0,1,0]
	v_pk_fma_f32 v[0:1], v[26:27], v[34:35], v[0:1] op_sel:[0,1,0]
	v_mov_b32_e32 v42, v37
	v_pk_fma_f32 v[6:7], v[48:49], v[36:37], v[6:7] op_sel_hi:[1,0,1]
	v_pk_fma_f32 v[0:1], v[50:51], v[36:37], v[0:1] op_sel_hi:[1,0,1]
	;; [unrolled: 1-line block ×4, first 2 shown]
	s_andn2_b64 exec, exec, s[2:3]
	s_cbranch_execnz .LBB33_15
; %bb.16:
	s_or_b64 exec, exec, s[2:3]
.LBB33_17:
	s_or_b64 exec, exec, s[4:5]
.LBB33_18:
	v_mov_b32_dpp v4, v6 row_shr:1 row_mask:0xf bank_mask:0xf
	v_mov_b32_dpp v5, v7 row_shr:1 row_mask:0xf bank_mask:0xf
	;; [unrolled: 1-line block ×4, first 2 shown]
	v_pk_add_f32 v[4:5], v[6:7], v[4:5]
	v_pk_add_f32 v[0:1], v[0:1], v[8:9]
	v_cmp_eq_u32_e32 vcc, 31, v3
	v_mov_b32_dpp v6, v4 row_shr:2 row_mask:0xf bank_mask:0xf
	v_mov_b32_dpp v7, v5 row_shr:2 row_mask:0xf bank_mask:0xf
	v_mov_b32_dpp v8, v0 row_shr:2 row_mask:0xf bank_mask:0xf
	v_mov_b32_dpp v9, v1 row_shr:2 row_mask:0xf bank_mask:0xf
	v_pk_add_f32 v[4:5], v[4:5], v[6:7]
	v_pk_add_f32 v[0:1], v[0:1], v[8:9]
	s_nop 0
	v_mov_b32_dpp v6, v4 row_shr:4 row_mask:0xf bank_mask:0xe
	v_mov_b32_dpp v7, v5 row_shr:4 row_mask:0xf bank_mask:0xe
	v_mov_b32_dpp v8, v0 row_shr:4 row_mask:0xf bank_mask:0xe
	v_mov_b32_dpp v9, v1 row_shr:4 row_mask:0xf bank_mask:0xe
	v_pk_add_f32 v[4:5], v[4:5], v[6:7]
	v_pk_add_f32 v[0:1], v[0:1], v[8:9]
	s_nop 0
	v_mov_b32_dpp v6, v4 row_shr:8 row_mask:0xf bank_mask:0xc
	v_mov_b32_dpp v7, v5 row_shr:8 row_mask:0xf bank_mask:0xc
	v_mov_b32_dpp v8, v0 row_shr:8 row_mask:0xf bank_mask:0xc
	v_mov_b32_dpp v9, v1 row_shr:8 row_mask:0xf bank_mask:0xc
	v_pk_add_f32 v[4:5], v[4:5], v[6:7]
	v_pk_add_f32 v[0:1], v[0:1], v[8:9]
	s_nop 0
	v_mov_b32_dpp v6, v4 row_bcast:15 row_mask:0xa bank_mask:0xf
	v_mov_b32_dpp v7, v5 row_bcast:15 row_mask:0xa bank_mask:0xf
	;; [unrolled: 1-line block ×4, first 2 shown]
	s_and_b64 exec, exec, vcc
	s_cbranch_execz .LBB33_22
; %bb.19:
	s_load_dwordx2 s[0:1], s[0:1], 0x38
	v_cmp_eq_f32_e64 s[2:3], s12, 0
	v_pk_add_f32 v[4:5], v[4:5], v[6:7]
	v_pk_add_f32 v[0:1], v[0:1], v[8:9]
	s_and_b64 vcc, exec, s[2:3]
	v_lshlrev_b32_e32 v2, 2, v2
	s_cbranch_vccz .LBB33_23
; %bb.20:
	v_ashrrev_i32_e32 v3, 31, v2
	s_waitcnt lgkmcnt(0)
	v_lshl_add_u64 v[10:11], v[2:3], 2, s[0:1]
	v_pk_mul_f32 v[6:7], s[14:15], v[4:5] op_sel_hi:[0,1]
	v_pk_mul_f32 v[8:9], s[14:15], v[0:1] op_sel_hi:[0,1]
	global_store_dwordx4 v[10:11], v[6:9], off
	s_cbranch_execnz .LBB33_22
.LBB33_21:
	v_ashrrev_i32_e32 v3, 31, v2
	s_waitcnt lgkmcnt(0)
	v_lshl_add_u64 v[10:11], v[2:3], 2, s[0:1]
	global_load_dwordx4 v[6:9], v[10:11], off
	v_pk_mul_f32 v[2:3], s[14:15], v[4:5] op_sel_hi:[0,1]
	v_pk_mul_f32 v[4:5], s[14:15], v[0:1] op_sel_hi:[0,1]
	s_waitcnt vmcnt(0)
	v_pk_fma_f32 v[0:1], s[12:13], v[6:7], v[2:3] op_sel_hi:[0,1,1]
	v_pk_fma_f32 v[2:3], s[12:13], v[8:9], v[4:5] op_sel_hi:[0,1,1]
	global_store_dwordx4 v[10:11], v[0:3], off
.LBB33_22:
	s_endpgm
.LBB33_23:
	s_branch .LBB33_21
	.section	.rodata,"a",@progbits
	.p2align	6, 0x0
	.amdhsa_kernel _ZN9rocsparseL19gebsrmvn_4xn_kernelILj128ELj8ELj32EfEEvi20rocsparse_direction_NS_24const_host_device_scalarIT2_EEPKiS6_PKS3_S8_S4_PS3_21rocsparse_index_base_b
		.amdhsa_group_segment_fixed_size 0
		.amdhsa_private_segment_fixed_size 0
		.amdhsa_kernarg_size 72
		.amdhsa_user_sgpr_count 2
		.amdhsa_user_sgpr_dispatch_ptr 0
		.amdhsa_user_sgpr_queue_ptr 0
		.amdhsa_user_sgpr_kernarg_segment_ptr 1
		.amdhsa_user_sgpr_dispatch_id 0
		.amdhsa_user_sgpr_kernarg_preload_length 0
		.amdhsa_user_sgpr_kernarg_preload_offset 0
		.amdhsa_user_sgpr_private_segment_size 0
		.amdhsa_uses_dynamic_stack 0
		.amdhsa_enable_private_segment 0
		.amdhsa_system_sgpr_workgroup_id_x 1
		.amdhsa_system_sgpr_workgroup_id_y 0
		.amdhsa_system_sgpr_workgroup_id_z 0
		.amdhsa_system_sgpr_workgroup_info 0
		.amdhsa_system_vgpr_workitem_id 0
		.amdhsa_next_free_vgpr 58
		.amdhsa_next_free_sgpr 20
		.amdhsa_accum_offset 60
		.amdhsa_reserve_vcc 1
		.amdhsa_float_round_mode_32 0
		.amdhsa_float_round_mode_16_64 0
		.amdhsa_float_denorm_mode_32 3
		.amdhsa_float_denorm_mode_16_64 3
		.amdhsa_dx10_clamp 1
		.amdhsa_ieee_mode 1
		.amdhsa_fp16_overflow 0
		.amdhsa_tg_split 0
		.amdhsa_exception_fp_ieee_invalid_op 0
		.amdhsa_exception_fp_denorm_src 0
		.amdhsa_exception_fp_ieee_div_zero 0
		.amdhsa_exception_fp_ieee_overflow 0
		.amdhsa_exception_fp_ieee_underflow 0
		.amdhsa_exception_fp_ieee_inexact 0
		.amdhsa_exception_int_div_zero 0
	.end_amdhsa_kernel
	.section	.text._ZN9rocsparseL19gebsrmvn_4xn_kernelILj128ELj8ELj32EfEEvi20rocsparse_direction_NS_24const_host_device_scalarIT2_EEPKiS6_PKS3_S8_S4_PS3_21rocsparse_index_base_b,"axG",@progbits,_ZN9rocsparseL19gebsrmvn_4xn_kernelILj128ELj8ELj32EfEEvi20rocsparse_direction_NS_24const_host_device_scalarIT2_EEPKiS6_PKS3_S8_S4_PS3_21rocsparse_index_base_b,comdat
.Lfunc_end33:
	.size	_ZN9rocsparseL19gebsrmvn_4xn_kernelILj128ELj8ELj32EfEEvi20rocsparse_direction_NS_24const_host_device_scalarIT2_EEPKiS6_PKS3_S8_S4_PS3_21rocsparse_index_base_b, .Lfunc_end33-_ZN9rocsparseL19gebsrmvn_4xn_kernelILj128ELj8ELj32EfEEvi20rocsparse_direction_NS_24const_host_device_scalarIT2_EEPKiS6_PKS3_S8_S4_PS3_21rocsparse_index_base_b
                                        ; -- End function
	.set _ZN9rocsparseL19gebsrmvn_4xn_kernelILj128ELj8ELj32EfEEvi20rocsparse_direction_NS_24const_host_device_scalarIT2_EEPKiS6_PKS3_S8_S4_PS3_21rocsparse_index_base_b.num_vgpr, 58
	.set _ZN9rocsparseL19gebsrmvn_4xn_kernelILj128ELj8ELj32EfEEvi20rocsparse_direction_NS_24const_host_device_scalarIT2_EEPKiS6_PKS3_S8_S4_PS3_21rocsparse_index_base_b.num_agpr, 0
	.set _ZN9rocsparseL19gebsrmvn_4xn_kernelILj128ELj8ELj32EfEEvi20rocsparse_direction_NS_24const_host_device_scalarIT2_EEPKiS6_PKS3_S8_S4_PS3_21rocsparse_index_base_b.numbered_sgpr, 20
	.set _ZN9rocsparseL19gebsrmvn_4xn_kernelILj128ELj8ELj32EfEEvi20rocsparse_direction_NS_24const_host_device_scalarIT2_EEPKiS6_PKS3_S8_S4_PS3_21rocsparse_index_base_b.num_named_barrier, 0
	.set _ZN9rocsparseL19gebsrmvn_4xn_kernelILj128ELj8ELj32EfEEvi20rocsparse_direction_NS_24const_host_device_scalarIT2_EEPKiS6_PKS3_S8_S4_PS3_21rocsparse_index_base_b.private_seg_size, 0
	.set _ZN9rocsparseL19gebsrmvn_4xn_kernelILj128ELj8ELj32EfEEvi20rocsparse_direction_NS_24const_host_device_scalarIT2_EEPKiS6_PKS3_S8_S4_PS3_21rocsparse_index_base_b.uses_vcc, 1
	.set _ZN9rocsparseL19gebsrmvn_4xn_kernelILj128ELj8ELj32EfEEvi20rocsparse_direction_NS_24const_host_device_scalarIT2_EEPKiS6_PKS3_S8_S4_PS3_21rocsparse_index_base_b.uses_flat_scratch, 0
	.set _ZN9rocsparseL19gebsrmvn_4xn_kernelILj128ELj8ELj32EfEEvi20rocsparse_direction_NS_24const_host_device_scalarIT2_EEPKiS6_PKS3_S8_S4_PS3_21rocsparse_index_base_b.has_dyn_sized_stack, 0
	.set _ZN9rocsparseL19gebsrmvn_4xn_kernelILj128ELj8ELj32EfEEvi20rocsparse_direction_NS_24const_host_device_scalarIT2_EEPKiS6_PKS3_S8_S4_PS3_21rocsparse_index_base_b.has_recursion, 0
	.set _ZN9rocsparseL19gebsrmvn_4xn_kernelILj128ELj8ELj32EfEEvi20rocsparse_direction_NS_24const_host_device_scalarIT2_EEPKiS6_PKS3_S8_S4_PS3_21rocsparse_index_base_b.has_indirect_call, 0
	.section	.AMDGPU.csdata,"",@progbits
; Kernel info:
; codeLenInByte = 1488
; TotalNumSgprs: 26
; NumVgprs: 58
; NumAgprs: 0
; TotalNumVgprs: 58
; ScratchSize: 0
; MemoryBound: 0
; FloatMode: 240
; IeeeMode: 1
; LDSByteSize: 0 bytes/workgroup (compile time only)
; SGPRBlocks: 3
; VGPRBlocks: 7
; NumSGPRsForWavesPerEU: 26
; NumVGPRsForWavesPerEU: 58
; AccumOffset: 60
; Occupancy: 8
; WaveLimiterHint : 1
; COMPUTE_PGM_RSRC2:SCRATCH_EN: 0
; COMPUTE_PGM_RSRC2:USER_SGPR: 2
; COMPUTE_PGM_RSRC2:TRAP_HANDLER: 0
; COMPUTE_PGM_RSRC2:TGID_X_EN: 1
; COMPUTE_PGM_RSRC2:TGID_Y_EN: 0
; COMPUTE_PGM_RSRC2:TGID_Z_EN: 0
; COMPUTE_PGM_RSRC2:TIDIG_COMP_CNT: 0
; COMPUTE_PGM_RSRC3_GFX90A:ACCUM_OFFSET: 14
; COMPUTE_PGM_RSRC3_GFX90A:TG_SPLIT: 0
	.section	.text._ZN9rocsparseL19gebsrmvn_4xn_kernelILj128ELj8ELj64EfEEvi20rocsparse_direction_NS_24const_host_device_scalarIT2_EEPKiS6_PKS3_S8_S4_PS3_21rocsparse_index_base_b,"axG",@progbits,_ZN9rocsparseL19gebsrmvn_4xn_kernelILj128ELj8ELj64EfEEvi20rocsparse_direction_NS_24const_host_device_scalarIT2_EEPKiS6_PKS3_S8_S4_PS3_21rocsparse_index_base_b,comdat
	.globl	_ZN9rocsparseL19gebsrmvn_4xn_kernelILj128ELj8ELj64EfEEvi20rocsparse_direction_NS_24const_host_device_scalarIT2_EEPKiS6_PKS3_S8_S4_PS3_21rocsparse_index_base_b ; -- Begin function _ZN9rocsparseL19gebsrmvn_4xn_kernelILj128ELj8ELj64EfEEvi20rocsparse_direction_NS_24const_host_device_scalarIT2_EEPKiS6_PKS3_S8_S4_PS3_21rocsparse_index_base_b
	.p2align	8
	.type	_ZN9rocsparseL19gebsrmvn_4xn_kernelILj128ELj8ELj64EfEEvi20rocsparse_direction_NS_24const_host_device_scalarIT2_EEPKiS6_PKS3_S8_S4_PS3_21rocsparse_index_base_b,@function
_ZN9rocsparseL19gebsrmvn_4xn_kernelILj128ELj8ELj64EfEEvi20rocsparse_direction_NS_24const_host_device_scalarIT2_EEPKiS6_PKS3_S8_S4_PS3_21rocsparse_index_base_b: ; @_ZN9rocsparseL19gebsrmvn_4xn_kernelILj128ELj8ELj64EfEEvi20rocsparse_direction_NS_24const_host_device_scalarIT2_EEPKiS6_PKS3_S8_S4_PS3_21rocsparse_index_base_b
; %bb.0:
	s_load_dwordx2 s[16:17], s[0:1], 0x40
	s_load_dwordx2 s[14:15], s[0:1], 0x8
	;; [unrolled: 1-line block ×3, first 2 shown]
	s_waitcnt lgkmcnt(0)
	s_bitcmp1_b32 s17, 0
	s_cselect_b64 s[6:7], -1, 0
	s_xor_b64 s[4:5], s[6:7], -1
	s_and_b64 vcc, exec, s[6:7]
	s_cbranch_vccnz .LBB34_2
; %bb.1:
	s_load_dword s14, s[14:15], 0x0
.LBB34_2:
	s_andn2_b64 vcc, exec, s[4:5]
	s_cbranch_vccnz .LBB34_4
; %bb.3:
	s_load_dword s12, s[12:13], 0x0
.LBB34_4:
	s_waitcnt lgkmcnt(0)
	v_cmp_eq_f32_e64 s[4:5], s14, 0
	v_cmp_eq_f32_e64 s[6:7], s12, 1.0
	s_and_b64 s[4:5], s[4:5], s[6:7]
	s_and_b64 vcc, exec, s[4:5]
	s_cbranch_vccnz .LBB34_22
; %bb.5:
	s_load_dwordx2 s[18:19], s[0:1], 0x0
	v_lshrrev_b32_e32 v1, 6, v0
	v_lshl_or_b32 v2, s2, 1, v1
	s_waitcnt lgkmcnt(0)
	v_cmp_gt_i32_e32 vcc, s18, v2
	s_and_saveexec_b64 s[2:3], vcc
	s_cbranch_execz .LBB34_22
; %bb.6:
	s_load_dwordx8 s[4:11], s[0:1], 0x10
	v_ashrrev_i32_e32 v3, 31, v2
	s_cmp_lg_u32 s19, 0
	s_waitcnt lgkmcnt(0)
	v_lshl_add_u64 v[4:5], v[2:3], 2, s[4:5]
	global_load_dwordx2 v[4:5], v[4:5], off
	v_and_b32_e32 v3, 63, v0
	s_waitcnt vmcnt(0)
	v_subrev_u32_e32 v0, s16, v4
	v_subrev_u32_e32 v12, s16, v5
	v_add_u32_e32 v4, v0, v3
	v_cmp_lt_i32_e64 s[2:3], v4, v12
	s_cbranch_scc0 .LBB34_12
; %bb.7:
	v_mov_b32_e32 v1, 0
	v_mov_b32_e32 v0, v1
	;; [unrolled: 1-line block ×4, first 2 shown]
	s_and_saveexec_b64 s[4:5], s[2:3]
	s_cbranch_execz .LBB34_11
; %bb.8:
	v_mov_b32_e32 v9, 0
	v_lshlrev_b32_e32 v8, 5, v4
	s_mov_b64 s[18:19], 0
	v_mov_b32_e32 v10, v4
	v_mov_b32_e32 v0, v9
	;; [unrolled: 1-line block ×5, first 2 shown]
.LBB34_9:                               ; =>This Inner Loop Header: Depth=1
	v_ashrrev_i32_e32 v11, 31, v10
	v_lshl_add_u64 v[14:15], v[10:11], 2, s[6:7]
	global_load_dword v5, v[14:15], off
	v_lshl_add_u64 v[54:55], v[8:9], 2, s[8:9]
	global_load_dwordx4 v[14:17], v[54:55], off offset:48
	global_load_dwordx4 v[18:21], v[54:55], off offset:32
	;; [unrolled: 1-line block ×3, first 2 shown]
	global_load_dwordx4 v[26:29], v[54:55], off
	v_mov_b32_e32 v31, v9
	v_add_u32_e32 v10, 64, v10
	v_cmp_ge_i32_e32 vcc, v10, v12
	v_add_u32_e32 v8, 0x800, v8
	s_or_b64 s[18:19], vcc, s[18:19]
	s_waitcnt vmcnt(4)
	v_subrev_u32_e32 v5, s16, v5
	v_lshlrev_b32_e32 v30, 3, v5
	v_lshl_add_u64 v[56:57], v[30:31], 2, s[10:11]
	global_load_dwordx4 v[30:33], v[56:57], off
	global_load_dwordx4 v[34:37], v[56:57], off offset:16
	global_load_dwordx4 v[38:41], v[54:55], off offset:64
	;; [unrolled: 1-line block ×5, first 2 shown]
	s_waitcnt vmcnt(5)
	v_pk_fma_f32 v[6:7], v[26:27], v[30:31], v[6:7] op_sel_hi:[1,0,1]
	v_pk_fma_f32 v[0:1], v[28:29], v[30:31], v[0:1] op_sel_hi:[1,0,1]
	v_pk_fma_f32 v[6:7], v[22:23], v[30:31], v[6:7] op_sel:[0,1,0]
	v_pk_fma_f32 v[0:1], v[24:25], v[30:31], v[0:1] op_sel:[0,1,0]
	v_mov_b32_e32 v26, v33
	v_pk_fma_f32 v[6:7], v[18:19], v[32:33], v[6:7] op_sel_hi:[1,0,1]
	v_pk_fma_f32 v[0:1], v[20:21], v[32:33], v[0:1] op_sel_hi:[1,0,1]
	;; [unrolled: 1-line block ×4, first 2 shown]
	s_waitcnt vmcnt(3)
	v_pk_fma_f32 v[6:7], v[38:39], v[34:35], v[6:7] op_sel_hi:[1,0,1]
	v_pk_fma_f32 v[0:1], v[40:41], v[34:35], v[0:1] op_sel_hi:[1,0,1]
	s_waitcnt vmcnt(2)
	v_pk_fma_f32 v[6:7], v[42:43], v[34:35], v[6:7] op_sel:[0,1,0]
	v_pk_fma_f32 v[0:1], v[44:45], v[34:35], v[0:1] op_sel:[0,1,0]
	v_mov_b32_e32 v28, v37
	s_waitcnt vmcnt(1)
	v_pk_fma_f32 v[6:7], v[46:47], v[36:37], v[6:7] op_sel_hi:[1,0,1]
	v_pk_fma_f32 v[0:1], v[48:49], v[36:37], v[0:1] op_sel_hi:[1,0,1]
	s_waitcnt vmcnt(0)
	v_pk_fma_f32 v[6:7], v[50:51], v[28:29], v[6:7] op_sel_hi:[1,0,1]
	v_pk_fma_f32 v[0:1], v[52:53], v[28:29], v[0:1] op_sel_hi:[1,0,1]
	s_andn2_b64 exec, exec, s[18:19]
	s_cbranch_execnz .LBB34_9
; %bb.10:
	s_or_b64 exec, exec, s[18:19]
.LBB34_11:
	s_or_b64 exec, exec, s[4:5]
	s_cbranch_execz .LBB34_13
	s_branch .LBB34_18
.LBB34_12:
                                        ; implicit-def: $vgpr1
                                        ; implicit-def: $vgpr7
.LBB34_13:
	v_mov_b32_e32 v1, 0
	v_mov_b32_e32 v0, v1
	;; [unrolled: 1-line block ×4, first 2 shown]
	s_and_saveexec_b64 s[4:5], s[2:3]
	s_cbranch_execz .LBB34_17
; %bb.14:
	v_mov_b32_e32 v9, 0
	v_lshlrev_b32_e32 v8, 5, v4
	s_mov_b64 s[2:3], 0
	v_mov_b32_e32 v0, v9
	v_mov_b32_e32 v1, v9
	;; [unrolled: 1-line block ×4, first 2 shown]
.LBB34_15:                              ; =>This Inner Loop Header: Depth=1
	v_ashrrev_i32_e32 v5, 31, v4
	v_lshl_add_u64 v[10:11], v[4:5], 2, s[6:7]
	global_load_dword v5, v[10:11], off
	v_lshl_add_u64 v[10:11], v[8:9], 2, s[8:9]
	v_mov_b32_e32 v31, v9
	global_load_dwordx4 v[38:41], v[10:11], off
	global_load_dwordx4 v[14:17], v[10:11], off offset:32
	global_load_dwordx4 v[50:53], v[10:11], off offset:16
	;; [unrolled: 1-line block ×7, first 2 shown]
	v_add_u32_e32 v4, 64, v4
	v_cmp_ge_i32_e32 vcc, v4, v12
	v_add_u32_e32 v8, 0x800, v8
	s_or_b64 s[2:3], vcc, s[2:3]
	s_waitcnt vmcnt(5)
	v_mov_b32_e32 v48, v52
	s_waitcnt vmcnt(4)
	v_mov_b32_e32 v49, v20
	v_subrev_u32_e32 v5, s16, v5
	v_lshlrev_b32_e32 v30, 3, v5
	v_lshl_add_u64 v[10:11], v[30:31], 2, s[10:11]
	global_load_dwordx4 v[30:33], v[10:11], off
	global_load_dwordx4 v[34:37], v[10:11], off offset:16
	v_mov_b32_e32 v10, v38
	v_mov_b32_e32 v11, v14
	s_waitcnt vmcnt(5)
	v_mov_b32_e32 v42, v44
	s_waitcnt vmcnt(4)
	v_mov_b32_e32 v43, v22
	v_mov_b32_e32 v14, v39
	;; [unrolled: 1-line block ×11, first 2 shown]
	s_waitcnt vmcnt(3)
	v_mov_b32_e32 v46, v54
	s_waitcnt vmcnt(2)
	v_mov_b32_e32 v47, v26
	v_mov_b32_e32 v18, v51
	;; [unrolled: 1-line block ×7, first 2 shown]
	s_waitcnt vmcnt(1)
	v_pk_fma_f32 v[6:7], v[10:11], v[30:31], v[6:7] op_sel_hi:[1,0,1]
	v_pk_fma_f32 v[0:1], v[42:43], v[30:31], v[0:1] op_sel_hi:[1,0,1]
	v_pk_fma_f32 v[6:7], v[14:15], v[30:31], v[6:7] op_sel:[0,1,0]
	v_pk_fma_f32 v[0:1], v[22:23], v[30:31], v[0:1] op_sel:[0,1,0]
	v_mov_b32_e32 v10, v33
	v_pk_fma_f32 v[6:7], v[38:39], v[32:33], v[6:7] op_sel_hi:[1,0,1]
	v_pk_fma_f32 v[0:1], v[44:45], v[32:33], v[0:1] op_sel_hi:[1,0,1]
	v_pk_fma_f32 v[6:7], v[16:17], v[10:11], v[6:7] op_sel_hi:[1,0,1]
	v_pk_fma_f32 v[0:1], v[24:25], v[10:11], v[0:1] op_sel_hi:[1,0,1]
	s_waitcnt vmcnt(0)
	v_pk_fma_f32 v[6:7], v[40:41], v[34:35], v[6:7] op_sel_hi:[1,0,1]
	v_pk_fma_f32 v[0:1], v[46:47], v[34:35], v[0:1] op_sel_hi:[1,0,1]
	v_pk_fma_f32 v[6:7], v[18:19], v[34:35], v[6:7] op_sel:[0,1,0]
	v_pk_fma_f32 v[0:1], v[26:27], v[34:35], v[0:1] op_sel:[0,1,0]
	v_mov_b32_e32 v42, v37
	v_pk_fma_f32 v[6:7], v[48:49], v[36:37], v[6:7] op_sel_hi:[1,0,1]
	v_pk_fma_f32 v[0:1], v[50:51], v[36:37], v[0:1] op_sel_hi:[1,0,1]
	;; [unrolled: 1-line block ×4, first 2 shown]
	s_andn2_b64 exec, exec, s[2:3]
	s_cbranch_execnz .LBB34_15
; %bb.16:
	s_or_b64 exec, exec, s[2:3]
.LBB34_17:
	s_or_b64 exec, exec, s[4:5]
.LBB34_18:
	v_mov_b32_dpp v4, v6 row_shr:1 row_mask:0xf bank_mask:0xf
	v_mov_b32_dpp v5, v7 row_shr:1 row_mask:0xf bank_mask:0xf
	;; [unrolled: 1-line block ×4, first 2 shown]
	v_pk_add_f32 v[4:5], v[6:7], v[4:5]
	v_pk_add_f32 v[0:1], v[0:1], v[8:9]
	v_cmp_eq_u32_e32 vcc, 63, v3
	v_mov_b32_dpp v6, v4 row_shr:2 row_mask:0xf bank_mask:0xf
	v_mov_b32_dpp v7, v5 row_shr:2 row_mask:0xf bank_mask:0xf
	v_mov_b32_dpp v8, v0 row_shr:2 row_mask:0xf bank_mask:0xf
	v_mov_b32_dpp v9, v1 row_shr:2 row_mask:0xf bank_mask:0xf
	v_pk_add_f32 v[4:5], v[4:5], v[6:7]
	v_pk_add_f32 v[0:1], v[0:1], v[8:9]
	s_nop 0
	v_mov_b32_dpp v6, v4 row_shr:4 row_mask:0xf bank_mask:0xe
	v_mov_b32_dpp v7, v5 row_shr:4 row_mask:0xf bank_mask:0xe
	v_mov_b32_dpp v8, v0 row_shr:4 row_mask:0xf bank_mask:0xe
	v_mov_b32_dpp v9, v1 row_shr:4 row_mask:0xf bank_mask:0xe
	v_pk_add_f32 v[4:5], v[4:5], v[6:7]
	v_pk_add_f32 v[0:1], v[0:1], v[8:9]
	s_nop 0
	v_mov_b32_dpp v6, v4 row_shr:8 row_mask:0xf bank_mask:0xc
	v_mov_b32_dpp v7, v5 row_shr:8 row_mask:0xf bank_mask:0xc
	v_mov_b32_dpp v8, v0 row_shr:8 row_mask:0xf bank_mask:0xc
	v_mov_b32_dpp v9, v1 row_shr:8 row_mask:0xf bank_mask:0xc
	v_pk_add_f32 v[4:5], v[4:5], v[6:7]
	v_pk_add_f32 v[0:1], v[0:1], v[8:9]
	s_nop 0
	v_mov_b32_dpp v6, v4 row_bcast:15 row_mask:0xa bank_mask:0xf
	v_mov_b32_dpp v7, v5 row_bcast:15 row_mask:0xa bank_mask:0xf
	v_mov_b32_dpp v8, v0 row_bcast:15 row_mask:0xa bank_mask:0xf
	v_mov_b32_dpp v9, v1 row_bcast:15 row_mask:0xa bank_mask:0xf
	v_pk_add_f32 v[4:5], v[4:5], v[6:7]
	v_pk_add_f32 v[0:1], v[0:1], v[8:9]
	s_nop 0
	v_mov_b32_dpp v6, v4 row_bcast:31 row_mask:0xc bank_mask:0xf
	v_mov_b32_dpp v7, v5 row_bcast:31 row_mask:0xc bank_mask:0xf
	v_mov_b32_dpp v8, v0 row_bcast:31 row_mask:0xc bank_mask:0xf
	v_mov_b32_dpp v9, v1 row_bcast:31 row_mask:0xc bank_mask:0xf
	s_and_b64 exec, exec, vcc
	s_cbranch_execz .LBB34_22
; %bb.19:
	s_load_dwordx2 s[0:1], s[0:1], 0x38
	v_cmp_eq_f32_e64 s[2:3], s12, 0
	v_pk_add_f32 v[4:5], v[4:5], v[6:7]
	v_pk_add_f32 v[0:1], v[0:1], v[8:9]
	s_and_b64 vcc, exec, s[2:3]
	v_lshlrev_b32_e32 v2, 2, v2
	s_cbranch_vccz .LBB34_23
; %bb.20:
	v_ashrrev_i32_e32 v3, 31, v2
	s_waitcnt lgkmcnt(0)
	v_lshl_add_u64 v[10:11], v[2:3], 2, s[0:1]
	v_pk_mul_f32 v[6:7], s[14:15], v[4:5] op_sel_hi:[0,1]
	v_pk_mul_f32 v[8:9], s[14:15], v[0:1] op_sel_hi:[0,1]
	global_store_dwordx4 v[10:11], v[6:9], off
	s_cbranch_execnz .LBB34_22
.LBB34_21:
	v_ashrrev_i32_e32 v3, 31, v2
	s_waitcnt lgkmcnt(0)
	v_lshl_add_u64 v[10:11], v[2:3], 2, s[0:1]
	global_load_dwordx4 v[6:9], v[10:11], off
	v_pk_mul_f32 v[2:3], s[14:15], v[4:5] op_sel_hi:[0,1]
	v_pk_mul_f32 v[4:5], s[14:15], v[0:1] op_sel_hi:[0,1]
	s_waitcnt vmcnt(0)
	v_pk_fma_f32 v[0:1], s[12:13], v[6:7], v[2:3] op_sel_hi:[0,1,1]
	v_pk_fma_f32 v[2:3], s[12:13], v[8:9], v[4:5] op_sel_hi:[0,1,1]
	global_store_dwordx4 v[10:11], v[0:3], off
.LBB34_22:
	s_endpgm
.LBB34_23:
	s_branch .LBB34_21
	.section	.rodata,"a",@progbits
	.p2align	6, 0x0
	.amdhsa_kernel _ZN9rocsparseL19gebsrmvn_4xn_kernelILj128ELj8ELj64EfEEvi20rocsparse_direction_NS_24const_host_device_scalarIT2_EEPKiS6_PKS3_S8_S4_PS3_21rocsparse_index_base_b
		.amdhsa_group_segment_fixed_size 0
		.amdhsa_private_segment_fixed_size 0
		.amdhsa_kernarg_size 72
		.amdhsa_user_sgpr_count 2
		.amdhsa_user_sgpr_dispatch_ptr 0
		.amdhsa_user_sgpr_queue_ptr 0
		.amdhsa_user_sgpr_kernarg_segment_ptr 1
		.amdhsa_user_sgpr_dispatch_id 0
		.amdhsa_user_sgpr_kernarg_preload_length 0
		.amdhsa_user_sgpr_kernarg_preload_offset 0
		.amdhsa_user_sgpr_private_segment_size 0
		.amdhsa_uses_dynamic_stack 0
		.amdhsa_enable_private_segment 0
		.amdhsa_system_sgpr_workgroup_id_x 1
		.amdhsa_system_sgpr_workgroup_id_y 0
		.amdhsa_system_sgpr_workgroup_id_z 0
		.amdhsa_system_sgpr_workgroup_info 0
		.amdhsa_system_vgpr_workitem_id 0
		.amdhsa_next_free_vgpr 58
		.amdhsa_next_free_sgpr 20
		.amdhsa_accum_offset 60
		.amdhsa_reserve_vcc 1
		.amdhsa_float_round_mode_32 0
		.amdhsa_float_round_mode_16_64 0
		.amdhsa_float_denorm_mode_32 3
		.amdhsa_float_denorm_mode_16_64 3
		.amdhsa_dx10_clamp 1
		.amdhsa_ieee_mode 1
		.amdhsa_fp16_overflow 0
		.amdhsa_tg_split 0
		.amdhsa_exception_fp_ieee_invalid_op 0
		.amdhsa_exception_fp_denorm_src 0
		.amdhsa_exception_fp_ieee_div_zero 0
		.amdhsa_exception_fp_ieee_overflow 0
		.amdhsa_exception_fp_ieee_underflow 0
		.amdhsa_exception_fp_ieee_inexact 0
		.amdhsa_exception_int_div_zero 0
	.end_amdhsa_kernel
	.section	.text._ZN9rocsparseL19gebsrmvn_4xn_kernelILj128ELj8ELj64EfEEvi20rocsparse_direction_NS_24const_host_device_scalarIT2_EEPKiS6_PKS3_S8_S4_PS3_21rocsparse_index_base_b,"axG",@progbits,_ZN9rocsparseL19gebsrmvn_4xn_kernelILj128ELj8ELj64EfEEvi20rocsparse_direction_NS_24const_host_device_scalarIT2_EEPKiS6_PKS3_S8_S4_PS3_21rocsparse_index_base_b,comdat
.Lfunc_end34:
	.size	_ZN9rocsparseL19gebsrmvn_4xn_kernelILj128ELj8ELj64EfEEvi20rocsparse_direction_NS_24const_host_device_scalarIT2_EEPKiS6_PKS3_S8_S4_PS3_21rocsparse_index_base_b, .Lfunc_end34-_ZN9rocsparseL19gebsrmvn_4xn_kernelILj128ELj8ELj64EfEEvi20rocsparse_direction_NS_24const_host_device_scalarIT2_EEPKiS6_PKS3_S8_S4_PS3_21rocsparse_index_base_b
                                        ; -- End function
	.set _ZN9rocsparseL19gebsrmvn_4xn_kernelILj128ELj8ELj64EfEEvi20rocsparse_direction_NS_24const_host_device_scalarIT2_EEPKiS6_PKS3_S8_S4_PS3_21rocsparse_index_base_b.num_vgpr, 58
	.set _ZN9rocsparseL19gebsrmvn_4xn_kernelILj128ELj8ELj64EfEEvi20rocsparse_direction_NS_24const_host_device_scalarIT2_EEPKiS6_PKS3_S8_S4_PS3_21rocsparse_index_base_b.num_agpr, 0
	.set _ZN9rocsparseL19gebsrmvn_4xn_kernelILj128ELj8ELj64EfEEvi20rocsparse_direction_NS_24const_host_device_scalarIT2_EEPKiS6_PKS3_S8_S4_PS3_21rocsparse_index_base_b.numbered_sgpr, 20
	.set _ZN9rocsparseL19gebsrmvn_4xn_kernelILj128ELj8ELj64EfEEvi20rocsparse_direction_NS_24const_host_device_scalarIT2_EEPKiS6_PKS3_S8_S4_PS3_21rocsparse_index_base_b.num_named_barrier, 0
	.set _ZN9rocsparseL19gebsrmvn_4xn_kernelILj128ELj8ELj64EfEEvi20rocsparse_direction_NS_24const_host_device_scalarIT2_EEPKiS6_PKS3_S8_S4_PS3_21rocsparse_index_base_b.private_seg_size, 0
	.set _ZN9rocsparseL19gebsrmvn_4xn_kernelILj128ELj8ELj64EfEEvi20rocsparse_direction_NS_24const_host_device_scalarIT2_EEPKiS6_PKS3_S8_S4_PS3_21rocsparse_index_base_b.uses_vcc, 1
	.set _ZN9rocsparseL19gebsrmvn_4xn_kernelILj128ELj8ELj64EfEEvi20rocsparse_direction_NS_24const_host_device_scalarIT2_EEPKiS6_PKS3_S8_S4_PS3_21rocsparse_index_base_b.uses_flat_scratch, 0
	.set _ZN9rocsparseL19gebsrmvn_4xn_kernelILj128ELj8ELj64EfEEvi20rocsparse_direction_NS_24const_host_device_scalarIT2_EEPKiS6_PKS3_S8_S4_PS3_21rocsparse_index_base_b.has_dyn_sized_stack, 0
	.set _ZN9rocsparseL19gebsrmvn_4xn_kernelILj128ELj8ELj64EfEEvi20rocsparse_direction_NS_24const_host_device_scalarIT2_EEPKiS6_PKS3_S8_S4_PS3_21rocsparse_index_base_b.has_recursion, 0
	.set _ZN9rocsparseL19gebsrmvn_4xn_kernelILj128ELj8ELj64EfEEvi20rocsparse_direction_NS_24const_host_device_scalarIT2_EEPKiS6_PKS3_S8_S4_PS3_21rocsparse_index_base_b.has_indirect_call, 0
	.section	.AMDGPU.csdata,"",@progbits
; Kernel info:
; codeLenInByte = 1540
; TotalNumSgprs: 26
; NumVgprs: 58
; NumAgprs: 0
; TotalNumVgprs: 58
; ScratchSize: 0
; MemoryBound: 0
; FloatMode: 240
; IeeeMode: 1
; LDSByteSize: 0 bytes/workgroup (compile time only)
; SGPRBlocks: 3
; VGPRBlocks: 7
; NumSGPRsForWavesPerEU: 26
; NumVGPRsForWavesPerEU: 58
; AccumOffset: 60
; Occupancy: 8
; WaveLimiterHint : 1
; COMPUTE_PGM_RSRC2:SCRATCH_EN: 0
; COMPUTE_PGM_RSRC2:USER_SGPR: 2
; COMPUTE_PGM_RSRC2:TRAP_HANDLER: 0
; COMPUTE_PGM_RSRC2:TGID_X_EN: 1
; COMPUTE_PGM_RSRC2:TGID_Y_EN: 0
; COMPUTE_PGM_RSRC2:TGID_Z_EN: 0
; COMPUTE_PGM_RSRC2:TIDIG_COMP_CNT: 0
; COMPUTE_PGM_RSRC3_GFX90A:ACCUM_OFFSET: 14
; COMPUTE_PGM_RSRC3_GFX90A:TG_SPLIT: 0
	.section	.text._ZN9rocsparseL23gebsrmvn_general_kernelILj64ELj16EfEEvi20rocsparse_direction_NS_24const_host_device_scalarIT1_EEPKiS6_PKS3_iiS8_S4_PS3_21rocsparse_index_base_b,"axG",@progbits,_ZN9rocsparseL23gebsrmvn_general_kernelILj64ELj16EfEEvi20rocsparse_direction_NS_24const_host_device_scalarIT1_EEPKiS6_PKS3_iiS8_S4_PS3_21rocsparse_index_base_b,comdat
	.globl	_ZN9rocsparseL23gebsrmvn_general_kernelILj64ELj16EfEEvi20rocsparse_direction_NS_24const_host_device_scalarIT1_EEPKiS6_PKS3_iiS8_S4_PS3_21rocsparse_index_base_b ; -- Begin function _ZN9rocsparseL23gebsrmvn_general_kernelILj64ELj16EfEEvi20rocsparse_direction_NS_24const_host_device_scalarIT1_EEPKiS6_PKS3_iiS8_S4_PS3_21rocsparse_index_base_b
	.p2align	8
	.type	_ZN9rocsparseL23gebsrmvn_general_kernelILj64ELj16EfEEvi20rocsparse_direction_NS_24const_host_device_scalarIT1_EEPKiS6_PKS3_iiS8_S4_PS3_21rocsparse_index_base_b,@function
_ZN9rocsparseL23gebsrmvn_general_kernelILj64ELj16EfEEvi20rocsparse_direction_NS_24const_host_device_scalarIT1_EEPKiS6_PKS3_iiS8_S4_PS3_21rocsparse_index_base_b: ; @_ZN9rocsparseL23gebsrmvn_general_kernelILj64ELj16EfEEvi20rocsparse_direction_NS_24const_host_device_scalarIT1_EEPKiS6_PKS3_iiS8_S4_PS3_21rocsparse_index_base_b
; %bb.0:
	s_load_dwordx2 s[12:13], s[0:1], 0x48
	s_load_dwordx2 s[14:15], s[0:1], 0x8
	;; [unrolled: 1-line block ×3, first 2 shown]
	s_waitcnt lgkmcnt(0)
	s_bitcmp1_b32 s13, 0
	s_cselect_b64 s[6:7], -1, 0
	s_xor_b64 s[4:5], s[6:7], -1
	s_and_b64 vcc, exec, s[6:7]
	s_cbranch_vccnz .LBB35_2
; %bb.1:
	s_load_dword s14, s[14:15], 0x0
.LBB35_2:
	s_andn2_b64 vcc, exec, s[4:5]
	s_cbranch_vccnz .LBB35_4
; %bb.3:
	s_load_dword s16, s[16:17], 0x0
.LBB35_4:
	s_waitcnt lgkmcnt(0)
	v_cmp_eq_f32_e64 s[4:5], s14, 0
	v_cmp_eq_f32_e64 s[6:7], s16, 1.0
	s_and_b64 s[4:5], s[4:5], s[6:7]
	s_and_b64 vcc, exec, s[4:5]
	s_cbranch_vccnz .LBB35_24
; %bb.5:
	s_load_dwordx2 s[18:19], s[0:1], 0x28
	v_lshrrev_b32_e32 v2, 4, v0
	s_waitcnt lgkmcnt(0)
	v_cmp_gt_i32_e32 vcc, s18, v2
	s_and_saveexec_b64 s[4:5], vcc
	s_cbranch_execz .LBB35_24
; %bb.6:
	s_load_dwordx4 s[8:11], s[0:1], 0x10
	s_load_dword s17, s[0:1], 0x4
	s_ashr_i32 s3, s2, 31
	s_lshl_b64 s[4:5], s[2:3], 2
	v_and_b32_e32 v3, 15, v0
	s_waitcnt lgkmcnt(0)
	s_add_u32 s4, s8, s4
	s_addc_u32 s5, s9, s5
	s_load_dwordx2 s[6:7], s[4:5], 0x0
	s_load_dwordx2 s[8:9], s[0:1], 0x20
	;; [unrolled: 1-line block ×4, first 2 shown]
	v_cmp_gt_i32_e64 s[0:1], s19, v3
	s_waitcnt lgkmcnt(0)
	s_sub_i32 s13, s6, s12
	s_sub_i32 s15, s7, s12
	s_cmp_lt_i32 s6, s7
	s_cselect_b64 s[4:5], -1, 0
	s_cmp_lg_u32 s17, 0
	s_mul_i32 s17, s18, s2
	s_mul_i32 s2, s18, s13
	v_add_u32_e32 v0, s2, v2
	v_mul_lo_u32 v4, s19, v0
	v_cndmask_b32_e64 v0, 0, 1, s[4:5]
	s_cselect_b64 s[24:25], -1, 0
	v_cmp_eq_u32_e64 s[6:7], 15, v3
	v_cmp_eq_f32_e64 s[26:27], s16, 0
	s_lshl_b32 s33, s19, 2
	s_mul_i32 s38, s19, s18
	s_mov_b64 s[2:3], 0
	v_cmp_ne_u32_e64 s[4:5], 1, v0
	s_branch .LBB35_8
.LBB35_7:                               ;   in Loop: Header=BB35_8 Depth=1
	s_or_b64 exec, exec, s[28:29]
	v_add_u32_e32 v2, 4, v2
	v_cmp_le_i32_e32 vcc, s18, v2
	s_or_b64 s[2:3], vcc, s[2:3]
	v_add_u32_e32 v4, s33, v4
	s_andn2_b64 exec, exec, s[2:3]
	s_cbranch_execz .LBB35_24
.LBB35_8:                               ; =>This Loop Header: Depth=1
                                        ;     Child Loop BB35_12 Depth 2
                                        ;       Child Loop BB35_15 Depth 3
	s_and_b64 vcc, exec, s[4:5]
	v_mov_b32_e32 v5, 0
	s_cbranch_vccnz .LBB35_19
; %bb.9:                                ;   in Loop: Header=BB35_8 Depth=1
	v_mov_b32_e32 v5, 0
	v_mov_b32_e32 v6, v4
	s_mov_b32 s28, s13
	s_branch .LBB35_12
.LBB35_10:                              ;   in Loop: Header=BB35_12 Depth=2
	s_or_b64 exec, exec, s[34:35]
.LBB35_11:                              ;   in Loop: Header=BB35_12 Depth=2
	s_or_b64 exec, exec, s[30:31]
	s_add_i32 s28, s28, 1
	s_cmp_ge_i32 s28, s15
	v_add_u32_e32 v6, s38, v6
	s_cbranch_scc1 .LBB35_19
.LBB35_12:                              ;   Parent Loop BB35_8 Depth=1
                                        ; =>  This Loop Header: Depth=2
                                        ;       Child Loop BB35_15 Depth 3
	s_and_saveexec_b64 s[30:31], s[0:1]
	s_cbranch_execz .LBB35_11
; %bb.13:                               ;   in Loop: Header=BB35_12 Depth=2
	s_ashr_i32 s29, s28, 31
	s_lshl_b64 s[34:35], s[28:29], 2
	s_add_u32 s34, s10, s34
	s_addc_u32 s35, s11, s35
	s_load_dword s36, s[34:35], 0x0
	s_mul_i32 s29, s28, s19
	s_mov_b64 s[34:35], 0
	v_mov_b32_e32 v7, v3
	s_waitcnt lgkmcnt(0)
	s_sub_i32 s39, s36, s12
	s_mul_i32 s39, s39, s19
	s_branch .LBB35_15
.LBB35_14:                              ;   in Loop: Header=BB35_15 Depth=3
	v_ashrrev_i32_e32 v1, 31, v0
	v_lshl_add_u64 v[0:1], v[0:1], 2, s[8:9]
	global_load_dword v8, v[0:1], off
	v_add_u32_e32 v0, s39, v7
	v_ashrrev_i32_e32 v1, 31, v0
	v_lshl_add_u64 v[0:1], v[0:1], 2, s[20:21]
	global_load_dword v0, v[0:1], off
	v_add_u32_e32 v7, 16, v7
	v_cmp_le_i32_e32 vcc, s19, v7
	s_or_b64 s[34:35], vcc, s[34:35]
	s_waitcnt vmcnt(0)
	v_fmac_f32_e32 v5, v8, v0
	s_andn2_b64 exec, exec, s[34:35]
	s_cbranch_execz .LBB35_10
.LBB35_15:                              ;   Parent Loop BB35_8 Depth=1
                                        ;     Parent Loop BB35_12 Depth=2
                                        ; =>    This Inner Loop Header: Depth=3
	s_and_b64 vcc, exec, s[24:25]
	s_cbranch_vccz .LBB35_17
; %bb.16:                               ;   in Loop: Header=BB35_15 Depth=3
	v_add_u32_e32 v0, s29, v7
	v_mad_u64_u32 v[0:1], s[36:37], v0, s18, v[2:3]
	s_cbranch_execnz .LBB35_14
	s_branch .LBB35_18
.LBB35_17:                              ;   in Loop: Header=BB35_15 Depth=3
                                        ; implicit-def: $vgpr0
.LBB35_18:                              ;   in Loop: Header=BB35_15 Depth=3
	v_add_u32_e32 v0, v6, v7
	s_branch .LBB35_14
.LBB35_19:                              ;   in Loop: Header=BB35_8 Depth=1
	s_nop 0
	v_mov_b32_dpp v0, v5 row_shr:1 row_mask:0xf bank_mask:0xf
	v_add_f32_e32 v0, v5, v0
	s_nop 1
	v_mov_b32_dpp v1, v0 row_shr:2 row_mask:0xf bank_mask:0xf
	v_add_f32_e32 v0, v0, v1
	;; [unrolled: 3-line block ×3, first 2 shown]
	s_nop 1
	v_mov_b32_dpp v1, v0 row_shr:8 row_mask:0xf bank_mask:0xc
	s_and_saveexec_b64 s[28:29], s[6:7]
	s_cbranch_execz .LBB35_7
; %bb.20:                               ;   in Loop: Header=BB35_8 Depth=1
	v_add_f32_e32 v0, v0, v1
	v_mul_f32_e32 v5, s14, v0
	v_add_u32_e32 v0, s17, v2
	s_and_b64 vcc, exec, s[26:27]
	v_ashrrev_i32_e32 v1, 31, v0
	s_cbranch_vccz .LBB35_22
; %bb.21:                               ;   in Loop: Header=BB35_8 Depth=1
	v_lshl_add_u64 v[6:7], v[0:1], 2, s[22:23]
	global_store_dword v[6:7], v5, off
	s_cbranch_execnz .LBB35_7
	s_branch .LBB35_23
.LBB35_22:                              ;   in Loop: Header=BB35_8 Depth=1
.LBB35_23:                              ;   in Loop: Header=BB35_8 Depth=1
	v_lshl_add_u64 v[0:1], v[0:1], 2, s[22:23]
	global_load_dword v6, v[0:1], off
	s_waitcnt vmcnt(0)
	v_fmac_f32_e32 v5, s16, v6
	global_store_dword v[0:1], v5, off
	s_branch .LBB35_7
.LBB35_24:
	s_endpgm
	.section	.rodata,"a",@progbits
	.p2align	6, 0x0
	.amdhsa_kernel _ZN9rocsparseL23gebsrmvn_general_kernelILj64ELj16EfEEvi20rocsparse_direction_NS_24const_host_device_scalarIT1_EEPKiS6_PKS3_iiS8_S4_PS3_21rocsparse_index_base_b
		.amdhsa_group_segment_fixed_size 0
		.amdhsa_private_segment_fixed_size 0
		.amdhsa_kernarg_size 80
		.amdhsa_user_sgpr_count 2
		.amdhsa_user_sgpr_dispatch_ptr 0
		.amdhsa_user_sgpr_queue_ptr 0
		.amdhsa_user_sgpr_kernarg_segment_ptr 1
		.amdhsa_user_sgpr_dispatch_id 0
		.amdhsa_user_sgpr_kernarg_preload_length 0
		.amdhsa_user_sgpr_kernarg_preload_offset 0
		.amdhsa_user_sgpr_private_segment_size 0
		.amdhsa_uses_dynamic_stack 0
		.amdhsa_enable_private_segment 0
		.amdhsa_system_sgpr_workgroup_id_x 1
		.amdhsa_system_sgpr_workgroup_id_y 0
		.amdhsa_system_sgpr_workgroup_id_z 0
		.amdhsa_system_sgpr_workgroup_info 0
		.amdhsa_system_vgpr_workitem_id 0
		.amdhsa_next_free_vgpr 9
		.amdhsa_next_free_sgpr 40
		.amdhsa_accum_offset 12
		.amdhsa_reserve_vcc 1
		.amdhsa_float_round_mode_32 0
		.amdhsa_float_round_mode_16_64 0
		.amdhsa_float_denorm_mode_32 3
		.amdhsa_float_denorm_mode_16_64 3
		.amdhsa_dx10_clamp 1
		.amdhsa_ieee_mode 1
		.amdhsa_fp16_overflow 0
		.amdhsa_tg_split 0
		.amdhsa_exception_fp_ieee_invalid_op 0
		.amdhsa_exception_fp_denorm_src 0
		.amdhsa_exception_fp_ieee_div_zero 0
		.amdhsa_exception_fp_ieee_overflow 0
		.amdhsa_exception_fp_ieee_underflow 0
		.amdhsa_exception_fp_ieee_inexact 0
		.amdhsa_exception_int_div_zero 0
	.end_amdhsa_kernel
	.section	.text._ZN9rocsparseL23gebsrmvn_general_kernelILj64ELj16EfEEvi20rocsparse_direction_NS_24const_host_device_scalarIT1_EEPKiS6_PKS3_iiS8_S4_PS3_21rocsparse_index_base_b,"axG",@progbits,_ZN9rocsparseL23gebsrmvn_general_kernelILj64ELj16EfEEvi20rocsparse_direction_NS_24const_host_device_scalarIT1_EEPKiS6_PKS3_iiS8_S4_PS3_21rocsparse_index_base_b,comdat
.Lfunc_end35:
	.size	_ZN9rocsparseL23gebsrmvn_general_kernelILj64ELj16EfEEvi20rocsparse_direction_NS_24const_host_device_scalarIT1_EEPKiS6_PKS3_iiS8_S4_PS3_21rocsparse_index_base_b, .Lfunc_end35-_ZN9rocsparseL23gebsrmvn_general_kernelILj64ELj16EfEEvi20rocsparse_direction_NS_24const_host_device_scalarIT1_EEPKiS6_PKS3_iiS8_S4_PS3_21rocsparse_index_base_b
                                        ; -- End function
	.set _ZN9rocsparseL23gebsrmvn_general_kernelILj64ELj16EfEEvi20rocsparse_direction_NS_24const_host_device_scalarIT1_EEPKiS6_PKS3_iiS8_S4_PS3_21rocsparse_index_base_b.num_vgpr, 9
	.set _ZN9rocsparseL23gebsrmvn_general_kernelILj64ELj16EfEEvi20rocsparse_direction_NS_24const_host_device_scalarIT1_EEPKiS6_PKS3_iiS8_S4_PS3_21rocsparse_index_base_b.num_agpr, 0
	.set _ZN9rocsparseL23gebsrmvn_general_kernelILj64ELj16EfEEvi20rocsparse_direction_NS_24const_host_device_scalarIT1_EEPKiS6_PKS3_iiS8_S4_PS3_21rocsparse_index_base_b.numbered_sgpr, 40
	.set _ZN9rocsparseL23gebsrmvn_general_kernelILj64ELj16EfEEvi20rocsparse_direction_NS_24const_host_device_scalarIT1_EEPKiS6_PKS3_iiS8_S4_PS3_21rocsparse_index_base_b.num_named_barrier, 0
	.set _ZN9rocsparseL23gebsrmvn_general_kernelILj64ELj16EfEEvi20rocsparse_direction_NS_24const_host_device_scalarIT1_EEPKiS6_PKS3_iiS8_S4_PS3_21rocsparse_index_base_b.private_seg_size, 0
	.set _ZN9rocsparseL23gebsrmvn_general_kernelILj64ELj16EfEEvi20rocsparse_direction_NS_24const_host_device_scalarIT1_EEPKiS6_PKS3_iiS8_S4_PS3_21rocsparse_index_base_b.uses_vcc, 1
	.set _ZN9rocsparseL23gebsrmvn_general_kernelILj64ELj16EfEEvi20rocsparse_direction_NS_24const_host_device_scalarIT1_EEPKiS6_PKS3_iiS8_S4_PS3_21rocsparse_index_base_b.uses_flat_scratch, 0
	.set _ZN9rocsparseL23gebsrmvn_general_kernelILj64ELj16EfEEvi20rocsparse_direction_NS_24const_host_device_scalarIT1_EEPKiS6_PKS3_iiS8_S4_PS3_21rocsparse_index_base_b.has_dyn_sized_stack, 0
	.set _ZN9rocsparseL23gebsrmvn_general_kernelILj64ELj16EfEEvi20rocsparse_direction_NS_24const_host_device_scalarIT1_EEPKiS6_PKS3_iiS8_S4_PS3_21rocsparse_index_base_b.has_recursion, 0
	.set _ZN9rocsparseL23gebsrmvn_general_kernelILj64ELj16EfEEvi20rocsparse_direction_NS_24const_host_device_scalarIT1_EEPKiS6_PKS3_iiS8_S4_PS3_21rocsparse_index_base_b.has_indirect_call, 0
	.section	.AMDGPU.csdata,"",@progbits
; Kernel info:
; codeLenInByte = 712
; TotalNumSgprs: 46
; NumVgprs: 9
; NumAgprs: 0
; TotalNumVgprs: 9
; ScratchSize: 0
; MemoryBound: 0
; FloatMode: 240
; IeeeMode: 1
; LDSByteSize: 0 bytes/workgroup (compile time only)
; SGPRBlocks: 5
; VGPRBlocks: 1
; NumSGPRsForWavesPerEU: 46
; NumVGPRsForWavesPerEU: 9
; AccumOffset: 12
; Occupancy: 8
; WaveLimiterHint : 1
; COMPUTE_PGM_RSRC2:SCRATCH_EN: 0
; COMPUTE_PGM_RSRC2:USER_SGPR: 2
; COMPUTE_PGM_RSRC2:TRAP_HANDLER: 0
; COMPUTE_PGM_RSRC2:TGID_X_EN: 1
; COMPUTE_PGM_RSRC2:TGID_Y_EN: 0
; COMPUTE_PGM_RSRC2:TGID_Z_EN: 0
; COMPUTE_PGM_RSRC2:TIDIG_COMP_CNT: 0
; COMPUTE_PGM_RSRC3_GFX90A:ACCUM_OFFSET: 2
; COMPUTE_PGM_RSRC3_GFX90A:TG_SPLIT: 0
	.section	.text._ZN9rocsparseL23gebsrmvn_general_kernelILj128ELj32EfEEvi20rocsparse_direction_NS_24const_host_device_scalarIT1_EEPKiS6_PKS3_iiS8_S4_PS3_21rocsparse_index_base_b,"axG",@progbits,_ZN9rocsparseL23gebsrmvn_general_kernelILj128ELj32EfEEvi20rocsparse_direction_NS_24const_host_device_scalarIT1_EEPKiS6_PKS3_iiS8_S4_PS3_21rocsparse_index_base_b,comdat
	.globl	_ZN9rocsparseL23gebsrmvn_general_kernelILj128ELj32EfEEvi20rocsparse_direction_NS_24const_host_device_scalarIT1_EEPKiS6_PKS3_iiS8_S4_PS3_21rocsparse_index_base_b ; -- Begin function _ZN9rocsparseL23gebsrmvn_general_kernelILj128ELj32EfEEvi20rocsparse_direction_NS_24const_host_device_scalarIT1_EEPKiS6_PKS3_iiS8_S4_PS3_21rocsparse_index_base_b
	.p2align	8
	.type	_ZN9rocsparseL23gebsrmvn_general_kernelILj128ELj32EfEEvi20rocsparse_direction_NS_24const_host_device_scalarIT1_EEPKiS6_PKS3_iiS8_S4_PS3_21rocsparse_index_base_b,@function
_ZN9rocsparseL23gebsrmvn_general_kernelILj128ELj32EfEEvi20rocsparse_direction_NS_24const_host_device_scalarIT1_EEPKiS6_PKS3_iiS8_S4_PS3_21rocsparse_index_base_b: ; @_ZN9rocsparseL23gebsrmvn_general_kernelILj128ELj32EfEEvi20rocsparse_direction_NS_24const_host_device_scalarIT1_EEPKiS6_PKS3_iiS8_S4_PS3_21rocsparse_index_base_b
; %bb.0:
	s_load_dwordx2 s[12:13], s[0:1], 0x48
	s_load_dwordx2 s[14:15], s[0:1], 0x8
	;; [unrolled: 1-line block ×3, first 2 shown]
	s_waitcnt lgkmcnt(0)
	s_bitcmp1_b32 s13, 0
	s_cselect_b64 s[6:7], -1, 0
	s_xor_b64 s[4:5], s[6:7], -1
	s_and_b64 vcc, exec, s[6:7]
	s_cbranch_vccnz .LBB36_2
; %bb.1:
	s_load_dword s14, s[14:15], 0x0
.LBB36_2:
	s_andn2_b64 vcc, exec, s[4:5]
	s_cbranch_vccnz .LBB36_4
; %bb.3:
	s_load_dword s16, s[16:17], 0x0
.LBB36_4:
	s_waitcnt lgkmcnt(0)
	v_cmp_eq_f32_e64 s[4:5], s14, 0
	v_cmp_eq_f32_e64 s[6:7], s16, 1.0
	s_and_b64 s[4:5], s[4:5], s[6:7]
	s_and_b64 vcc, exec, s[4:5]
	s_cbranch_vccnz .LBB36_24
; %bb.5:
	s_load_dwordx2 s[18:19], s[0:1], 0x28
	v_lshrrev_b32_e32 v2, 5, v0
	s_waitcnt lgkmcnt(0)
	v_cmp_gt_i32_e32 vcc, s18, v2
	s_and_saveexec_b64 s[4:5], vcc
	s_cbranch_execz .LBB36_24
; %bb.6:
	s_load_dwordx4 s[8:11], s[0:1], 0x10
	s_load_dword s17, s[0:1], 0x4
	s_ashr_i32 s3, s2, 31
	s_lshl_b64 s[4:5], s[2:3], 2
	v_and_b32_e32 v3, 31, v0
	s_waitcnt lgkmcnt(0)
	s_add_u32 s4, s8, s4
	s_addc_u32 s5, s9, s5
	s_load_dwordx2 s[6:7], s[4:5], 0x0
	s_load_dwordx2 s[8:9], s[0:1], 0x20
	;; [unrolled: 1-line block ×4, first 2 shown]
	v_cmp_gt_i32_e64 s[0:1], s19, v3
	s_waitcnt lgkmcnt(0)
	s_sub_i32 s13, s6, s12
	s_sub_i32 s15, s7, s12
	s_cmp_lt_i32 s6, s7
	s_cselect_b64 s[4:5], -1, 0
	s_cmp_lg_u32 s17, 0
	s_mul_i32 s17, s18, s2
	s_mul_i32 s2, s18, s13
	v_add_u32_e32 v0, s2, v2
	v_mul_lo_u32 v4, s19, v0
	v_cndmask_b32_e64 v0, 0, 1, s[4:5]
	s_cselect_b64 s[24:25], -1, 0
	v_cmp_eq_u32_e64 s[6:7], 31, v3
	v_cmp_eq_f32_e64 s[26:27], s16, 0
	s_lshl_b32 s33, s19, 2
	s_mul_i32 s38, s19, s18
	s_mov_b64 s[2:3], 0
	v_cmp_ne_u32_e64 s[4:5], 1, v0
	s_branch .LBB36_8
.LBB36_7:                               ;   in Loop: Header=BB36_8 Depth=1
	s_or_b64 exec, exec, s[28:29]
	v_add_u32_e32 v2, 4, v2
	v_cmp_le_i32_e32 vcc, s18, v2
	s_or_b64 s[2:3], vcc, s[2:3]
	v_add_u32_e32 v4, s33, v4
	s_andn2_b64 exec, exec, s[2:3]
	s_cbranch_execz .LBB36_24
.LBB36_8:                               ; =>This Loop Header: Depth=1
                                        ;     Child Loop BB36_12 Depth 2
                                        ;       Child Loop BB36_15 Depth 3
	s_and_b64 vcc, exec, s[4:5]
	v_mov_b32_e32 v5, 0
	s_cbranch_vccnz .LBB36_19
; %bb.9:                                ;   in Loop: Header=BB36_8 Depth=1
	v_mov_b32_e32 v5, 0
	v_mov_b32_e32 v6, v4
	s_mov_b32 s28, s13
	s_branch .LBB36_12
.LBB36_10:                              ;   in Loop: Header=BB36_12 Depth=2
	s_or_b64 exec, exec, s[34:35]
.LBB36_11:                              ;   in Loop: Header=BB36_12 Depth=2
	s_or_b64 exec, exec, s[30:31]
	s_add_i32 s28, s28, 1
	s_cmp_ge_i32 s28, s15
	v_add_u32_e32 v6, s38, v6
	s_cbranch_scc1 .LBB36_19
.LBB36_12:                              ;   Parent Loop BB36_8 Depth=1
                                        ; =>  This Loop Header: Depth=2
                                        ;       Child Loop BB36_15 Depth 3
	s_and_saveexec_b64 s[30:31], s[0:1]
	s_cbranch_execz .LBB36_11
; %bb.13:                               ;   in Loop: Header=BB36_12 Depth=2
	s_ashr_i32 s29, s28, 31
	s_lshl_b64 s[34:35], s[28:29], 2
	s_add_u32 s34, s10, s34
	s_addc_u32 s35, s11, s35
	s_load_dword s36, s[34:35], 0x0
	s_mul_i32 s29, s28, s19
	s_mov_b64 s[34:35], 0
	v_mov_b32_e32 v7, v3
	s_waitcnt lgkmcnt(0)
	s_sub_i32 s39, s36, s12
	s_mul_i32 s39, s39, s19
	s_branch .LBB36_15
.LBB36_14:                              ;   in Loop: Header=BB36_15 Depth=3
	v_ashrrev_i32_e32 v1, 31, v0
	v_lshl_add_u64 v[0:1], v[0:1], 2, s[8:9]
	global_load_dword v8, v[0:1], off
	v_add_u32_e32 v0, s39, v7
	v_ashrrev_i32_e32 v1, 31, v0
	v_lshl_add_u64 v[0:1], v[0:1], 2, s[20:21]
	global_load_dword v0, v[0:1], off
	v_add_u32_e32 v7, 32, v7
	v_cmp_le_i32_e32 vcc, s19, v7
	s_or_b64 s[34:35], vcc, s[34:35]
	s_waitcnt vmcnt(0)
	v_fmac_f32_e32 v5, v8, v0
	s_andn2_b64 exec, exec, s[34:35]
	s_cbranch_execz .LBB36_10
.LBB36_15:                              ;   Parent Loop BB36_8 Depth=1
                                        ;     Parent Loop BB36_12 Depth=2
                                        ; =>    This Inner Loop Header: Depth=3
	s_and_b64 vcc, exec, s[24:25]
	s_cbranch_vccz .LBB36_17
; %bb.16:                               ;   in Loop: Header=BB36_15 Depth=3
	v_add_u32_e32 v0, s29, v7
	v_mad_u64_u32 v[0:1], s[36:37], v0, s18, v[2:3]
	s_cbranch_execnz .LBB36_14
	s_branch .LBB36_18
.LBB36_17:                              ;   in Loop: Header=BB36_15 Depth=3
                                        ; implicit-def: $vgpr0
.LBB36_18:                              ;   in Loop: Header=BB36_15 Depth=3
	v_add_u32_e32 v0, v6, v7
	s_branch .LBB36_14
.LBB36_19:                              ;   in Loop: Header=BB36_8 Depth=1
	s_nop 0
	v_mov_b32_dpp v0, v5 row_shr:1 row_mask:0xf bank_mask:0xf
	v_add_f32_e32 v0, v5, v0
	s_nop 1
	v_mov_b32_dpp v1, v0 row_shr:2 row_mask:0xf bank_mask:0xf
	v_add_f32_e32 v0, v0, v1
	;; [unrolled: 3-line block ×4, first 2 shown]
	s_nop 1
	v_mov_b32_dpp v1, v0 row_bcast:15 row_mask:0xa bank_mask:0xf
	s_and_saveexec_b64 s[28:29], s[6:7]
	s_cbranch_execz .LBB36_7
; %bb.20:                               ;   in Loop: Header=BB36_8 Depth=1
	v_add_f32_e32 v0, v0, v1
	v_mul_f32_e32 v5, s14, v0
	v_add_u32_e32 v0, s17, v2
	s_and_b64 vcc, exec, s[26:27]
	v_ashrrev_i32_e32 v1, 31, v0
	s_cbranch_vccz .LBB36_22
; %bb.21:                               ;   in Loop: Header=BB36_8 Depth=1
	v_lshl_add_u64 v[6:7], v[0:1], 2, s[22:23]
	global_store_dword v[6:7], v5, off
	s_cbranch_execnz .LBB36_7
	s_branch .LBB36_23
.LBB36_22:                              ;   in Loop: Header=BB36_8 Depth=1
.LBB36_23:                              ;   in Loop: Header=BB36_8 Depth=1
	v_lshl_add_u64 v[0:1], v[0:1], 2, s[22:23]
	global_load_dword v6, v[0:1], off
	s_waitcnt vmcnt(0)
	v_fmac_f32_e32 v5, s16, v6
	global_store_dword v[0:1], v5, off
	s_branch .LBB36_7
.LBB36_24:
	s_endpgm
	.section	.rodata,"a",@progbits
	.p2align	6, 0x0
	.amdhsa_kernel _ZN9rocsparseL23gebsrmvn_general_kernelILj128ELj32EfEEvi20rocsparse_direction_NS_24const_host_device_scalarIT1_EEPKiS6_PKS3_iiS8_S4_PS3_21rocsparse_index_base_b
		.amdhsa_group_segment_fixed_size 0
		.amdhsa_private_segment_fixed_size 0
		.amdhsa_kernarg_size 80
		.amdhsa_user_sgpr_count 2
		.amdhsa_user_sgpr_dispatch_ptr 0
		.amdhsa_user_sgpr_queue_ptr 0
		.amdhsa_user_sgpr_kernarg_segment_ptr 1
		.amdhsa_user_sgpr_dispatch_id 0
		.amdhsa_user_sgpr_kernarg_preload_length 0
		.amdhsa_user_sgpr_kernarg_preload_offset 0
		.amdhsa_user_sgpr_private_segment_size 0
		.amdhsa_uses_dynamic_stack 0
		.amdhsa_enable_private_segment 0
		.amdhsa_system_sgpr_workgroup_id_x 1
		.amdhsa_system_sgpr_workgroup_id_y 0
		.amdhsa_system_sgpr_workgroup_id_z 0
		.amdhsa_system_sgpr_workgroup_info 0
		.amdhsa_system_vgpr_workitem_id 0
		.amdhsa_next_free_vgpr 9
		.amdhsa_next_free_sgpr 40
		.amdhsa_accum_offset 12
		.amdhsa_reserve_vcc 1
		.amdhsa_float_round_mode_32 0
		.amdhsa_float_round_mode_16_64 0
		.amdhsa_float_denorm_mode_32 3
		.amdhsa_float_denorm_mode_16_64 3
		.amdhsa_dx10_clamp 1
		.amdhsa_ieee_mode 1
		.amdhsa_fp16_overflow 0
		.amdhsa_tg_split 0
		.amdhsa_exception_fp_ieee_invalid_op 0
		.amdhsa_exception_fp_denorm_src 0
		.amdhsa_exception_fp_ieee_div_zero 0
		.amdhsa_exception_fp_ieee_overflow 0
		.amdhsa_exception_fp_ieee_underflow 0
		.amdhsa_exception_fp_ieee_inexact 0
		.amdhsa_exception_int_div_zero 0
	.end_amdhsa_kernel
	.section	.text._ZN9rocsparseL23gebsrmvn_general_kernelILj128ELj32EfEEvi20rocsparse_direction_NS_24const_host_device_scalarIT1_EEPKiS6_PKS3_iiS8_S4_PS3_21rocsparse_index_base_b,"axG",@progbits,_ZN9rocsparseL23gebsrmvn_general_kernelILj128ELj32EfEEvi20rocsparse_direction_NS_24const_host_device_scalarIT1_EEPKiS6_PKS3_iiS8_S4_PS3_21rocsparse_index_base_b,comdat
.Lfunc_end36:
	.size	_ZN9rocsparseL23gebsrmvn_general_kernelILj128ELj32EfEEvi20rocsparse_direction_NS_24const_host_device_scalarIT1_EEPKiS6_PKS3_iiS8_S4_PS3_21rocsparse_index_base_b, .Lfunc_end36-_ZN9rocsparseL23gebsrmvn_general_kernelILj128ELj32EfEEvi20rocsparse_direction_NS_24const_host_device_scalarIT1_EEPKiS6_PKS3_iiS8_S4_PS3_21rocsparse_index_base_b
                                        ; -- End function
	.set _ZN9rocsparseL23gebsrmvn_general_kernelILj128ELj32EfEEvi20rocsparse_direction_NS_24const_host_device_scalarIT1_EEPKiS6_PKS3_iiS8_S4_PS3_21rocsparse_index_base_b.num_vgpr, 9
	.set _ZN9rocsparseL23gebsrmvn_general_kernelILj128ELj32EfEEvi20rocsparse_direction_NS_24const_host_device_scalarIT1_EEPKiS6_PKS3_iiS8_S4_PS3_21rocsparse_index_base_b.num_agpr, 0
	.set _ZN9rocsparseL23gebsrmvn_general_kernelILj128ELj32EfEEvi20rocsparse_direction_NS_24const_host_device_scalarIT1_EEPKiS6_PKS3_iiS8_S4_PS3_21rocsparse_index_base_b.numbered_sgpr, 40
	.set _ZN9rocsparseL23gebsrmvn_general_kernelILj128ELj32EfEEvi20rocsparse_direction_NS_24const_host_device_scalarIT1_EEPKiS6_PKS3_iiS8_S4_PS3_21rocsparse_index_base_b.num_named_barrier, 0
	.set _ZN9rocsparseL23gebsrmvn_general_kernelILj128ELj32EfEEvi20rocsparse_direction_NS_24const_host_device_scalarIT1_EEPKiS6_PKS3_iiS8_S4_PS3_21rocsparse_index_base_b.private_seg_size, 0
	.set _ZN9rocsparseL23gebsrmvn_general_kernelILj128ELj32EfEEvi20rocsparse_direction_NS_24const_host_device_scalarIT1_EEPKiS6_PKS3_iiS8_S4_PS3_21rocsparse_index_base_b.uses_vcc, 1
	.set _ZN9rocsparseL23gebsrmvn_general_kernelILj128ELj32EfEEvi20rocsparse_direction_NS_24const_host_device_scalarIT1_EEPKiS6_PKS3_iiS8_S4_PS3_21rocsparse_index_base_b.uses_flat_scratch, 0
	.set _ZN9rocsparseL23gebsrmvn_general_kernelILj128ELj32EfEEvi20rocsparse_direction_NS_24const_host_device_scalarIT1_EEPKiS6_PKS3_iiS8_S4_PS3_21rocsparse_index_base_b.has_dyn_sized_stack, 0
	.set _ZN9rocsparseL23gebsrmvn_general_kernelILj128ELj32EfEEvi20rocsparse_direction_NS_24const_host_device_scalarIT1_EEPKiS6_PKS3_iiS8_S4_PS3_21rocsparse_index_base_b.has_recursion, 0
	.set _ZN9rocsparseL23gebsrmvn_general_kernelILj128ELj32EfEEvi20rocsparse_direction_NS_24const_host_device_scalarIT1_EEPKiS6_PKS3_iiS8_S4_PS3_21rocsparse_index_base_b.has_indirect_call, 0
	.section	.AMDGPU.csdata,"",@progbits
; Kernel info:
; codeLenInByte = 728
; TotalNumSgprs: 46
; NumVgprs: 9
; NumAgprs: 0
; TotalNumVgprs: 9
; ScratchSize: 0
; MemoryBound: 0
; FloatMode: 240
; IeeeMode: 1
; LDSByteSize: 0 bytes/workgroup (compile time only)
; SGPRBlocks: 5
; VGPRBlocks: 1
; NumSGPRsForWavesPerEU: 46
; NumVGPRsForWavesPerEU: 9
; AccumOffset: 12
; Occupancy: 8
; WaveLimiterHint : 1
; COMPUTE_PGM_RSRC2:SCRATCH_EN: 0
; COMPUTE_PGM_RSRC2:USER_SGPR: 2
; COMPUTE_PGM_RSRC2:TRAP_HANDLER: 0
; COMPUTE_PGM_RSRC2:TGID_X_EN: 1
; COMPUTE_PGM_RSRC2:TGID_Y_EN: 0
; COMPUTE_PGM_RSRC2:TGID_Z_EN: 0
; COMPUTE_PGM_RSRC2:TIDIG_COMP_CNT: 0
; COMPUTE_PGM_RSRC3_GFX90A:ACCUM_OFFSET: 2
; COMPUTE_PGM_RSRC3_GFX90A:TG_SPLIT: 0
	.section	.text._ZN9rocsparseL19gebsrmvn_4xn_kernelILj128ELj1ELj4EdEEvi20rocsparse_direction_NS_24const_host_device_scalarIT2_EEPKiS6_PKS3_S8_S4_PS3_21rocsparse_index_base_b,"axG",@progbits,_ZN9rocsparseL19gebsrmvn_4xn_kernelILj128ELj1ELj4EdEEvi20rocsparse_direction_NS_24const_host_device_scalarIT2_EEPKiS6_PKS3_S8_S4_PS3_21rocsparse_index_base_b,comdat
	.globl	_ZN9rocsparseL19gebsrmvn_4xn_kernelILj128ELj1ELj4EdEEvi20rocsparse_direction_NS_24const_host_device_scalarIT2_EEPKiS6_PKS3_S8_S4_PS3_21rocsparse_index_base_b ; -- Begin function _ZN9rocsparseL19gebsrmvn_4xn_kernelILj128ELj1ELj4EdEEvi20rocsparse_direction_NS_24const_host_device_scalarIT2_EEPKiS6_PKS3_S8_S4_PS3_21rocsparse_index_base_b
	.p2align	8
	.type	_ZN9rocsparseL19gebsrmvn_4xn_kernelILj128ELj1ELj4EdEEvi20rocsparse_direction_NS_24const_host_device_scalarIT2_EEPKiS6_PKS3_S8_S4_PS3_21rocsparse_index_base_b,@function
_ZN9rocsparseL19gebsrmvn_4xn_kernelILj128ELj1ELj4EdEEvi20rocsparse_direction_NS_24const_host_device_scalarIT2_EEPKiS6_PKS3_S8_S4_PS3_21rocsparse_index_base_b: ; @_ZN9rocsparseL19gebsrmvn_4xn_kernelILj128ELj1ELj4EdEEvi20rocsparse_direction_NS_24const_host_device_scalarIT2_EEPKiS6_PKS3_S8_S4_PS3_21rocsparse_index_base_b
; %bb.0:
	s_load_dwordx2 s[12:13], s[0:1], 0x40
	s_load_dwordx2 s[8:9], s[0:1], 0x8
	;; [unrolled: 1-line block ×3, first 2 shown]
	s_waitcnt lgkmcnt(0)
	s_bitcmp1_b32 s13, 0
	s_cselect_b64 s[10:11], -1, 0
	s_xor_b64 s[6:7], s[10:11], -1
	s_and_b64 vcc, exec, s[10:11]
	v_mov_b64_e32 v[2:3], s[8:9]
	s_cbranch_vccnz .LBB37_2
; %bb.1:
	v_mov_b64_e32 v[2:3], s[8:9]
	flat_load_dwordx2 v[2:3], v[2:3]
.LBB37_2:
	s_andn2_b64 vcc, exec, s[6:7]
	v_mov_b64_e32 v[4:5], s[4:5]
	s_cbranch_vccnz .LBB37_4
; %bb.3:
	v_mov_b64_e32 v[4:5], s[4:5]
	flat_load_dwordx2 v[4:5], v[4:5]
.LBB37_4:
	s_waitcnt vmcnt(0) lgkmcnt(0)
	v_cmp_neq_f64_e32 vcc, 0, v[2:3]
	v_cmp_neq_f64_e64 s[4:5], 1.0, v[4:5]
	s_or_b64 s[4:5], vcc, s[4:5]
	s_and_saveexec_b64 s[6:7], s[4:5]
	s_cbranch_execz .LBB37_23
; %bb.5:
	s_load_dwordx2 s[14:15], s[0:1], 0x0
	v_lshrrev_b32_e32 v1, 2, v0
	v_lshl_or_b32 v6, s2, 5, v1
	s_waitcnt lgkmcnt(0)
	v_cmp_gt_i32_e32 vcc, s14, v6
	s_and_b64 exec, exec, vcc
	s_cbranch_execz .LBB37_23
; %bb.6:
	s_load_dwordx8 s[4:11], s[0:1], 0x10
	v_ashrrev_i32_e32 v7, 31, v6
	s_cmp_lg_u32 s15, 0
	s_waitcnt lgkmcnt(0)
	v_lshl_add_u64 v[8:9], v[6:7], 2, s[4:5]
	global_load_dwordx2 v[8:9], v[8:9], off
	v_and_b32_e32 v7, 3, v0
	s_waitcnt vmcnt(0)
	v_subrev_u32_e32 v0, s12, v8
	v_subrev_u32_e32 v20, s12, v9
	v_add_u32_e32 v12, v0, v7
	v_cmp_lt_i32_e64 s[2:3], v12, v20
	s_cbranch_scc0 .LBB37_12
; %bb.7:
	v_mov_b64_e32 v[8:9], 0
	v_mov_b64_e32 v[0:1], 0
	;; [unrolled: 1-line block ×4, first 2 shown]
	s_and_saveexec_b64 s[4:5], s[2:3]
	s_cbranch_execz .LBB37_11
; %bb.8:
	v_lshlrev_b32_e32 v16, 2, v12
	v_mov_b64_e32 v[8:9], 0
	s_mov_b64 s[14:15], 0
	v_mov_b32_e32 v17, 0
	v_mov_b32_e32 v18, v12
	v_mov_b64_e32 v[0:1], 0
	v_mov_b64_e32 v[10:11], 0
	;; [unrolled: 1-line block ×3, first 2 shown]
.LBB37_9:                               ; =>This Inner Loop Header: Depth=1
	v_ashrrev_i32_e32 v19, 31, v18
	v_lshl_add_u64 v[22:23], v[18:19], 2, s[6:7]
	global_load_dword v13, v[22:23], off
	v_lshl_add_u64 v[30:31], v[16:17], 3, s[8:9]
	v_mov_b32_e32 v33, v17
	global_load_dwordx4 v[22:25], v[30:31], off offset:16
	global_load_dwordx4 v[26:29], v[30:31], off
	v_add_u32_e32 v18, 4, v18
	v_cmp_ge_i32_e32 vcc, v18, v20
	v_add_u32_e32 v16, 16, v16
	s_or_b64 s[14:15], vcc, s[14:15]
	s_waitcnt vmcnt(2)
	v_subrev_u32_e32 v32, s12, v13
	v_lshl_add_u64 v[30:31], v[32:33], 3, s[10:11]
	global_load_dwordx2 v[30:31], v[30:31], off
	s_waitcnt vmcnt(0)
	v_fmac_f64_e32 v[8:9], v[26:27], v[30:31]
	v_fmac_f64_e32 v[14:15], v[28:29], v[30:31]
	;; [unrolled: 1-line block ×4, first 2 shown]
	s_andn2_b64 exec, exec, s[14:15]
	s_cbranch_execnz .LBB37_9
; %bb.10:
	s_or_b64 exec, exec, s[14:15]
.LBB37_11:
	s_or_b64 exec, exec, s[4:5]
	s_cbranch_execz .LBB37_13
	s_branch .LBB37_18
.LBB37_12:
                                        ; implicit-def: $vgpr8_vgpr9
                                        ; implicit-def: $vgpr0_vgpr1
                                        ; implicit-def: $vgpr10_vgpr11
                                        ; implicit-def: $vgpr14_vgpr15
.LBB37_13:
	v_mov_b64_e32 v[8:9], 0
	v_mov_b64_e32 v[0:1], 0
	;; [unrolled: 1-line block ×4, first 2 shown]
	s_and_saveexec_b64 s[4:5], s[2:3]
	s_cbranch_execz .LBB37_17
; %bb.14:
	v_lshlrev_b32_e32 v16, 2, v12
	v_mov_b64_e32 v[8:9], 0
	s_mov_b64 s[2:3], 0
	v_mov_b32_e32 v17, 0
	v_mov_b64_e32 v[0:1], 0
	v_mov_b64_e32 v[10:11], 0
	;; [unrolled: 1-line block ×3, first 2 shown]
.LBB37_15:                              ; =>This Inner Loop Header: Depth=1
	v_ashrrev_i32_e32 v13, 31, v12
	v_lshl_add_u64 v[18:19], v[12:13], 2, s[6:7]
	global_load_dword v13, v[18:19], off
	v_lshl_add_u64 v[18:19], v[16:17], 3, s[8:9]
	v_mov_b32_e32 v31, v17
	global_load_dwordx4 v[22:25], v[18:19], off offset:16
	global_load_dwordx4 v[26:29], v[18:19], off
	v_add_u32_e32 v12, 4, v12
	v_cmp_ge_i32_e32 vcc, v12, v20
	v_add_u32_e32 v16, 16, v16
	s_or_b64 s[2:3], vcc, s[2:3]
	s_waitcnt vmcnt(2)
	v_subrev_u32_e32 v30, s12, v13
	v_lshl_add_u64 v[18:19], v[30:31], 3, s[10:11]
	global_load_dwordx2 v[18:19], v[18:19], off
	s_waitcnt vmcnt(0)
	v_fmac_f64_e32 v[8:9], v[26:27], v[18:19]
	v_fmac_f64_e32 v[14:15], v[28:29], v[18:19]
	;; [unrolled: 1-line block ×4, first 2 shown]
	s_andn2_b64 exec, exec, s[2:3]
	s_cbranch_execnz .LBB37_15
; %bb.16:
	s_or_b64 exec, exec, s[2:3]
.LBB37_17:
	s_or_b64 exec, exec, s[4:5]
.LBB37_18:
	v_mov_b32_dpp v18, v10 row_shr:1 row_mask:0xf bank_mask:0xf
	v_mov_b32_dpp v19, v11 row_shr:1 row_mask:0xf bank_mask:0xf
	v_mov_b32_dpp v12, v8 row_shr:1 row_mask:0xf bank_mask:0xf
	v_mov_b32_dpp v13, v9 row_shr:1 row_mask:0xf bank_mask:0xf
	v_mov_b32_dpp v16, v14 row_shr:1 row_mask:0xf bank_mask:0xf
	v_mov_b32_dpp v17, v15 row_shr:1 row_mask:0xf bank_mask:0xf
	v_add_f64 v[18:19], v[10:11], v[18:19]
	v_mov_b32_dpp v10, v0 row_shr:1 row_mask:0xf bank_mask:0xf
	v_mov_b32_dpp v11, v1 row_shr:1 row_mask:0xf bank_mask:0xf
	v_add_f64 v[8:9], v[8:9], v[12:13]
	v_add_f64 v[14:15], v[14:15], v[16:17]
	v_add_f64 v[22:23], v[0:1], v[10:11]
	v_mov_b32_dpp v12, v8 row_shr:2 row_mask:0xf bank_mask:0xf
	v_mov_b32_dpp v13, v9 row_shr:2 row_mask:0xf bank_mask:0xf
	;; [unrolled: 1-line block ×8, first 2 shown]
	v_cmp_eq_u32_e32 vcc, 3, v7
	s_and_b64 exec, exec, vcc
	s_cbranch_execz .LBB37_23
; %bb.19:
	s_load_dwordx2 s[0:1], s[0:1], 0x38
	v_add_f64 v[12:13], v[8:9], v[12:13]
	v_add_f64 v[10:11], v[14:15], v[16:17]
	;; [unrolled: 1-line block ×4, first 2 shown]
	v_cmp_eq_f64_e32 vcc, 0, v[4:5]
	s_and_saveexec_b64 s[2:3], vcc
	s_xor_b64 s[2:3], exec, s[2:3]
	s_cbranch_execz .LBB37_21
; %bb.20:
	v_lshlrev_b32_e32 v6, 2, v6
	v_ashrrev_i32_e32 v7, 31, v6
	v_mul_f64 v[4:5], v[2:3], v[12:13]
	s_waitcnt lgkmcnt(0)
	v_lshl_add_u64 v[12:13], v[6:7], 3, s[0:1]
	v_mul_f64 v[6:7], v[2:3], v[10:11]
	v_mul_f64 v[0:1], v[2:3], v[0:1]
	;; [unrolled: 1-line block ×3, first 2 shown]
	global_store_dwordx4 v[12:13], v[4:7], off
	global_store_dwordx4 v[12:13], v[0:3], off offset:16
                                        ; implicit-def: $vgpr6
                                        ; implicit-def: $vgpr2_vgpr3
                                        ; implicit-def: $vgpr12_vgpr13
                                        ; implicit-def: $vgpr4_vgpr5
                                        ; implicit-def: $vgpr10_vgpr11
                                        ; implicit-def: $vgpr0_vgpr1
                                        ; implicit-def: $vgpr8_vgpr9
.LBB37_21:
	s_andn2_saveexec_b64 s[2:3], s[2:3]
	s_cbranch_execz .LBB37_23
; %bb.22:
	v_lshlrev_b32_e32 v6, 2, v6
	v_ashrrev_i32_e32 v7, 31, v6
	s_waitcnt lgkmcnt(0)
	v_lshl_add_u64 v[6:7], v[6:7], 3, s[0:1]
	global_load_dwordx4 v[14:17], v[6:7], off
	global_load_dwordx4 v[18:21], v[6:7], off offset:16
	v_mul_f64 v[22:23], v[2:3], v[12:13]
	v_mul_f64 v[24:25], v[2:3], v[10:11]
	;; [unrolled: 1-line block ×4, first 2 shown]
	s_waitcnt vmcnt(1)
	v_fmac_f64_e32 v[22:23], v[4:5], v[14:15]
	v_fmac_f64_e32 v[24:25], v[4:5], v[16:17]
	s_waitcnt vmcnt(0)
	v_fmac_f64_e32 v[0:1], v[4:5], v[18:19]
	v_fmac_f64_e32 v[2:3], v[4:5], v[20:21]
	global_store_dwordx4 v[6:7], v[22:25], off
	global_store_dwordx4 v[6:7], v[0:3], off offset:16
.LBB37_23:
	s_endpgm
	.section	.rodata,"a",@progbits
	.p2align	6, 0x0
	.amdhsa_kernel _ZN9rocsparseL19gebsrmvn_4xn_kernelILj128ELj1ELj4EdEEvi20rocsparse_direction_NS_24const_host_device_scalarIT2_EEPKiS6_PKS3_S8_S4_PS3_21rocsparse_index_base_b
		.amdhsa_group_segment_fixed_size 0
		.amdhsa_private_segment_fixed_size 0
		.amdhsa_kernarg_size 72
		.amdhsa_user_sgpr_count 2
		.amdhsa_user_sgpr_dispatch_ptr 0
		.amdhsa_user_sgpr_queue_ptr 0
		.amdhsa_user_sgpr_kernarg_segment_ptr 1
		.amdhsa_user_sgpr_dispatch_id 0
		.amdhsa_user_sgpr_kernarg_preload_length 0
		.amdhsa_user_sgpr_kernarg_preload_offset 0
		.amdhsa_user_sgpr_private_segment_size 0
		.amdhsa_uses_dynamic_stack 0
		.amdhsa_enable_private_segment 0
		.amdhsa_system_sgpr_workgroup_id_x 1
		.amdhsa_system_sgpr_workgroup_id_y 0
		.amdhsa_system_sgpr_workgroup_id_z 0
		.amdhsa_system_sgpr_workgroup_info 0
		.amdhsa_system_vgpr_workitem_id 0
		.amdhsa_next_free_vgpr 34
		.amdhsa_next_free_sgpr 16
		.amdhsa_accum_offset 36
		.amdhsa_reserve_vcc 1
		.amdhsa_float_round_mode_32 0
		.amdhsa_float_round_mode_16_64 0
		.amdhsa_float_denorm_mode_32 3
		.amdhsa_float_denorm_mode_16_64 3
		.amdhsa_dx10_clamp 1
		.amdhsa_ieee_mode 1
		.amdhsa_fp16_overflow 0
		.amdhsa_tg_split 0
		.amdhsa_exception_fp_ieee_invalid_op 0
		.amdhsa_exception_fp_denorm_src 0
		.amdhsa_exception_fp_ieee_div_zero 0
		.amdhsa_exception_fp_ieee_overflow 0
		.amdhsa_exception_fp_ieee_underflow 0
		.amdhsa_exception_fp_ieee_inexact 0
		.amdhsa_exception_int_div_zero 0
	.end_amdhsa_kernel
	.section	.text._ZN9rocsparseL19gebsrmvn_4xn_kernelILj128ELj1ELj4EdEEvi20rocsparse_direction_NS_24const_host_device_scalarIT2_EEPKiS6_PKS3_S8_S4_PS3_21rocsparse_index_base_b,"axG",@progbits,_ZN9rocsparseL19gebsrmvn_4xn_kernelILj128ELj1ELj4EdEEvi20rocsparse_direction_NS_24const_host_device_scalarIT2_EEPKiS6_PKS3_S8_S4_PS3_21rocsparse_index_base_b,comdat
.Lfunc_end37:
	.size	_ZN9rocsparseL19gebsrmvn_4xn_kernelILj128ELj1ELj4EdEEvi20rocsparse_direction_NS_24const_host_device_scalarIT2_EEPKiS6_PKS3_S8_S4_PS3_21rocsparse_index_base_b, .Lfunc_end37-_ZN9rocsparseL19gebsrmvn_4xn_kernelILj128ELj1ELj4EdEEvi20rocsparse_direction_NS_24const_host_device_scalarIT2_EEPKiS6_PKS3_S8_S4_PS3_21rocsparse_index_base_b
                                        ; -- End function
	.set _ZN9rocsparseL19gebsrmvn_4xn_kernelILj128ELj1ELj4EdEEvi20rocsparse_direction_NS_24const_host_device_scalarIT2_EEPKiS6_PKS3_S8_S4_PS3_21rocsparse_index_base_b.num_vgpr, 34
	.set _ZN9rocsparseL19gebsrmvn_4xn_kernelILj128ELj1ELj4EdEEvi20rocsparse_direction_NS_24const_host_device_scalarIT2_EEPKiS6_PKS3_S8_S4_PS3_21rocsparse_index_base_b.num_agpr, 0
	.set _ZN9rocsparseL19gebsrmvn_4xn_kernelILj128ELj1ELj4EdEEvi20rocsparse_direction_NS_24const_host_device_scalarIT2_EEPKiS6_PKS3_S8_S4_PS3_21rocsparse_index_base_b.numbered_sgpr, 16
	.set _ZN9rocsparseL19gebsrmvn_4xn_kernelILj128ELj1ELj4EdEEvi20rocsparse_direction_NS_24const_host_device_scalarIT2_EEPKiS6_PKS3_S8_S4_PS3_21rocsparse_index_base_b.num_named_barrier, 0
	.set _ZN9rocsparseL19gebsrmvn_4xn_kernelILj128ELj1ELj4EdEEvi20rocsparse_direction_NS_24const_host_device_scalarIT2_EEPKiS6_PKS3_S8_S4_PS3_21rocsparse_index_base_b.private_seg_size, 0
	.set _ZN9rocsparseL19gebsrmvn_4xn_kernelILj128ELj1ELj4EdEEvi20rocsparse_direction_NS_24const_host_device_scalarIT2_EEPKiS6_PKS3_S8_S4_PS3_21rocsparse_index_base_b.uses_vcc, 1
	.set _ZN9rocsparseL19gebsrmvn_4xn_kernelILj128ELj1ELj4EdEEvi20rocsparse_direction_NS_24const_host_device_scalarIT2_EEPKiS6_PKS3_S8_S4_PS3_21rocsparse_index_base_b.uses_flat_scratch, 0
	.set _ZN9rocsparseL19gebsrmvn_4xn_kernelILj128ELj1ELj4EdEEvi20rocsparse_direction_NS_24const_host_device_scalarIT2_EEPKiS6_PKS3_S8_S4_PS3_21rocsparse_index_base_b.has_dyn_sized_stack, 0
	.set _ZN9rocsparseL19gebsrmvn_4xn_kernelILj128ELj1ELj4EdEEvi20rocsparse_direction_NS_24const_host_device_scalarIT2_EEPKiS6_PKS3_S8_S4_PS3_21rocsparse_index_base_b.has_recursion, 0
	.set _ZN9rocsparseL19gebsrmvn_4xn_kernelILj128ELj1ELj4EdEEvi20rocsparse_direction_NS_24const_host_device_scalarIT2_EEPKiS6_PKS3_S8_S4_PS3_21rocsparse_index_base_b.has_indirect_call, 0
	.section	.AMDGPU.csdata,"",@progbits
; Kernel info:
; codeLenInByte = 1000
; TotalNumSgprs: 22
; NumVgprs: 34
; NumAgprs: 0
; TotalNumVgprs: 34
; ScratchSize: 0
; MemoryBound: 0
; FloatMode: 240
; IeeeMode: 1
; LDSByteSize: 0 bytes/workgroup (compile time only)
; SGPRBlocks: 2
; VGPRBlocks: 4
; NumSGPRsForWavesPerEU: 22
; NumVGPRsForWavesPerEU: 34
; AccumOffset: 36
; Occupancy: 8
; WaveLimiterHint : 1
; COMPUTE_PGM_RSRC2:SCRATCH_EN: 0
; COMPUTE_PGM_RSRC2:USER_SGPR: 2
; COMPUTE_PGM_RSRC2:TRAP_HANDLER: 0
; COMPUTE_PGM_RSRC2:TGID_X_EN: 1
; COMPUTE_PGM_RSRC2:TGID_Y_EN: 0
; COMPUTE_PGM_RSRC2:TGID_Z_EN: 0
; COMPUTE_PGM_RSRC2:TIDIG_COMP_CNT: 0
; COMPUTE_PGM_RSRC3_GFX90A:ACCUM_OFFSET: 8
; COMPUTE_PGM_RSRC3_GFX90A:TG_SPLIT: 0
	.section	.text._ZN9rocsparseL19gebsrmvn_4xn_kernelILj128ELj1ELj8EdEEvi20rocsparse_direction_NS_24const_host_device_scalarIT2_EEPKiS6_PKS3_S8_S4_PS3_21rocsparse_index_base_b,"axG",@progbits,_ZN9rocsparseL19gebsrmvn_4xn_kernelILj128ELj1ELj8EdEEvi20rocsparse_direction_NS_24const_host_device_scalarIT2_EEPKiS6_PKS3_S8_S4_PS3_21rocsparse_index_base_b,comdat
	.globl	_ZN9rocsparseL19gebsrmvn_4xn_kernelILj128ELj1ELj8EdEEvi20rocsparse_direction_NS_24const_host_device_scalarIT2_EEPKiS6_PKS3_S8_S4_PS3_21rocsparse_index_base_b ; -- Begin function _ZN9rocsparseL19gebsrmvn_4xn_kernelILj128ELj1ELj8EdEEvi20rocsparse_direction_NS_24const_host_device_scalarIT2_EEPKiS6_PKS3_S8_S4_PS3_21rocsparse_index_base_b
	.p2align	8
	.type	_ZN9rocsparseL19gebsrmvn_4xn_kernelILj128ELj1ELj8EdEEvi20rocsparse_direction_NS_24const_host_device_scalarIT2_EEPKiS6_PKS3_S8_S4_PS3_21rocsparse_index_base_b,@function
_ZN9rocsparseL19gebsrmvn_4xn_kernelILj128ELj1ELj8EdEEvi20rocsparse_direction_NS_24const_host_device_scalarIT2_EEPKiS6_PKS3_S8_S4_PS3_21rocsparse_index_base_b: ; @_ZN9rocsparseL19gebsrmvn_4xn_kernelILj128ELj1ELj8EdEEvi20rocsparse_direction_NS_24const_host_device_scalarIT2_EEPKiS6_PKS3_S8_S4_PS3_21rocsparse_index_base_b
; %bb.0:
	s_load_dwordx2 s[12:13], s[0:1], 0x40
	s_load_dwordx2 s[8:9], s[0:1], 0x8
	;; [unrolled: 1-line block ×3, first 2 shown]
	s_waitcnt lgkmcnt(0)
	s_bitcmp1_b32 s13, 0
	s_cselect_b64 s[10:11], -1, 0
	s_xor_b64 s[6:7], s[10:11], -1
	s_and_b64 vcc, exec, s[10:11]
	v_mov_b64_e32 v[2:3], s[8:9]
	s_cbranch_vccnz .LBB38_2
; %bb.1:
	v_mov_b64_e32 v[2:3], s[8:9]
	flat_load_dwordx2 v[2:3], v[2:3]
.LBB38_2:
	s_andn2_b64 vcc, exec, s[6:7]
	v_mov_b64_e32 v[4:5], s[4:5]
	s_cbranch_vccnz .LBB38_4
; %bb.3:
	v_mov_b64_e32 v[4:5], s[4:5]
	flat_load_dwordx2 v[4:5], v[4:5]
.LBB38_4:
	s_waitcnt vmcnt(0) lgkmcnt(0)
	v_cmp_neq_f64_e32 vcc, 0, v[2:3]
	v_cmp_neq_f64_e64 s[4:5], 1.0, v[4:5]
	s_or_b64 s[4:5], vcc, s[4:5]
	s_and_saveexec_b64 s[6:7], s[4:5]
	s_cbranch_execz .LBB38_23
; %bb.5:
	s_load_dwordx2 s[14:15], s[0:1], 0x0
	v_lshrrev_b32_e32 v1, 3, v0
	v_lshl_or_b32 v6, s2, 4, v1
	s_waitcnt lgkmcnt(0)
	v_cmp_gt_i32_e32 vcc, s14, v6
	s_and_b64 exec, exec, vcc
	s_cbranch_execz .LBB38_23
; %bb.6:
	s_load_dwordx8 s[4:11], s[0:1], 0x10
	v_ashrrev_i32_e32 v7, 31, v6
	s_cmp_lg_u32 s15, 0
	s_waitcnt lgkmcnt(0)
	v_lshl_add_u64 v[8:9], v[6:7], 2, s[4:5]
	global_load_dwordx2 v[8:9], v[8:9], off
	v_and_b32_e32 v7, 7, v0
	s_waitcnt vmcnt(0)
	v_subrev_u32_e32 v0, s12, v8
	v_subrev_u32_e32 v20, s12, v9
	v_add_u32_e32 v12, v0, v7
	v_cmp_lt_i32_e64 s[2:3], v12, v20
	s_cbranch_scc0 .LBB38_12
; %bb.7:
	v_mov_b64_e32 v[8:9], 0
	v_mov_b64_e32 v[0:1], 0
	;; [unrolled: 1-line block ×4, first 2 shown]
	s_and_saveexec_b64 s[4:5], s[2:3]
	s_cbranch_execz .LBB38_11
; %bb.8:
	v_lshlrev_b32_e32 v16, 2, v12
	v_mov_b64_e32 v[8:9], 0
	s_mov_b64 s[14:15], 0
	v_mov_b32_e32 v17, 0
	v_mov_b32_e32 v18, v12
	v_mov_b64_e32 v[0:1], 0
	v_mov_b64_e32 v[10:11], 0
	;; [unrolled: 1-line block ×3, first 2 shown]
.LBB38_9:                               ; =>This Inner Loop Header: Depth=1
	v_ashrrev_i32_e32 v19, 31, v18
	v_lshl_add_u64 v[22:23], v[18:19], 2, s[6:7]
	global_load_dword v13, v[22:23], off
	v_lshl_add_u64 v[30:31], v[16:17], 3, s[8:9]
	v_mov_b32_e32 v33, v17
	global_load_dwordx4 v[22:25], v[30:31], off offset:16
	global_load_dwordx4 v[26:29], v[30:31], off
	v_add_u32_e32 v18, 8, v18
	v_cmp_ge_i32_e32 vcc, v18, v20
	v_add_u32_e32 v16, 32, v16
	s_or_b64 s[14:15], vcc, s[14:15]
	s_waitcnt vmcnt(2)
	v_subrev_u32_e32 v32, s12, v13
	v_lshl_add_u64 v[30:31], v[32:33], 3, s[10:11]
	global_load_dwordx2 v[30:31], v[30:31], off
	s_waitcnt vmcnt(0)
	v_fmac_f64_e32 v[8:9], v[26:27], v[30:31]
	v_fmac_f64_e32 v[14:15], v[28:29], v[30:31]
	;; [unrolled: 1-line block ×4, first 2 shown]
	s_andn2_b64 exec, exec, s[14:15]
	s_cbranch_execnz .LBB38_9
; %bb.10:
	s_or_b64 exec, exec, s[14:15]
.LBB38_11:
	s_or_b64 exec, exec, s[4:5]
	s_cbranch_execz .LBB38_13
	s_branch .LBB38_18
.LBB38_12:
                                        ; implicit-def: $vgpr8_vgpr9
                                        ; implicit-def: $vgpr0_vgpr1
                                        ; implicit-def: $vgpr10_vgpr11
                                        ; implicit-def: $vgpr14_vgpr15
.LBB38_13:
	v_mov_b64_e32 v[8:9], 0
	v_mov_b64_e32 v[0:1], 0
	;; [unrolled: 1-line block ×4, first 2 shown]
	s_and_saveexec_b64 s[4:5], s[2:3]
	s_cbranch_execz .LBB38_17
; %bb.14:
	v_lshlrev_b32_e32 v16, 2, v12
	v_mov_b64_e32 v[8:9], 0
	s_mov_b64 s[2:3], 0
	v_mov_b32_e32 v17, 0
	v_mov_b64_e32 v[0:1], 0
	v_mov_b64_e32 v[10:11], 0
	;; [unrolled: 1-line block ×3, first 2 shown]
.LBB38_15:                              ; =>This Inner Loop Header: Depth=1
	v_ashrrev_i32_e32 v13, 31, v12
	v_lshl_add_u64 v[18:19], v[12:13], 2, s[6:7]
	global_load_dword v13, v[18:19], off
	v_lshl_add_u64 v[18:19], v[16:17], 3, s[8:9]
	v_mov_b32_e32 v31, v17
	global_load_dwordx4 v[22:25], v[18:19], off offset:16
	global_load_dwordx4 v[26:29], v[18:19], off
	v_add_u32_e32 v12, 8, v12
	v_cmp_ge_i32_e32 vcc, v12, v20
	v_add_u32_e32 v16, 32, v16
	s_or_b64 s[2:3], vcc, s[2:3]
	s_waitcnt vmcnt(2)
	v_subrev_u32_e32 v30, s12, v13
	v_lshl_add_u64 v[18:19], v[30:31], 3, s[10:11]
	global_load_dwordx2 v[18:19], v[18:19], off
	s_waitcnt vmcnt(0)
	v_fmac_f64_e32 v[8:9], v[26:27], v[18:19]
	v_fmac_f64_e32 v[14:15], v[28:29], v[18:19]
	;; [unrolled: 1-line block ×4, first 2 shown]
	s_andn2_b64 exec, exec, s[2:3]
	s_cbranch_execnz .LBB38_15
; %bb.16:
	s_or_b64 exec, exec, s[2:3]
.LBB38_17:
	s_or_b64 exec, exec, s[4:5]
.LBB38_18:
	v_mov_b32_dpp v18, v10 row_shr:1 row_mask:0xf bank_mask:0xf
	v_mov_b32_dpp v19, v11 row_shr:1 row_mask:0xf bank_mask:0xf
	v_add_f64 v[10:11], v[10:11], v[18:19]
	v_mov_b32_dpp v12, v8 row_shr:1 row_mask:0xf bank_mask:0xf
	v_mov_b32_dpp v13, v9 row_shr:1 row_mask:0xf bank_mask:0xf
	;; [unrolled: 1-line block ×6, first 2 shown]
	v_add_f64 v[18:19], v[10:11], v[18:19]
	v_mov_b32_dpp v10, v0 row_shr:1 row_mask:0xf bank_mask:0xf
	v_mov_b32_dpp v11, v1 row_shr:1 row_mask:0xf bank_mask:0xf
	v_add_f64 v[8:9], v[8:9], v[12:13]
	v_add_f64 v[14:15], v[14:15], v[16:17]
	;; [unrolled: 1-line block ×3, first 2 shown]
	v_mov_b32_dpp v12, v8 row_shr:2 row_mask:0xf bank_mask:0xf
	v_mov_b32_dpp v13, v9 row_shr:2 row_mask:0xf bank_mask:0xf
	v_mov_b32_dpp v16, v14 row_shr:2 row_mask:0xf bank_mask:0xf
	v_mov_b32_dpp v17, v15 row_shr:2 row_mask:0xf bank_mask:0xf
	v_mov_b32_dpp v10, v0 row_shr:2 row_mask:0xf bank_mask:0xf
	v_mov_b32_dpp v11, v1 row_shr:2 row_mask:0xf bank_mask:0xf
	v_add_f64 v[8:9], v[8:9], v[12:13]
	v_add_f64 v[14:15], v[14:15], v[16:17]
	;; [unrolled: 1-line block ×3, first 2 shown]
	v_mov_b32_dpp v12, v8 row_shr:4 row_mask:0xf bank_mask:0xe
	v_mov_b32_dpp v13, v9 row_shr:4 row_mask:0xf bank_mask:0xe
	;; [unrolled: 1-line block ×8, first 2 shown]
	v_cmp_eq_u32_e32 vcc, 7, v7
	s_and_b64 exec, exec, vcc
	s_cbranch_execz .LBB38_23
; %bb.19:
	s_load_dwordx2 s[0:1], s[0:1], 0x38
	v_add_f64 v[12:13], v[8:9], v[12:13]
	v_add_f64 v[10:11], v[14:15], v[16:17]
	;; [unrolled: 1-line block ×4, first 2 shown]
	v_cmp_eq_f64_e32 vcc, 0, v[4:5]
	s_and_saveexec_b64 s[2:3], vcc
	s_xor_b64 s[2:3], exec, s[2:3]
	s_cbranch_execz .LBB38_21
; %bb.20:
	v_lshlrev_b32_e32 v6, 2, v6
	v_ashrrev_i32_e32 v7, 31, v6
	v_mul_f64 v[4:5], v[2:3], v[12:13]
	s_waitcnt lgkmcnt(0)
	v_lshl_add_u64 v[12:13], v[6:7], 3, s[0:1]
	v_mul_f64 v[6:7], v[2:3], v[10:11]
	v_mul_f64 v[0:1], v[2:3], v[0:1]
	;; [unrolled: 1-line block ×3, first 2 shown]
	global_store_dwordx4 v[12:13], v[4:7], off
	global_store_dwordx4 v[12:13], v[0:3], off offset:16
                                        ; implicit-def: $vgpr6
                                        ; implicit-def: $vgpr2_vgpr3
                                        ; implicit-def: $vgpr12_vgpr13
                                        ; implicit-def: $vgpr4_vgpr5
                                        ; implicit-def: $vgpr10_vgpr11
                                        ; implicit-def: $vgpr0_vgpr1
                                        ; implicit-def: $vgpr8_vgpr9
.LBB38_21:
	s_andn2_saveexec_b64 s[2:3], s[2:3]
	s_cbranch_execz .LBB38_23
; %bb.22:
	v_lshlrev_b32_e32 v6, 2, v6
	v_ashrrev_i32_e32 v7, 31, v6
	s_waitcnt lgkmcnt(0)
	v_lshl_add_u64 v[6:7], v[6:7], 3, s[0:1]
	global_load_dwordx4 v[14:17], v[6:7], off
	global_load_dwordx4 v[18:21], v[6:7], off offset:16
	v_mul_f64 v[22:23], v[2:3], v[12:13]
	v_mul_f64 v[24:25], v[2:3], v[10:11]
	;; [unrolled: 1-line block ×4, first 2 shown]
	s_waitcnt vmcnt(1)
	v_fmac_f64_e32 v[22:23], v[4:5], v[14:15]
	v_fmac_f64_e32 v[24:25], v[4:5], v[16:17]
	s_waitcnt vmcnt(0)
	v_fmac_f64_e32 v[0:1], v[4:5], v[18:19]
	v_fmac_f64_e32 v[2:3], v[4:5], v[20:21]
	global_store_dwordx4 v[6:7], v[22:25], off
	global_store_dwordx4 v[6:7], v[0:3], off offset:16
.LBB38_23:
	s_endpgm
	.section	.rodata,"a",@progbits
	.p2align	6, 0x0
	.amdhsa_kernel _ZN9rocsparseL19gebsrmvn_4xn_kernelILj128ELj1ELj8EdEEvi20rocsparse_direction_NS_24const_host_device_scalarIT2_EEPKiS6_PKS3_S8_S4_PS3_21rocsparse_index_base_b
		.amdhsa_group_segment_fixed_size 0
		.amdhsa_private_segment_fixed_size 0
		.amdhsa_kernarg_size 72
		.amdhsa_user_sgpr_count 2
		.amdhsa_user_sgpr_dispatch_ptr 0
		.amdhsa_user_sgpr_queue_ptr 0
		.amdhsa_user_sgpr_kernarg_segment_ptr 1
		.amdhsa_user_sgpr_dispatch_id 0
		.amdhsa_user_sgpr_kernarg_preload_length 0
		.amdhsa_user_sgpr_kernarg_preload_offset 0
		.amdhsa_user_sgpr_private_segment_size 0
		.amdhsa_uses_dynamic_stack 0
		.amdhsa_enable_private_segment 0
		.amdhsa_system_sgpr_workgroup_id_x 1
		.amdhsa_system_sgpr_workgroup_id_y 0
		.amdhsa_system_sgpr_workgroup_id_z 0
		.amdhsa_system_sgpr_workgroup_info 0
		.amdhsa_system_vgpr_workitem_id 0
		.amdhsa_next_free_vgpr 34
		.amdhsa_next_free_sgpr 16
		.amdhsa_accum_offset 36
		.amdhsa_reserve_vcc 1
		.amdhsa_float_round_mode_32 0
		.amdhsa_float_round_mode_16_64 0
		.amdhsa_float_denorm_mode_32 3
		.amdhsa_float_denorm_mode_16_64 3
		.amdhsa_dx10_clamp 1
		.amdhsa_ieee_mode 1
		.amdhsa_fp16_overflow 0
		.amdhsa_tg_split 0
		.amdhsa_exception_fp_ieee_invalid_op 0
		.amdhsa_exception_fp_denorm_src 0
		.amdhsa_exception_fp_ieee_div_zero 0
		.amdhsa_exception_fp_ieee_overflow 0
		.amdhsa_exception_fp_ieee_underflow 0
		.amdhsa_exception_fp_ieee_inexact 0
		.amdhsa_exception_int_div_zero 0
	.end_amdhsa_kernel
	.section	.text._ZN9rocsparseL19gebsrmvn_4xn_kernelILj128ELj1ELj8EdEEvi20rocsparse_direction_NS_24const_host_device_scalarIT2_EEPKiS6_PKS3_S8_S4_PS3_21rocsparse_index_base_b,"axG",@progbits,_ZN9rocsparseL19gebsrmvn_4xn_kernelILj128ELj1ELj8EdEEvi20rocsparse_direction_NS_24const_host_device_scalarIT2_EEPKiS6_PKS3_S8_S4_PS3_21rocsparse_index_base_b,comdat
.Lfunc_end38:
	.size	_ZN9rocsparseL19gebsrmvn_4xn_kernelILj128ELj1ELj8EdEEvi20rocsparse_direction_NS_24const_host_device_scalarIT2_EEPKiS6_PKS3_S8_S4_PS3_21rocsparse_index_base_b, .Lfunc_end38-_ZN9rocsparseL19gebsrmvn_4xn_kernelILj128ELj1ELj8EdEEvi20rocsparse_direction_NS_24const_host_device_scalarIT2_EEPKiS6_PKS3_S8_S4_PS3_21rocsparse_index_base_b
                                        ; -- End function
	.set _ZN9rocsparseL19gebsrmvn_4xn_kernelILj128ELj1ELj8EdEEvi20rocsparse_direction_NS_24const_host_device_scalarIT2_EEPKiS6_PKS3_S8_S4_PS3_21rocsparse_index_base_b.num_vgpr, 34
	.set _ZN9rocsparseL19gebsrmvn_4xn_kernelILj128ELj1ELj8EdEEvi20rocsparse_direction_NS_24const_host_device_scalarIT2_EEPKiS6_PKS3_S8_S4_PS3_21rocsparse_index_base_b.num_agpr, 0
	.set _ZN9rocsparseL19gebsrmvn_4xn_kernelILj128ELj1ELj8EdEEvi20rocsparse_direction_NS_24const_host_device_scalarIT2_EEPKiS6_PKS3_S8_S4_PS3_21rocsparse_index_base_b.numbered_sgpr, 16
	.set _ZN9rocsparseL19gebsrmvn_4xn_kernelILj128ELj1ELj8EdEEvi20rocsparse_direction_NS_24const_host_device_scalarIT2_EEPKiS6_PKS3_S8_S4_PS3_21rocsparse_index_base_b.num_named_barrier, 0
	.set _ZN9rocsparseL19gebsrmvn_4xn_kernelILj128ELj1ELj8EdEEvi20rocsparse_direction_NS_24const_host_device_scalarIT2_EEPKiS6_PKS3_S8_S4_PS3_21rocsparse_index_base_b.private_seg_size, 0
	.set _ZN9rocsparseL19gebsrmvn_4xn_kernelILj128ELj1ELj8EdEEvi20rocsparse_direction_NS_24const_host_device_scalarIT2_EEPKiS6_PKS3_S8_S4_PS3_21rocsparse_index_base_b.uses_vcc, 1
	.set _ZN9rocsparseL19gebsrmvn_4xn_kernelILj128ELj1ELj8EdEEvi20rocsparse_direction_NS_24const_host_device_scalarIT2_EEPKiS6_PKS3_S8_S4_PS3_21rocsparse_index_base_b.uses_flat_scratch, 0
	.set _ZN9rocsparseL19gebsrmvn_4xn_kernelILj128ELj1ELj8EdEEvi20rocsparse_direction_NS_24const_host_device_scalarIT2_EEPKiS6_PKS3_S8_S4_PS3_21rocsparse_index_base_b.has_dyn_sized_stack, 0
	.set _ZN9rocsparseL19gebsrmvn_4xn_kernelILj128ELj1ELj8EdEEvi20rocsparse_direction_NS_24const_host_device_scalarIT2_EEPKiS6_PKS3_S8_S4_PS3_21rocsparse_index_base_b.has_recursion, 0
	.set _ZN9rocsparseL19gebsrmvn_4xn_kernelILj128ELj1ELj8EdEEvi20rocsparse_direction_NS_24const_host_device_scalarIT2_EEPKiS6_PKS3_S8_S4_PS3_21rocsparse_index_base_b.has_indirect_call, 0
	.section	.AMDGPU.csdata,"",@progbits
; Kernel info:
; codeLenInByte = 1096
; TotalNumSgprs: 22
; NumVgprs: 34
; NumAgprs: 0
; TotalNumVgprs: 34
; ScratchSize: 0
; MemoryBound: 0
; FloatMode: 240
; IeeeMode: 1
; LDSByteSize: 0 bytes/workgroup (compile time only)
; SGPRBlocks: 2
; VGPRBlocks: 4
; NumSGPRsForWavesPerEU: 22
; NumVGPRsForWavesPerEU: 34
; AccumOffset: 36
; Occupancy: 8
; WaveLimiterHint : 1
; COMPUTE_PGM_RSRC2:SCRATCH_EN: 0
; COMPUTE_PGM_RSRC2:USER_SGPR: 2
; COMPUTE_PGM_RSRC2:TRAP_HANDLER: 0
; COMPUTE_PGM_RSRC2:TGID_X_EN: 1
; COMPUTE_PGM_RSRC2:TGID_Y_EN: 0
; COMPUTE_PGM_RSRC2:TGID_Z_EN: 0
; COMPUTE_PGM_RSRC2:TIDIG_COMP_CNT: 0
; COMPUTE_PGM_RSRC3_GFX90A:ACCUM_OFFSET: 8
; COMPUTE_PGM_RSRC3_GFX90A:TG_SPLIT: 0
	.section	.text._ZN9rocsparseL19gebsrmvn_4xn_kernelILj128ELj1ELj16EdEEvi20rocsparse_direction_NS_24const_host_device_scalarIT2_EEPKiS6_PKS3_S8_S4_PS3_21rocsparse_index_base_b,"axG",@progbits,_ZN9rocsparseL19gebsrmvn_4xn_kernelILj128ELj1ELj16EdEEvi20rocsparse_direction_NS_24const_host_device_scalarIT2_EEPKiS6_PKS3_S8_S4_PS3_21rocsparse_index_base_b,comdat
	.globl	_ZN9rocsparseL19gebsrmvn_4xn_kernelILj128ELj1ELj16EdEEvi20rocsparse_direction_NS_24const_host_device_scalarIT2_EEPKiS6_PKS3_S8_S4_PS3_21rocsparse_index_base_b ; -- Begin function _ZN9rocsparseL19gebsrmvn_4xn_kernelILj128ELj1ELj16EdEEvi20rocsparse_direction_NS_24const_host_device_scalarIT2_EEPKiS6_PKS3_S8_S4_PS3_21rocsparse_index_base_b
	.p2align	8
	.type	_ZN9rocsparseL19gebsrmvn_4xn_kernelILj128ELj1ELj16EdEEvi20rocsparse_direction_NS_24const_host_device_scalarIT2_EEPKiS6_PKS3_S8_S4_PS3_21rocsparse_index_base_b,@function
_ZN9rocsparseL19gebsrmvn_4xn_kernelILj128ELj1ELj16EdEEvi20rocsparse_direction_NS_24const_host_device_scalarIT2_EEPKiS6_PKS3_S8_S4_PS3_21rocsparse_index_base_b: ; @_ZN9rocsparseL19gebsrmvn_4xn_kernelILj128ELj1ELj16EdEEvi20rocsparse_direction_NS_24const_host_device_scalarIT2_EEPKiS6_PKS3_S8_S4_PS3_21rocsparse_index_base_b
; %bb.0:
	s_load_dwordx2 s[12:13], s[0:1], 0x40
	s_load_dwordx2 s[8:9], s[0:1], 0x8
	;; [unrolled: 1-line block ×3, first 2 shown]
	s_waitcnt lgkmcnt(0)
	s_bitcmp1_b32 s13, 0
	s_cselect_b64 s[10:11], -1, 0
	s_xor_b64 s[6:7], s[10:11], -1
	s_and_b64 vcc, exec, s[10:11]
	v_mov_b64_e32 v[2:3], s[8:9]
	s_cbranch_vccnz .LBB39_2
; %bb.1:
	v_mov_b64_e32 v[2:3], s[8:9]
	flat_load_dwordx2 v[2:3], v[2:3]
.LBB39_2:
	s_andn2_b64 vcc, exec, s[6:7]
	v_mov_b64_e32 v[4:5], s[4:5]
	s_cbranch_vccnz .LBB39_4
; %bb.3:
	v_mov_b64_e32 v[4:5], s[4:5]
	flat_load_dwordx2 v[4:5], v[4:5]
.LBB39_4:
	s_waitcnt vmcnt(0) lgkmcnt(0)
	v_cmp_neq_f64_e32 vcc, 0, v[2:3]
	v_cmp_neq_f64_e64 s[4:5], 1.0, v[4:5]
	s_or_b64 s[4:5], vcc, s[4:5]
	s_and_saveexec_b64 s[6:7], s[4:5]
	s_cbranch_execz .LBB39_23
; %bb.5:
	s_load_dwordx2 s[14:15], s[0:1], 0x0
	v_lshrrev_b32_e32 v1, 4, v0
	v_lshl_or_b32 v6, s2, 3, v1
	s_waitcnt lgkmcnt(0)
	v_cmp_gt_i32_e32 vcc, s14, v6
	s_and_b64 exec, exec, vcc
	s_cbranch_execz .LBB39_23
; %bb.6:
	s_load_dwordx8 s[4:11], s[0:1], 0x10
	v_ashrrev_i32_e32 v7, 31, v6
	s_cmp_lg_u32 s15, 0
	s_waitcnt lgkmcnt(0)
	v_lshl_add_u64 v[8:9], v[6:7], 2, s[4:5]
	global_load_dwordx2 v[8:9], v[8:9], off
	v_and_b32_e32 v7, 15, v0
	s_waitcnt vmcnt(0)
	v_subrev_u32_e32 v0, s12, v8
	v_subrev_u32_e32 v20, s12, v9
	v_add_u32_e32 v14, v0, v7
	v_cmp_lt_i32_e64 s[2:3], v14, v20
	s_cbranch_scc0 .LBB39_12
; %bb.7:
	v_mov_b64_e32 v[10:11], 0
	v_mov_b64_e32 v[0:1], 0
	;; [unrolled: 1-line block ×4, first 2 shown]
	s_and_saveexec_b64 s[4:5], s[2:3]
	s_cbranch_execz .LBB39_11
; %bb.8:
	v_lshlrev_b32_e32 v16, 2, v14
	v_mov_b64_e32 v[10:11], 0
	s_mov_b64 s[14:15], 0
	v_mov_b32_e32 v17, 0
	v_mov_b32_e32 v18, v14
	v_mov_b64_e32 v[0:1], 0
	v_mov_b64_e32 v[8:9], 0
	;; [unrolled: 1-line block ×3, first 2 shown]
.LBB39_9:                               ; =>This Inner Loop Header: Depth=1
	v_ashrrev_i32_e32 v19, 31, v18
	v_lshl_add_u64 v[22:23], v[18:19], 2, s[6:7]
	global_load_dword v15, v[22:23], off
	v_lshl_add_u64 v[30:31], v[16:17], 3, s[8:9]
	v_mov_b32_e32 v33, v17
	global_load_dwordx4 v[22:25], v[30:31], off offset:16
	global_load_dwordx4 v[26:29], v[30:31], off
	v_add_u32_e32 v18, 16, v18
	v_cmp_ge_i32_e32 vcc, v18, v20
	v_add_u32_e32 v16, 64, v16
	s_or_b64 s[14:15], vcc, s[14:15]
	s_waitcnt vmcnt(2)
	v_subrev_u32_e32 v32, s12, v15
	v_lshl_add_u64 v[30:31], v[32:33], 3, s[10:11]
	global_load_dwordx2 v[30:31], v[30:31], off
	s_waitcnt vmcnt(0)
	v_fmac_f64_e32 v[10:11], v[26:27], v[30:31]
	v_fmac_f64_e32 v[12:13], v[28:29], v[30:31]
	;; [unrolled: 1-line block ×4, first 2 shown]
	s_andn2_b64 exec, exec, s[14:15]
	s_cbranch_execnz .LBB39_9
; %bb.10:
	s_or_b64 exec, exec, s[14:15]
.LBB39_11:
	s_or_b64 exec, exec, s[4:5]
	s_cbranch_execz .LBB39_13
	s_branch .LBB39_18
.LBB39_12:
                                        ; implicit-def: $vgpr10_vgpr11
                                        ; implicit-def: $vgpr0_vgpr1
                                        ; implicit-def: $vgpr8_vgpr9
                                        ; implicit-def: $vgpr12_vgpr13
.LBB39_13:
	v_mov_b64_e32 v[10:11], 0
	v_mov_b64_e32 v[0:1], 0
	;; [unrolled: 1-line block ×4, first 2 shown]
	s_and_saveexec_b64 s[4:5], s[2:3]
	s_cbranch_execz .LBB39_17
; %bb.14:
	v_lshlrev_b32_e32 v16, 2, v14
	v_mov_b64_e32 v[10:11], 0
	s_mov_b64 s[2:3], 0
	v_mov_b32_e32 v17, 0
	v_mov_b64_e32 v[0:1], 0
	v_mov_b64_e32 v[8:9], 0
	;; [unrolled: 1-line block ×3, first 2 shown]
.LBB39_15:                              ; =>This Inner Loop Header: Depth=1
	v_ashrrev_i32_e32 v15, 31, v14
	v_lshl_add_u64 v[18:19], v[14:15], 2, s[6:7]
	global_load_dword v15, v[18:19], off
	v_lshl_add_u64 v[18:19], v[16:17], 3, s[8:9]
	v_mov_b32_e32 v31, v17
	global_load_dwordx4 v[22:25], v[18:19], off offset:16
	global_load_dwordx4 v[26:29], v[18:19], off
	v_add_u32_e32 v14, 16, v14
	v_cmp_ge_i32_e32 vcc, v14, v20
	v_add_u32_e32 v16, 64, v16
	s_or_b64 s[2:3], vcc, s[2:3]
	s_waitcnt vmcnt(2)
	v_subrev_u32_e32 v30, s12, v15
	v_lshl_add_u64 v[18:19], v[30:31], 3, s[10:11]
	global_load_dwordx2 v[18:19], v[18:19], off
	s_waitcnt vmcnt(0)
	v_fmac_f64_e32 v[10:11], v[26:27], v[18:19]
	v_fmac_f64_e32 v[12:13], v[28:29], v[18:19]
	;; [unrolled: 1-line block ×4, first 2 shown]
	s_andn2_b64 exec, exec, s[2:3]
	s_cbranch_execnz .LBB39_15
; %bb.16:
	s_or_b64 exec, exec, s[2:3]
.LBB39_17:
	s_or_b64 exec, exec, s[4:5]
.LBB39_18:
	v_mov_b32_dpp v16, v12 row_shr:1 row_mask:0xf bank_mask:0xf
	v_mov_b32_dpp v17, v13 row_shr:1 row_mask:0xf bank_mask:0xf
	v_add_f64 v[12:13], v[12:13], v[16:17]
	v_mov_b32_dpp v14, v10 row_shr:1 row_mask:0xf bank_mask:0xf
	v_mov_b32_dpp v15, v11 row_shr:1 row_mask:0xf bank_mask:0xf
	;; [unrolled: 1-line block ×4, first 2 shown]
	v_add_f64 v[12:13], v[12:13], v[16:17]
	v_add_f64 v[10:11], v[10:11], v[14:15]
	v_cmp_eq_u32_e32 vcc, 15, v7
	v_mov_b32_dpp v16, v12 row_shr:4 row_mask:0xf bank_mask:0xe
	v_mov_b32_dpp v17, v13 row_shr:4 row_mask:0xf bank_mask:0xe
	v_add_f64 v[16:17], v[12:13], v[16:17]
	v_mov_b32_dpp v12, v8 row_shr:1 row_mask:0xf bank_mask:0xf
	v_mov_b32_dpp v13, v9 row_shr:1 row_mask:0xf bank_mask:0xf
	v_add_f64 v[8:9], v[8:9], v[12:13]
	v_mov_b32_dpp v14, v10 row_shr:2 row_mask:0xf bank_mask:0xf
	v_mov_b32_dpp v15, v11 row_shr:2 row_mask:0xf bank_mask:0xf
	;; [unrolled: 1-line block ×4, first 2 shown]
	v_add_f64 v[8:9], v[8:9], v[12:13]
	v_add_f64 v[10:11], v[10:11], v[14:15]
	v_mov_b32_dpp v18, v16 row_shr:8 row_mask:0xf bank_mask:0xc
	v_mov_b32_dpp v12, v8 row_shr:4 row_mask:0xf bank_mask:0xe
	;; [unrolled: 1-line block ×3, first 2 shown]
	v_add_f64 v[8:9], v[8:9], v[12:13]
	v_mov_b32_dpp v12, v0 row_shr:1 row_mask:0xf bank_mask:0xf
	v_mov_b32_dpp v13, v1 row_shr:1 row_mask:0xf bank_mask:0xf
	v_add_f64 v[0:1], v[0:1], v[12:13]
	v_mov_b32_dpp v14, v10 row_shr:4 row_mask:0xf bank_mask:0xe
	v_mov_b32_dpp v15, v11 row_shr:4 row_mask:0xf bank_mask:0xe
	v_mov_b32_dpp v12, v0 row_shr:2 row_mask:0xf bank_mask:0xf
	v_mov_b32_dpp v13, v1 row_shr:2 row_mask:0xf bank_mask:0xf
	v_add_f64 v[0:1], v[0:1], v[12:13]
	v_add_f64 v[10:11], v[10:11], v[14:15]
	v_mov_b32_dpp v19, v17 row_shr:8 row_mask:0xf bank_mask:0xc
	v_mov_b32_dpp v12, v0 row_shr:4 row_mask:0xf bank_mask:0xe
	;; [unrolled: 1-line block ×3, first 2 shown]
	v_add_f64 v[22:23], v[0:1], v[12:13]
	v_mov_b32_dpp v14, v10 row_shr:8 row_mask:0xf bank_mask:0xc
	v_mov_b32_dpp v15, v11 row_shr:8 row_mask:0xf bank_mask:0xc
	;; [unrolled: 1-line block ×6, first 2 shown]
	s_and_b64 exec, exec, vcc
	s_cbranch_execz .LBB39_23
; %bb.19:
	s_load_dwordx2 s[0:1], s[0:1], 0x38
	v_add_f64 v[12:13], v[10:11], v[14:15]
	v_add_f64 v[10:11], v[16:17], v[18:19]
	;; [unrolled: 1-line block ×4, first 2 shown]
	v_cmp_eq_f64_e32 vcc, 0, v[4:5]
	s_and_saveexec_b64 s[2:3], vcc
	s_xor_b64 s[2:3], exec, s[2:3]
	s_cbranch_execz .LBB39_21
; %bb.20:
	v_lshlrev_b32_e32 v6, 2, v6
	v_ashrrev_i32_e32 v7, 31, v6
	v_mul_f64 v[4:5], v[2:3], v[12:13]
	s_waitcnt lgkmcnt(0)
	v_lshl_add_u64 v[12:13], v[6:7], 3, s[0:1]
	v_mul_f64 v[6:7], v[2:3], v[10:11]
	v_mul_f64 v[0:1], v[2:3], v[0:1]
	;; [unrolled: 1-line block ×3, first 2 shown]
	global_store_dwordx4 v[12:13], v[4:7], off
	global_store_dwordx4 v[12:13], v[0:3], off offset:16
                                        ; implicit-def: $vgpr6
                                        ; implicit-def: $vgpr2_vgpr3
                                        ; implicit-def: $vgpr12_vgpr13
                                        ; implicit-def: $vgpr4_vgpr5
                                        ; implicit-def: $vgpr10_vgpr11
                                        ; implicit-def: $vgpr0_vgpr1
                                        ; implicit-def: $vgpr8_vgpr9
.LBB39_21:
	s_andn2_saveexec_b64 s[2:3], s[2:3]
	s_cbranch_execz .LBB39_23
; %bb.22:
	v_lshlrev_b32_e32 v6, 2, v6
	v_ashrrev_i32_e32 v7, 31, v6
	s_waitcnt lgkmcnt(0)
	v_lshl_add_u64 v[6:7], v[6:7], 3, s[0:1]
	global_load_dwordx4 v[14:17], v[6:7], off
	global_load_dwordx4 v[18:21], v[6:7], off offset:16
	v_mul_f64 v[22:23], v[2:3], v[12:13]
	v_mul_f64 v[24:25], v[2:3], v[10:11]
	;; [unrolled: 1-line block ×4, first 2 shown]
	s_waitcnt vmcnt(1)
	v_fmac_f64_e32 v[22:23], v[4:5], v[14:15]
	v_fmac_f64_e32 v[24:25], v[4:5], v[16:17]
	s_waitcnt vmcnt(0)
	v_fmac_f64_e32 v[0:1], v[4:5], v[18:19]
	v_fmac_f64_e32 v[2:3], v[4:5], v[20:21]
	global_store_dwordx4 v[6:7], v[22:25], off
	global_store_dwordx4 v[6:7], v[0:3], off offset:16
.LBB39_23:
	s_endpgm
	.section	.rodata,"a",@progbits
	.p2align	6, 0x0
	.amdhsa_kernel _ZN9rocsparseL19gebsrmvn_4xn_kernelILj128ELj1ELj16EdEEvi20rocsparse_direction_NS_24const_host_device_scalarIT2_EEPKiS6_PKS3_S8_S4_PS3_21rocsparse_index_base_b
		.amdhsa_group_segment_fixed_size 0
		.amdhsa_private_segment_fixed_size 0
		.amdhsa_kernarg_size 72
		.amdhsa_user_sgpr_count 2
		.amdhsa_user_sgpr_dispatch_ptr 0
		.amdhsa_user_sgpr_queue_ptr 0
		.amdhsa_user_sgpr_kernarg_segment_ptr 1
		.amdhsa_user_sgpr_dispatch_id 0
		.amdhsa_user_sgpr_kernarg_preload_length 0
		.amdhsa_user_sgpr_kernarg_preload_offset 0
		.amdhsa_user_sgpr_private_segment_size 0
		.amdhsa_uses_dynamic_stack 0
		.amdhsa_enable_private_segment 0
		.amdhsa_system_sgpr_workgroup_id_x 1
		.amdhsa_system_sgpr_workgroup_id_y 0
		.amdhsa_system_sgpr_workgroup_id_z 0
		.amdhsa_system_sgpr_workgroup_info 0
		.amdhsa_system_vgpr_workitem_id 0
		.amdhsa_next_free_vgpr 34
		.amdhsa_next_free_sgpr 16
		.amdhsa_accum_offset 36
		.amdhsa_reserve_vcc 1
		.amdhsa_float_round_mode_32 0
		.amdhsa_float_round_mode_16_64 0
		.amdhsa_float_denorm_mode_32 3
		.amdhsa_float_denorm_mode_16_64 3
		.amdhsa_dx10_clamp 1
		.amdhsa_ieee_mode 1
		.amdhsa_fp16_overflow 0
		.amdhsa_tg_split 0
		.amdhsa_exception_fp_ieee_invalid_op 0
		.amdhsa_exception_fp_denorm_src 0
		.amdhsa_exception_fp_ieee_div_zero 0
		.amdhsa_exception_fp_ieee_overflow 0
		.amdhsa_exception_fp_ieee_underflow 0
		.amdhsa_exception_fp_ieee_inexact 0
		.amdhsa_exception_int_div_zero 0
	.end_amdhsa_kernel
	.section	.text._ZN9rocsparseL19gebsrmvn_4xn_kernelILj128ELj1ELj16EdEEvi20rocsparse_direction_NS_24const_host_device_scalarIT2_EEPKiS6_PKS3_S8_S4_PS3_21rocsparse_index_base_b,"axG",@progbits,_ZN9rocsparseL19gebsrmvn_4xn_kernelILj128ELj1ELj16EdEEvi20rocsparse_direction_NS_24const_host_device_scalarIT2_EEPKiS6_PKS3_S8_S4_PS3_21rocsparse_index_base_b,comdat
.Lfunc_end39:
	.size	_ZN9rocsparseL19gebsrmvn_4xn_kernelILj128ELj1ELj16EdEEvi20rocsparse_direction_NS_24const_host_device_scalarIT2_EEPKiS6_PKS3_S8_S4_PS3_21rocsparse_index_base_b, .Lfunc_end39-_ZN9rocsparseL19gebsrmvn_4xn_kernelILj128ELj1ELj16EdEEvi20rocsparse_direction_NS_24const_host_device_scalarIT2_EEPKiS6_PKS3_S8_S4_PS3_21rocsparse_index_base_b
                                        ; -- End function
	.set _ZN9rocsparseL19gebsrmvn_4xn_kernelILj128ELj1ELj16EdEEvi20rocsparse_direction_NS_24const_host_device_scalarIT2_EEPKiS6_PKS3_S8_S4_PS3_21rocsparse_index_base_b.num_vgpr, 34
	.set _ZN9rocsparseL19gebsrmvn_4xn_kernelILj128ELj1ELj16EdEEvi20rocsparse_direction_NS_24const_host_device_scalarIT2_EEPKiS6_PKS3_S8_S4_PS3_21rocsparse_index_base_b.num_agpr, 0
	.set _ZN9rocsparseL19gebsrmvn_4xn_kernelILj128ELj1ELj16EdEEvi20rocsparse_direction_NS_24const_host_device_scalarIT2_EEPKiS6_PKS3_S8_S4_PS3_21rocsparse_index_base_b.numbered_sgpr, 16
	.set _ZN9rocsparseL19gebsrmvn_4xn_kernelILj128ELj1ELj16EdEEvi20rocsparse_direction_NS_24const_host_device_scalarIT2_EEPKiS6_PKS3_S8_S4_PS3_21rocsparse_index_base_b.num_named_barrier, 0
	.set _ZN9rocsparseL19gebsrmvn_4xn_kernelILj128ELj1ELj16EdEEvi20rocsparse_direction_NS_24const_host_device_scalarIT2_EEPKiS6_PKS3_S8_S4_PS3_21rocsparse_index_base_b.private_seg_size, 0
	.set _ZN9rocsparseL19gebsrmvn_4xn_kernelILj128ELj1ELj16EdEEvi20rocsparse_direction_NS_24const_host_device_scalarIT2_EEPKiS6_PKS3_S8_S4_PS3_21rocsparse_index_base_b.uses_vcc, 1
	.set _ZN9rocsparseL19gebsrmvn_4xn_kernelILj128ELj1ELj16EdEEvi20rocsparse_direction_NS_24const_host_device_scalarIT2_EEPKiS6_PKS3_S8_S4_PS3_21rocsparse_index_base_b.uses_flat_scratch, 0
	.set _ZN9rocsparseL19gebsrmvn_4xn_kernelILj128ELj1ELj16EdEEvi20rocsparse_direction_NS_24const_host_device_scalarIT2_EEPKiS6_PKS3_S8_S4_PS3_21rocsparse_index_base_b.has_dyn_sized_stack, 0
	.set _ZN9rocsparseL19gebsrmvn_4xn_kernelILj128ELj1ELj16EdEEvi20rocsparse_direction_NS_24const_host_device_scalarIT2_EEPKiS6_PKS3_S8_S4_PS3_21rocsparse_index_base_b.has_recursion, 0
	.set _ZN9rocsparseL19gebsrmvn_4xn_kernelILj128ELj1ELj16EdEEvi20rocsparse_direction_NS_24const_host_device_scalarIT2_EEPKiS6_PKS3_S8_S4_PS3_21rocsparse_index_base_b.has_indirect_call, 0
	.section	.AMDGPU.csdata,"",@progbits
; Kernel info:
; codeLenInByte = 1192
; TotalNumSgprs: 22
; NumVgprs: 34
; NumAgprs: 0
; TotalNumVgprs: 34
; ScratchSize: 0
; MemoryBound: 0
; FloatMode: 240
; IeeeMode: 1
; LDSByteSize: 0 bytes/workgroup (compile time only)
; SGPRBlocks: 2
; VGPRBlocks: 4
; NumSGPRsForWavesPerEU: 22
; NumVGPRsForWavesPerEU: 34
; AccumOffset: 36
; Occupancy: 8
; WaveLimiterHint : 1
; COMPUTE_PGM_RSRC2:SCRATCH_EN: 0
; COMPUTE_PGM_RSRC2:USER_SGPR: 2
; COMPUTE_PGM_RSRC2:TRAP_HANDLER: 0
; COMPUTE_PGM_RSRC2:TGID_X_EN: 1
; COMPUTE_PGM_RSRC2:TGID_Y_EN: 0
; COMPUTE_PGM_RSRC2:TGID_Z_EN: 0
; COMPUTE_PGM_RSRC2:TIDIG_COMP_CNT: 0
; COMPUTE_PGM_RSRC3_GFX90A:ACCUM_OFFSET: 8
; COMPUTE_PGM_RSRC3_GFX90A:TG_SPLIT: 0
	.section	.text._ZN9rocsparseL19gebsrmvn_4xn_kernelILj128ELj1ELj32EdEEvi20rocsparse_direction_NS_24const_host_device_scalarIT2_EEPKiS6_PKS3_S8_S4_PS3_21rocsparse_index_base_b,"axG",@progbits,_ZN9rocsparseL19gebsrmvn_4xn_kernelILj128ELj1ELj32EdEEvi20rocsparse_direction_NS_24const_host_device_scalarIT2_EEPKiS6_PKS3_S8_S4_PS3_21rocsparse_index_base_b,comdat
	.globl	_ZN9rocsparseL19gebsrmvn_4xn_kernelILj128ELj1ELj32EdEEvi20rocsparse_direction_NS_24const_host_device_scalarIT2_EEPKiS6_PKS3_S8_S4_PS3_21rocsparse_index_base_b ; -- Begin function _ZN9rocsparseL19gebsrmvn_4xn_kernelILj128ELj1ELj32EdEEvi20rocsparse_direction_NS_24const_host_device_scalarIT2_EEPKiS6_PKS3_S8_S4_PS3_21rocsparse_index_base_b
	.p2align	8
	.type	_ZN9rocsparseL19gebsrmvn_4xn_kernelILj128ELj1ELj32EdEEvi20rocsparse_direction_NS_24const_host_device_scalarIT2_EEPKiS6_PKS3_S8_S4_PS3_21rocsparse_index_base_b,@function
_ZN9rocsparseL19gebsrmvn_4xn_kernelILj128ELj1ELj32EdEEvi20rocsparse_direction_NS_24const_host_device_scalarIT2_EEPKiS6_PKS3_S8_S4_PS3_21rocsparse_index_base_b: ; @_ZN9rocsparseL19gebsrmvn_4xn_kernelILj128ELj1ELj32EdEEvi20rocsparse_direction_NS_24const_host_device_scalarIT2_EEPKiS6_PKS3_S8_S4_PS3_21rocsparse_index_base_b
; %bb.0:
	s_load_dwordx2 s[12:13], s[0:1], 0x40
	s_load_dwordx2 s[8:9], s[0:1], 0x8
	;; [unrolled: 1-line block ×3, first 2 shown]
	s_waitcnt lgkmcnt(0)
	s_bitcmp1_b32 s13, 0
	s_cselect_b64 s[10:11], -1, 0
	s_xor_b64 s[6:7], s[10:11], -1
	s_and_b64 vcc, exec, s[10:11]
	v_mov_b64_e32 v[2:3], s[8:9]
	s_cbranch_vccnz .LBB40_2
; %bb.1:
	v_mov_b64_e32 v[2:3], s[8:9]
	flat_load_dwordx2 v[2:3], v[2:3]
.LBB40_2:
	s_andn2_b64 vcc, exec, s[6:7]
	v_mov_b64_e32 v[4:5], s[4:5]
	s_cbranch_vccnz .LBB40_4
; %bb.3:
	v_mov_b64_e32 v[4:5], s[4:5]
	flat_load_dwordx2 v[4:5], v[4:5]
.LBB40_4:
	s_waitcnt vmcnt(0) lgkmcnt(0)
	v_cmp_neq_f64_e32 vcc, 0, v[2:3]
	v_cmp_neq_f64_e64 s[4:5], 1.0, v[4:5]
	s_or_b64 s[4:5], vcc, s[4:5]
	s_and_saveexec_b64 s[6:7], s[4:5]
	s_cbranch_execz .LBB40_23
; %bb.5:
	s_load_dwordx2 s[14:15], s[0:1], 0x0
	v_lshrrev_b32_e32 v1, 5, v0
	v_lshl_or_b32 v6, s2, 2, v1
	s_waitcnt lgkmcnt(0)
	v_cmp_gt_i32_e32 vcc, s14, v6
	s_and_b64 exec, exec, vcc
	s_cbranch_execz .LBB40_23
; %bb.6:
	s_load_dwordx8 s[4:11], s[0:1], 0x10
	v_ashrrev_i32_e32 v7, 31, v6
	s_cmp_lg_u32 s15, 0
	s_waitcnt lgkmcnt(0)
	v_lshl_add_u64 v[8:9], v[6:7], 2, s[4:5]
	global_load_dwordx2 v[8:9], v[8:9], off
	v_and_b32_e32 v7, 31, v0
	s_waitcnt vmcnt(0)
	v_subrev_u32_e32 v0, s12, v8
	v_subrev_u32_e32 v20, s12, v9
	v_add_u32_e32 v14, v0, v7
	v_cmp_lt_i32_e64 s[2:3], v14, v20
	s_cbranch_scc0 .LBB40_12
; %bb.7:
	v_mov_b64_e32 v[10:11], 0
	v_mov_b64_e32 v[0:1], 0
	;; [unrolled: 1-line block ×4, first 2 shown]
	s_and_saveexec_b64 s[4:5], s[2:3]
	s_cbranch_execz .LBB40_11
; %bb.8:
	v_lshlrev_b32_e32 v16, 2, v14
	v_mov_b64_e32 v[10:11], 0
	s_mov_b64 s[14:15], 0
	v_mov_b32_e32 v17, 0
	v_mov_b32_e32 v18, v14
	v_mov_b64_e32 v[0:1], 0
	v_mov_b64_e32 v[8:9], 0
	v_mov_b64_e32 v[12:13], 0
.LBB40_9:                               ; =>This Inner Loop Header: Depth=1
	v_ashrrev_i32_e32 v19, 31, v18
	v_lshl_add_u64 v[22:23], v[18:19], 2, s[6:7]
	global_load_dword v15, v[22:23], off
	v_lshl_add_u64 v[30:31], v[16:17], 3, s[8:9]
	v_mov_b32_e32 v33, v17
	global_load_dwordx4 v[22:25], v[30:31], off offset:16
	global_load_dwordx4 v[26:29], v[30:31], off
	v_add_u32_e32 v18, 32, v18
	v_cmp_ge_i32_e32 vcc, v18, v20
	v_add_u32_e32 v16, 0x80, v16
	s_or_b64 s[14:15], vcc, s[14:15]
	s_waitcnt vmcnt(2)
	v_subrev_u32_e32 v32, s12, v15
	v_lshl_add_u64 v[30:31], v[32:33], 3, s[10:11]
	global_load_dwordx2 v[30:31], v[30:31], off
	s_waitcnt vmcnt(0)
	v_fmac_f64_e32 v[10:11], v[26:27], v[30:31]
	v_fmac_f64_e32 v[12:13], v[28:29], v[30:31]
	;; [unrolled: 1-line block ×4, first 2 shown]
	s_andn2_b64 exec, exec, s[14:15]
	s_cbranch_execnz .LBB40_9
; %bb.10:
	s_or_b64 exec, exec, s[14:15]
.LBB40_11:
	s_or_b64 exec, exec, s[4:5]
	s_cbranch_execz .LBB40_13
	s_branch .LBB40_18
.LBB40_12:
                                        ; implicit-def: $vgpr10_vgpr11
                                        ; implicit-def: $vgpr0_vgpr1
                                        ; implicit-def: $vgpr8_vgpr9
                                        ; implicit-def: $vgpr12_vgpr13
.LBB40_13:
	v_mov_b64_e32 v[10:11], 0
	v_mov_b64_e32 v[0:1], 0
	;; [unrolled: 1-line block ×4, first 2 shown]
	s_and_saveexec_b64 s[4:5], s[2:3]
	s_cbranch_execz .LBB40_17
; %bb.14:
	v_lshlrev_b32_e32 v16, 2, v14
	v_mov_b64_e32 v[10:11], 0
	s_mov_b64 s[2:3], 0
	v_mov_b32_e32 v17, 0
	v_mov_b64_e32 v[0:1], 0
	v_mov_b64_e32 v[8:9], 0
	;; [unrolled: 1-line block ×3, first 2 shown]
.LBB40_15:                              ; =>This Inner Loop Header: Depth=1
	v_ashrrev_i32_e32 v15, 31, v14
	v_lshl_add_u64 v[18:19], v[14:15], 2, s[6:7]
	global_load_dword v15, v[18:19], off
	v_lshl_add_u64 v[18:19], v[16:17], 3, s[8:9]
	v_mov_b32_e32 v31, v17
	global_load_dwordx4 v[22:25], v[18:19], off offset:16
	global_load_dwordx4 v[26:29], v[18:19], off
	v_add_u32_e32 v14, 32, v14
	v_cmp_ge_i32_e32 vcc, v14, v20
	v_add_u32_e32 v16, 0x80, v16
	s_or_b64 s[2:3], vcc, s[2:3]
	s_waitcnt vmcnt(2)
	v_subrev_u32_e32 v30, s12, v15
	v_lshl_add_u64 v[18:19], v[30:31], 3, s[10:11]
	global_load_dwordx2 v[18:19], v[18:19], off
	s_waitcnt vmcnt(0)
	v_fmac_f64_e32 v[10:11], v[26:27], v[18:19]
	v_fmac_f64_e32 v[12:13], v[28:29], v[18:19]
	;; [unrolled: 1-line block ×4, first 2 shown]
	s_andn2_b64 exec, exec, s[2:3]
	s_cbranch_execnz .LBB40_15
; %bb.16:
	s_or_b64 exec, exec, s[2:3]
.LBB40_17:
	s_or_b64 exec, exec, s[4:5]
.LBB40_18:
	v_mov_b32_dpp v16, v12 row_shr:1 row_mask:0xf bank_mask:0xf
	v_mov_b32_dpp v17, v13 row_shr:1 row_mask:0xf bank_mask:0xf
	v_add_f64 v[12:13], v[12:13], v[16:17]
	v_mov_b32_dpp v14, v10 row_shr:1 row_mask:0xf bank_mask:0xf
	v_mov_b32_dpp v15, v11 row_shr:1 row_mask:0xf bank_mask:0xf
	;; [unrolled: 1-line block ×4, first 2 shown]
	v_add_f64 v[12:13], v[12:13], v[16:17]
	v_add_f64 v[10:11], v[10:11], v[14:15]
	v_cmp_eq_u32_e32 vcc, 31, v7
	v_mov_b32_dpp v16, v12 row_shr:4 row_mask:0xf bank_mask:0xe
	v_mov_b32_dpp v17, v13 row_shr:4 row_mask:0xf bank_mask:0xe
	v_add_f64 v[12:13], v[12:13], v[16:17]
	v_mov_b32_dpp v14, v10 row_shr:2 row_mask:0xf bank_mask:0xf
	v_mov_b32_dpp v15, v11 row_shr:2 row_mask:0xf bank_mask:0xf
	;; [unrolled: 1-line block ×4, first 2 shown]
	v_add_f64 v[16:17], v[12:13], v[16:17]
	v_mov_b32_dpp v12, v8 row_shr:1 row_mask:0xf bank_mask:0xf
	v_mov_b32_dpp v13, v9 row_shr:1 row_mask:0xf bank_mask:0xf
	v_add_f64 v[8:9], v[8:9], v[12:13]
	v_add_f64 v[10:11], v[10:11], v[14:15]
	v_mov_b32_dpp v18, v16 row_bcast:15 row_mask:0xa bank_mask:0xf
	v_mov_b32_dpp v12, v8 row_shr:2 row_mask:0xf bank_mask:0xf
	v_mov_b32_dpp v13, v9 row_shr:2 row_mask:0xf bank_mask:0xf
	v_add_f64 v[8:9], v[8:9], v[12:13]
	v_mov_b32_dpp v14, v10 row_shr:4 row_mask:0xf bank_mask:0xe
	v_mov_b32_dpp v15, v11 row_shr:4 row_mask:0xf bank_mask:0xe
	;; [unrolled: 1-line block ×4, first 2 shown]
	v_add_f64 v[8:9], v[8:9], v[12:13]
	v_add_f64 v[10:11], v[10:11], v[14:15]
	v_mov_b32_dpp v19, v17 row_bcast:15 row_mask:0xa bank_mask:0xf
	v_mov_b32_dpp v12, v8 row_shr:8 row_mask:0xf bank_mask:0xc
	v_mov_b32_dpp v13, v9 row_shr:8 row_mask:0xf bank_mask:0xc
	v_add_f64 v[8:9], v[8:9], v[12:13]
	v_mov_b32_dpp v12, v0 row_shr:1 row_mask:0xf bank_mask:0xf
	v_mov_b32_dpp v13, v1 row_shr:1 row_mask:0xf bank_mask:0xf
	v_add_f64 v[0:1], v[0:1], v[12:13]
	v_mov_b32_dpp v14, v10 row_shr:8 row_mask:0xf bank_mask:0xc
	v_mov_b32_dpp v15, v11 row_shr:8 row_mask:0xf bank_mask:0xc
	;; [unrolled: 1-line block ×4, first 2 shown]
	v_add_f64 v[0:1], v[0:1], v[12:13]
	v_add_f64 v[10:11], v[10:11], v[14:15]
	v_mov_b32_dpp v20, v8 row_bcast:15 row_mask:0xa bank_mask:0xf
	v_mov_b32_dpp v12, v0 row_shr:4 row_mask:0xf bank_mask:0xe
	v_mov_b32_dpp v13, v1 row_shr:4 row_mask:0xf bank_mask:0xe
	v_add_f64 v[0:1], v[0:1], v[12:13]
	v_mov_b32_dpp v14, v10 row_bcast:15 row_mask:0xa bank_mask:0xf
	v_mov_b32_dpp v15, v11 row_bcast:15 row_mask:0xa bank_mask:0xf
	v_mov_b32_dpp v12, v0 row_shr:8 row_mask:0xf bank_mask:0xc
	v_mov_b32_dpp v13, v1 row_shr:8 row_mask:0xf bank_mask:0xc
	v_add_f64 v[22:23], v[0:1], v[12:13]
	v_mov_b32_dpp v21, v9 row_bcast:15 row_mask:0xa bank_mask:0xf
	s_nop 0
	v_mov_b32_dpp v24, v22 row_bcast:15 row_mask:0xa bank_mask:0xf
	v_mov_b32_dpp v25, v23 row_bcast:15 row_mask:0xa bank_mask:0xf
	s_and_b64 exec, exec, vcc
	s_cbranch_execz .LBB40_23
; %bb.19:
	s_load_dwordx2 s[0:1], s[0:1], 0x38
	v_add_f64 v[12:13], v[10:11], v[14:15]
	v_add_f64 v[10:11], v[16:17], v[18:19]
	;; [unrolled: 1-line block ×4, first 2 shown]
	v_cmp_eq_f64_e32 vcc, 0, v[4:5]
	s_and_saveexec_b64 s[2:3], vcc
	s_xor_b64 s[2:3], exec, s[2:3]
	s_cbranch_execz .LBB40_21
; %bb.20:
	v_lshlrev_b32_e32 v6, 2, v6
	v_ashrrev_i32_e32 v7, 31, v6
	v_mul_f64 v[4:5], v[2:3], v[12:13]
	s_waitcnt lgkmcnt(0)
	v_lshl_add_u64 v[12:13], v[6:7], 3, s[0:1]
	v_mul_f64 v[6:7], v[2:3], v[10:11]
	v_mul_f64 v[0:1], v[2:3], v[0:1]
	;; [unrolled: 1-line block ×3, first 2 shown]
	global_store_dwordx4 v[12:13], v[4:7], off
	global_store_dwordx4 v[12:13], v[0:3], off offset:16
                                        ; implicit-def: $vgpr6
                                        ; implicit-def: $vgpr2_vgpr3
                                        ; implicit-def: $vgpr12_vgpr13
                                        ; implicit-def: $vgpr4_vgpr5
                                        ; implicit-def: $vgpr10_vgpr11
                                        ; implicit-def: $vgpr0_vgpr1
                                        ; implicit-def: $vgpr8_vgpr9
.LBB40_21:
	s_andn2_saveexec_b64 s[2:3], s[2:3]
	s_cbranch_execz .LBB40_23
; %bb.22:
	v_lshlrev_b32_e32 v6, 2, v6
	v_ashrrev_i32_e32 v7, 31, v6
	s_waitcnt lgkmcnt(0)
	v_lshl_add_u64 v[6:7], v[6:7], 3, s[0:1]
	global_load_dwordx4 v[14:17], v[6:7], off
	global_load_dwordx4 v[18:21], v[6:7], off offset:16
	v_mul_f64 v[22:23], v[2:3], v[12:13]
	v_mul_f64 v[24:25], v[2:3], v[10:11]
	;; [unrolled: 1-line block ×4, first 2 shown]
	s_waitcnt vmcnt(1)
	v_fmac_f64_e32 v[22:23], v[4:5], v[14:15]
	v_fmac_f64_e32 v[24:25], v[4:5], v[16:17]
	s_waitcnt vmcnt(0)
	v_fmac_f64_e32 v[0:1], v[4:5], v[18:19]
	v_fmac_f64_e32 v[2:3], v[4:5], v[20:21]
	global_store_dwordx4 v[6:7], v[22:25], off
	global_store_dwordx4 v[6:7], v[0:3], off offset:16
.LBB40_23:
	s_endpgm
	.section	.rodata,"a",@progbits
	.p2align	6, 0x0
	.amdhsa_kernel _ZN9rocsparseL19gebsrmvn_4xn_kernelILj128ELj1ELj32EdEEvi20rocsparse_direction_NS_24const_host_device_scalarIT2_EEPKiS6_PKS3_S8_S4_PS3_21rocsparse_index_base_b
		.amdhsa_group_segment_fixed_size 0
		.amdhsa_private_segment_fixed_size 0
		.amdhsa_kernarg_size 72
		.amdhsa_user_sgpr_count 2
		.amdhsa_user_sgpr_dispatch_ptr 0
		.amdhsa_user_sgpr_queue_ptr 0
		.amdhsa_user_sgpr_kernarg_segment_ptr 1
		.amdhsa_user_sgpr_dispatch_id 0
		.amdhsa_user_sgpr_kernarg_preload_length 0
		.amdhsa_user_sgpr_kernarg_preload_offset 0
		.amdhsa_user_sgpr_private_segment_size 0
		.amdhsa_uses_dynamic_stack 0
		.amdhsa_enable_private_segment 0
		.amdhsa_system_sgpr_workgroup_id_x 1
		.amdhsa_system_sgpr_workgroup_id_y 0
		.amdhsa_system_sgpr_workgroup_id_z 0
		.amdhsa_system_sgpr_workgroup_info 0
		.amdhsa_system_vgpr_workitem_id 0
		.amdhsa_next_free_vgpr 34
		.amdhsa_next_free_sgpr 16
		.amdhsa_accum_offset 36
		.amdhsa_reserve_vcc 1
		.amdhsa_float_round_mode_32 0
		.amdhsa_float_round_mode_16_64 0
		.amdhsa_float_denorm_mode_32 3
		.amdhsa_float_denorm_mode_16_64 3
		.amdhsa_dx10_clamp 1
		.amdhsa_ieee_mode 1
		.amdhsa_fp16_overflow 0
		.amdhsa_tg_split 0
		.amdhsa_exception_fp_ieee_invalid_op 0
		.amdhsa_exception_fp_denorm_src 0
		.amdhsa_exception_fp_ieee_div_zero 0
		.amdhsa_exception_fp_ieee_overflow 0
		.amdhsa_exception_fp_ieee_underflow 0
		.amdhsa_exception_fp_ieee_inexact 0
		.amdhsa_exception_int_div_zero 0
	.end_amdhsa_kernel
	.section	.text._ZN9rocsparseL19gebsrmvn_4xn_kernelILj128ELj1ELj32EdEEvi20rocsparse_direction_NS_24const_host_device_scalarIT2_EEPKiS6_PKS3_S8_S4_PS3_21rocsparse_index_base_b,"axG",@progbits,_ZN9rocsparseL19gebsrmvn_4xn_kernelILj128ELj1ELj32EdEEvi20rocsparse_direction_NS_24const_host_device_scalarIT2_EEPKiS6_PKS3_S8_S4_PS3_21rocsparse_index_base_b,comdat
.Lfunc_end40:
	.size	_ZN9rocsparseL19gebsrmvn_4xn_kernelILj128ELj1ELj32EdEEvi20rocsparse_direction_NS_24const_host_device_scalarIT2_EEPKiS6_PKS3_S8_S4_PS3_21rocsparse_index_base_b, .Lfunc_end40-_ZN9rocsparseL19gebsrmvn_4xn_kernelILj128ELj1ELj32EdEEvi20rocsparse_direction_NS_24const_host_device_scalarIT2_EEPKiS6_PKS3_S8_S4_PS3_21rocsparse_index_base_b
                                        ; -- End function
	.set _ZN9rocsparseL19gebsrmvn_4xn_kernelILj128ELj1ELj32EdEEvi20rocsparse_direction_NS_24const_host_device_scalarIT2_EEPKiS6_PKS3_S8_S4_PS3_21rocsparse_index_base_b.num_vgpr, 34
	.set _ZN9rocsparseL19gebsrmvn_4xn_kernelILj128ELj1ELj32EdEEvi20rocsparse_direction_NS_24const_host_device_scalarIT2_EEPKiS6_PKS3_S8_S4_PS3_21rocsparse_index_base_b.num_agpr, 0
	.set _ZN9rocsparseL19gebsrmvn_4xn_kernelILj128ELj1ELj32EdEEvi20rocsparse_direction_NS_24const_host_device_scalarIT2_EEPKiS6_PKS3_S8_S4_PS3_21rocsparse_index_base_b.numbered_sgpr, 16
	.set _ZN9rocsparseL19gebsrmvn_4xn_kernelILj128ELj1ELj32EdEEvi20rocsparse_direction_NS_24const_host_device_scalarIT2_EEPKiS6_PKS3_S8_S4_PS3_21rocsparse_index_base_b.num_named_barrier, 0
	.set _ZN9rocsparseL19gebsrmvn_4xn_kernelILj128ELj1ELj32EdEEvi20rocsparse_direction_NS_24const_host_device_scalarIT2_EEPKiS6_PKS3_S8_S4_PS3_21rocsparse_index_base_b.private_seg_size, 0
	.set _ZN9rocsparseL19gebsrmvn_4xn_kernelILj128ELj1ELj32EdEEvi20rocsparse_direction_NS_24const_host_device_scalarIT2_EEPKiS6_PKS3_S8_S4_PS3_21rocsparse_index_base_b.uses_vcc, 1
	.set _ZN9rocsparseL19gebsrmvn_4xn_kernelILj128ELj1ELj32EdEEvi20rocsparse_direction_NS_24const_host_device_scalarIT2_EEPKiS6_PKS3_S8_S4_PS3_21rocsparse_index_base_b.uses_flat_scratch, 0
	.set _ZN9rocsparseL19gebsrmvn_4xn_kernelILj128ELj1ELj32EdEEvi20rocsparse_direction_NS_24const_host_device_scalarIT2_EEPKiS6_PKS3_S8_S4_PS3_21rocsparse_index_base_b.has_dyn_sized_stack, 0
	.set _ZN9rocsparseL19gebsrmvn_4xn_kernelILj128ELj1ELj32EdEEvi20rocsparse_direction_NS_24const_host_device_scalarIT2_EEPKiS6_PKS3_S8_S4_PS3_21rocsparse_index_base_b.has_recursion, 0
	.set _ZN9rocsparseL19gebsrmvn_4xn_kernelILj128ELj1ELj32EdEEvi20rocsparse_direction_NS_24const_host_device_scalarIT2_EEPKiS6_PKS3_S8_S4_PS3_21rocsparse_index_base_b.has_indirect_call, 0
	.section	.AMDGPU.csdata,"",@progbits
; Kernel info:
; codeLenInByte = 1300
; TotalNumSgprs: 22
; NumVgprs: 34
; NumAgprs: 0
; TotalNumVgprs: 34
; ScratchSize: 0
; MemoryBound: 0
; FloatMode: 240
; IeeeMode: 1
; LDSByteSize: 0 bytes/workgroup (compile time only)
; SGPRBlocks: 2
; VGPRBlocks: 4
; NumSGPRsForWavesPerEU: 22
; NumVGPRsForWavesPerEU: 34
; AccumOffset: 36
; Occupancy: 8
; WaveLimiterHint : 1
; COMPUTE_PGM_RSRC2:SCRATCH_EN: 0
; COMPUTE_PGM_RSRC2:USER_SGPR: 2
; COMPUTE_PGM_RSRC2:TRAP_HANDLER: 0
; COMPUTE_PGM_RSRC2:TGID_X_EN: 1
; COMPUTE_PGM_RSRC2:TGID_Y_EN: 0
; COMPUTE_PGM_RSRC2:TGID_Z_EN: 0
; COMPUTE_PGM_RSRC2:TIDIG_COMP_CNT: 0
; COMPUTE_PGM_RSRC3_GFX90A:ACCUM_OFFSET: 8
; COMPUTE_PGM_RSRC3_GFX90A:TG_SPLIT: 0
	.section	.text._ZN9rocsparseL19gebsrmvn_4xn_kernelILj128ELj1ELj64EdEEvi20rocsparse_direction_NS_24const_host_device_scalarIT2_EEPKiS6_PKS3_S8_S4_PS3_21rocsparse_index_base_b,"axG",@progbits,_ZN9rocsparseL19gebsrmvn_4xn_kernelILj128ELj1ELj64EdEEvi20rocsparse_direction_NS_24const_host_device_scalarIT2_EEPKiS6_PKS3_S8_S4_PS3_21rocsparse_index_base_b,comdat
	.globl	_ZN9rocsparseL19gebsrmvn_4xn_kernelILj128ELj1ELj64EdEEvi20rocsparse_direction_NS_24const_host_device_scalarIT2_EEPKiS6_PKS3_S8_S4_PS3_21rocsparse_index_base_b ; -- Begin function _ZN9rocsparseL19gebsrmvn_4xn_kernelILj128ELj1ELj64EdEEvi20rocsparse_direction_NS_24const_host_device_scalarIT2_EEPKiS6_PKS3_S8_S4_PS3_21rocsparse_index_base_b
	.p2align	8
	.type	_ZN9rocsparseL19gebsrmvn_4xn_kernelILj128ELj1ELj64EdEEvi20rocsparse_direction_NS_24const_host_device_scalarIT2_EEPKiS6_PKS3_S8_S4_PS3_21rocsparse_index_base_b,@function
_ZN9rocsparseL19gebsrmvn_4xn_kernelILj128ELj1ELj64EdEEvi20rocsparse_direction_NS_24const_host_device_scalarIT2_EEPKiS6_PKS3_S8_S4_PS3_21rocsparse_index_base_b: ; @_ZN9rocsparseL19gebsrmvn_4xn_kernelILj128ELj1ELj64EdEEvi20rocsparse_direction_NS_24const_host_device_scalarIT2_EEPKiS6_PKS3_S8_S4_PS3_21rocsparse_index_base_b
; %bb.0:
	s_load_dwordx2 s[12:13], s[0:1], 0x40
	s_load_dwordx2 s[8:9], s[0:1], 0x8
	;; [unrolled: 1-line block ×3, first 2 shown]
	s_waitcnt lgkmcnt(0)
	s_bitcmp1_b32 s13, 0
	s_cselect_b64 s[10:11], -1, 0
	s_xor_b64 s[6:7], s[10:11], -1
	s_and_b64 vcc, exec, s[10:11]
	v_mov_b64_e32 v[2:3], s[8:9]
	s_cbranch_vccnz .LBB41_2
; %bb.1:
	v_mov_b64_e32 v[2:3], s[8:9]
	flat_load_dwordx2 v[2:3], v[2:3]
.LBB41_2:
	s_andn2_b64 vcc, exec, s[6:7]
	v_mov_b64_e32 v[4:5], s[4:5]
	s_cbranch_vccnz .LBB41_4
; %bb.3:
	v_mov_b64_e32 v[4:5], s[4:5]
	flat_load_dwordx2 v[4:5], v[4:5]
.LBB41_4:
	s_waitcnt vmcnt(0) lgkmcnt(0)
	v_cmp_neq_f64_e32 vcc, 0, v[2:3]
	v_cmp_neq_f64_e64 s[4:5], 1.0, v[4:5]
	s_or_b64 s[4:5], vcc, s[4:5]
	s_and_saveexec_b64 s[6:7], s[4:5]
	s_cbranch_execz .LBB41_23
; %bb.5:
	s_load_dwordx2 s[14:15], s[0:1], 0x0
	v_lshrrev_b32_e32 v1, 6, v0
	v_lshl_or_b32 v6, s2, 1, v1
	s_waitcnt lgkmcnt(0)
	v_cmp_gt_i32_e32 vcc, s14, v6
	s_and_b64 exec, exec, vcc
	s_cbranch_execz .LBB41_23
; %bb.6:
	s_load_dwordx8 s[4:11], s[0:1], 0x10
	v_ashrrev_i32_e32 v7, 31, v6
	s_cmp_lg_u32 s15, 0
	s_waitcnt lgkmcnt(0)
	v_lshl_add_u64 v[8:9], v[6:7], 2, s[4:5]
	global_load_dwordx2 v[8:9], v[8:9], off
	v_and_b32_e32 v7, 63, v0
	s_waitcnt vmcnt(0)
	v_subrev_u32_e32 v0, s12, v8
	v_subrev_u32_e32 v20, s12, v9
	v_add_u32_e32 v14, v0, v7
	v_cmp_lt_i32_e64 s[2:3], v14, v20
	s_cbranch_scc0 .LBB41_12
; %bb.7:
	v_mov_b64_e32 v[10:11], 0
	v_mov_b64_e32 v[0:1], 0
	;; [unrolled: 1-line block ×4, first 2 shown]
	s_and_saveexec_b64 s[4:5], s[2:3]
	s_cbranch_execz .LBB41_11
; %bb.8:
	v_lshlrev_b32_e32 v16, 2, v14
	v_mov_b64_e32 v[10:11], 0
	s_mov_b64 s[14:15], 0
	v_mov_b32_e32 v17, 0
	v_mov_b32_e32 v18, v14
	v_mov_b64_e32 v[0:1], 0
	v_mov_b64_e32 v[8:9], 0
	;; [unrolled: 1-line block ×3, first 2 shown]
.LBB41_9:                               ; =>This Inner Loop Header: Depth=1
	v_ashrrev_i32_e32 v19, 31, v18
	v_lshl_add_u64 v[22:23], v[18:19], 2, s[6:7]
	global_load_dword v15, v[22:23], off
	v_lshl_add_u64 v[30:31], v[16:17], 3, s[8:9]
	v_mov_b32_e32 v33, v17
	global_load_dwordx4 v[22:25], v[30:31], off offset:16
	global_load_dwordx4 v[26:29], v[30:31], off
	v_add_u32_e32 v18, 64, v18
	v_cmp_ge_i32_e32 vcc, v18, v20
	v_add_u32_e32 v16, 0x100, v16
	s_or_b64 s[14:15], vcc, s[14:15]
	s_waitcnt vmcnt(2)
	v_subrev_u32_e32 v32, s12, v15
	v_lshl_add_u64 v[30:31], v[32:33], 3, s[10:11]
	global_load_dwordx2 v[30:31], v[30:31], off
	s_waitcnt vmcnt(0)
	v_fmac_f64_e32 v[10:11], v[26:27], v[30:31]
	v_fmac_f64_e32 v[12:13], v[28:29], v[30:31]
	;; [unrolled: 1-line block ×4, first 2 shown]
	s_andn2_b64 exec, exec, s[14:15]
	s_cbranch_execnz .LBB41_9
; %bb.10:
	s_or_b64 exec, exec, s[14:15]
.LBB41_11:
	s_or_b64 exec, exec, s[4:5]
	s_cbranch_execz .LBB41_13
	s_branch .LBB41_18
.LBB41_12:
                                        ; implicit-def: $vgpr10_vgpr11
                                        ; implicit-def: $vgpr0_vgpr1
                                        ; implicit-def: $vgpr8_vgpr9
                                        ; implicit-def: $vgpr12_vgpr13
.LBB41_13:
	v_mov_b64_e32 v[10:11], 0
	v_mov_b64_e32 v[0:1], 0
	;; [unrolled: 1-line block ×4, first 2 shown]
	s_and_saveexec_b64 s[4:5], s[2:3]
	s_cbranch_execz .LBB41_17
; %bb.14:
	v_lshlrev_b32_e32 v16, 2, v14
	v_mov_b64_e32 v[10:11], 0
	s_mov_b64 s[2:3], 0
	v_mov_b32_e32 v17, 0
	v_mov_b64_e32 v[0:1], 0
	v_mov_b64_e32 v[8:9], 0
	;; [unrolled: 1-line block ×3, first 2 shown]
.LBB41_15:                              ; =>This Inner Loop Header: Depth=1
	v_ashrrev_i32_e32 v15, 31, v14
	v_lshl_add_u64 v[18:19], v[14:15], 2, s[6:7]
	global_load_dword v15, v[18:19], off
	v_lshl_add_u64 v[18:19], v[16:17], 3, s[8:9]
	v_mov_b32_e32 v31, v17
	global_load_dwordx4 v[22:25], v[18:19], off offset:16
	global_load_dwordx4 v[26:29], v[18:19], off
	v_add_u32_e32 v14, 64, v14
	v_cmp_ge_i32_e32 vcc, v14, v20
	v_add_u32_e32 v16, 0x100, v16
	s_or_b64 s[2:3], vcc, s[2:3]
	s_waitcnt vmcnt(2)
	v_subrev_u32_e32 v30, s12, v15
	v_lshl_add_u64 v[18:19], v[30:31], 3, s[10:11]
	global_load_dwordx2 v[18:19], v[18:19], off
	s_waitcnt vmcnt(0)
	v_fmac_f64_e32 v[10:11], v[26:27], v[18:19]
	v_fmac_f64_e32 v[12:13], v[28:29], v[18:19]
	;; [unrolled: 1-line block ×4, first 2 shown]
	s_andn2_b64 exec, exec, s[2:3]
	s_cbranch_execnz .LBB41_15
; %bb.16:
	s_or_b64 exec, exec, s[2:3]
.LBB41_17:
	s_or_b64 exec, exec, s[4:5]
.LBB41_18:
	v_mov_b32_dpp v14, v10 row_shr:1 row_mask:0xf bank_mask:0xf
	v_mov_b32_dpp v15, v11 row_shr:1 row_mask:0xf bank_mask:0xf
	v_mov_b32_dpp v16, v12 row_shr:1 row_mask:0xf bank_mask:0xf
	v_mov_b32_dpp v17, v13 row_shr:1 row_mask:0xf bank_mask:0xf
	v_mov_b32_dpp v18, v8 row_shr:1 row_mask:0xf bank_mask:0xf
	v_mov_b32_dpp v19, v9 row_shr:1 row_mask:0xf bank_mask:0xf
	v_mov_b32_dpp v20, v0 row_shr:1 row_mask:0xf bank_mask:0xf
	v_mov_b32_dpp v21, v1 row_shr:1 row_mask:0xf bank_mask:0xf
	v_add_f64 v[10:11], v[10:11], v[14:15]
	v_add_f64 v[12:13], v[12:13], v[16:17]
	v_add_f64 v[8:9], v[8:9], v[18:19]
	v_add_f64 v[0:1], v[0:1], v[20:21]
	v_mov_b32_dpp v14, v10 row_shr:2 row_mask:0xf bank_mask:0xf
	v_mov_b32_dpp v15, v11 row_shr:2 row_mask:0xf bank_mask:0xf
	v_mov_b32_dpp v16, v12 row_shr:2 row_mask:0xf bank_mask:0xf
	v_mov_b32_dpp v17, v13 row_shr:2 row_mask:0xf bank_mask:0xf
	v_mov_b32_dpp v18, v8 row_shr:2 row_mask:0xf bank_mask:0xf
	v_mov_b32_dpp v19, v9 row_shr:2 row_mask:0xf bank_mask:0xf
	v_mov_b32_dpp v20, v0 row_shr:2 row_mask:0xf bank_mask:0xf
	v_mov_b32_dpp v21, v1 row_shr:2 row_mask:0xf bank_mask:0xf
	v_add_f64 v[10:11], v[10:11], v[14:15]
	v_add_f64 v[12:13], v[12:13], v[16:17]
	v_add_f64 v[8:9], v[8:9], v[18:19]
	v_add_f64 v[0:1], v[0:1], v[20:21]
	;; [unrolled: 12-line block ×4, first 2 shown]
	v_mov_b32_dpp v14, v10 row_bcast:15 row_mask:0xa bank_mask:0xf
	v_mov_b32_dpp v15, v11 row_bcast:15 row_mask:0xa bank_mask:0xf
	;; [unrolled: 1-line block ×8, first 2 shown]
	v_add_f64 v[10:11], v[10:11], v[14:15]
	v_add_f64 v[12:13], v[12:13], v[16:17]
	;; [unrolled: 1-line block ×4, first 2 shown]
	v_mov_b32_dpp v14, v10 row_bcast:31 row_mask:0xc bank_mask:0xf
	v_mov_b32_dpp v15, v11 row_bcast:31 row_mask:0xc bank_mask:0xf
	;; [unrolled: 1-line block ×8, first 2 shown]
	v_cmp_eq_u32_e32 vcc, 63, v7
	s_and_b64 exec, exec, vcc
	s_cbranch_execz .LBB41_23
; %bb.19:
	s_load_dwordx2 s[0:1], s[0:1], 0x38
	v_add_f64 v[14:15], v[10:11], v[14:15]
	v_add_f64 v[10:11], v[12:13], v[16:17]
	v_add_f64 v[0:1], v[8:9], v[18:19]
	v_add_f64 v[8:9], v[20:21], v[22:23]
	v_cmp_eq_f64_e32 vcc, 0, v[4:5]
	s_and_saveexec_b64 s[2:3], vcc
	s_xor_b64 s[2:3], exec, s[2:3]
	s_cbranch_execz .LBB41_21
; %bb.20:
	v_lshlrev_b32_e32 v6, 2, v6
	v_ashrrev_i32_e32 v7, 31, v6
	v_mul_f64 v[4:5], v[2:3], v[14:15]
	s_waitcnt lgkmcnt(0)
	v_lshl_add_u64 v[12:13], v[6:7], 3, s[0:1]
	v_mul_f64 v[6:7], v[2:3], v[10:11]
	v_mul_f64 v[0:1], v[2:3], v[0:1]
	;; [unrolled: 1-line block ×3, first 2 shown]
	global_store_dwordx4 v[12:13], v[4:7], off
	global_store_dwordx4 v[12:13], v[0:3], off offset:16
                                        ; implicit-def: $vgpr6
                                        ; implicit-def: $vgpr2_vgpr3
                                        ; implicit-def: $vgpr14_vgpr15
                                        ; implicit-def: $vgpr4_vgpr5
                                        ; implicit-def: $vgpr10_vgpr11
                                        ; implicit-def: $vgpr0_vgpr1
                                        ; implicit-def: $vgpr8_vgpr9
.LBB41_21:
	s_andn2_saveexec_b64 s[2:3], s[2:3]
	s_cbranch_execz .LBB41_23
; %bb.22:
	v_lshlrev_b32_e32 v6, 2, v6
	v_ashrrev_i32_e32 v7, 31, v6
	s_waitcnt lgkmcnt(0)
	v_lshl_add_u64 v[6:7], v[6:7], 3, s[0:1]
	global_load_dwordx4 v[16:19], v[6:7], off
	global_load_dwordx4 v[20:23], v[6:7], off offset:16
	v_mul_f64 v[12:13], v[2:3], v[14:15]
	v_mul_f64 v[14:15], v[2:3], v[10:11]
	v_mul_f64 v[0:1], v[2:3], v[0:1]
	v_mul_f64 v[2:3], v[2:3], v[8:9]
	s_waitcnt vmcnt(1)
	v_fmac_f64_e32 v[12:13], v[4:5], v[16:17]
	v_fmac_f64_e32 v[14:15], v[4:5], v[18:19]
	s_waitcnt vmcnt(0)
	v_fmac_f64_e32 v[0:1], v[4:5], v[20:21]
	v_fmac_f64_e32 v[2:3], v[4:5], v[22:23]
	global_store_dwordx4 v[6:7], v[12:15], off
	global_store_dwordx4 v[6:7], v[0:3], off offset:16
.LBB41_23:
	s_endpgm
	.section	.rodata,"a",@progbits
	.p2align	6, 0x0
	.amdhsa_kernel _ZN9rocsparseL19gebsrmvn_4xn_kernelILj128ELj1ELj64EdEEvi20rocsparse_direction_NS_24const_host_device_scalarIT2_EEPKiS6_PKS3_S8_S4_PS3_21rocsparse_index_base_b
		.amdhsa_group_segment_fixed_size 0
		.amdhsa_private_segment_fixed_size 0
		.amdhsa_kernarg_size 72
		.amdhsa_user_sgpr_count 2
		.amdhsa_user_sgpr_dispatch_ptr 0
		.amdhsa_user_sgpr_queue_ptr 0
		.amdhsa_user_sgpr_kernarg_segment_ptr 1
		.amdhsa_user_sgpr_dispatch_id 0
		.amdhsa_user_sgpr_kernarg_preload_length 0
		.amdhsa_user_sgpr_kernarg_preload_offset 0
		.amdhsa_user_sgpr_private_segment_size 0
		.amdhsa_uses_dynamic_stack 0
		.amdhsa_enable_private_segment 0
		.amdhsa_system_sgpr_workgroup_id_x 1
		.amdhsa_system_sgpr_workgroup_id_y 0
		.amdhsa_system_sgpr_workgroup_id_z 0
		.amdhsa_system_sgpr_workgroup_info 0
		.amdhsa_system_vgpr_workitem_id 0
		.amdhsa_next_free_vgpr 34
		.amdhsa_next_free_sgpr 16
		.amdhsa_accum_offset 36
		.amdhsa_reserve_vcc 1
		.amdhsa_float_round_mode_32 0
		.amdhsa_float_round_mode_16_64 0
		.amdhsa_float_denorm_mode_32 3
		.amdhsa_float_denorm_mode_16_64 3
		.amdhsa_dx10_clamp 1
		.amdhsa_ieee_mode 1
		.amdhsa_fp16_overflow 0
		.amdhsa_tg_split 0
		.amdhsa_exception_fp_ieee_invalid_op 0
		.amdhsa_exception_fp_denorm_src 0
		.amdhsa_exception_fp_ieee_div_zero 0
		.amdhsa_exception_fp_ieee_overflow 0
		.amdhsa_exception_fp_ieee_underflow 0
		.amdhsa_exception_fp_ieee_inexact 0
		.amdhsa_exception_int_div_zero 0
	.end_amdhsa_kernel
	.section	.text._ZN9rocsparseL19gebsrmvn_4xn_kernelILj128ELj1ELj64EdEEvi20rocsparse_direction_NS_24const_host_device_scalarIT2_EEPKiS6_PKS3_S8_S4_PS3_21rocsparse_index_base_b,"axG",@progbits,_ZN9rocsparseL19gebsrmvn_4xn_kernelILj128ELj1ELj64EdEEvi20rocsparse_direction_NS_24const_host_device_scalarIT2_EEPKiS6_PKS3_S8_S4_PS3_21rocsparse_index_base_b,comdat
.Lfunc_end41:
	.size	_ZN9rocsparseL19gebsrmvn_4xn_kernelILj128ELj1ELj64EdEEvi20rocsparse_direction_NS_24const_host_device_scalarIT2_EEPKiS6_PKS3_S8_S4_PS3_21rocsparse_index_base_b, .Lfunc_end41-_ZN9rocsparseL19gebsrmvn_4xn_kernelILj128ELj1ELj64EdEEvi20rocsparse_direction_NS_24const_host_device_scalarIT2_EEPKiS6_PKS3_S8_S4_PS3_21rocsparse_index_base_b
                                        ; -- End function
	.set _ZN9rocsparseL19gebsrmvn_4xn_kernelILj128ELj1ELj64EdEEvi20rocsparse_direction_NS_24const_host_device_scalarIT2_EEPKiS6_PKS3_S8_S4_PS3_21rocsparse_index_base_b.num_vgpr, 34
	.set _ZN9rocsparseL19gebsrmvn_4xn_kernelILj128ELj1ELj64EdEEvi20rocsparse_direction_NS_24const_host_device_scalarIT2_EEPKiS6_PKS3_S8_S4_PS3_21rocsparse_index_base_b.num_agpr, 0
	.set _ZN9rocsparseL19gebsrmvn_4xn_kernelILj128ELj1ELj64EdEEvi20rocsparse_direction_NS_24const_host_device_scalarIT2_EEPKiS6_PKS3_S8_S4_PS3_21rocsparse_index_base_b.numbered_sgpr, 16
	.set _ZN9rocsparseL19gebsrmvn_4xn_kernelILj128ELj1ELj64EdEEvi20rocsparse_direction_NS_24const_host_device_scalarIT2_EEPKiS6_PKS3_S8_S4_PS3_21rocsparse_index_base_b.num_named_barrier, 0
	.set _ZN9rocsparseL19gebsrmvn_4xn_kernelILj128ELj1ELj64EdEEvi20rocsparse_direction_NS_24const_host_device_scalarIT2_EEPKiS6_PKS3_S8_S4_PS3_21rocsparse_index_base_b.private_seg_size, 0
	.set _ZN9rocsparseL19gebsrmvn_4xn_kernelILj128ELj1ELj64EdEEvi20rocsparse_direction_NS_24const_host_device_scalarIT2_EEPKiS6_PKS3_S8_S4_PS3_21rocsparse_index_base_b.uses_vcc, 1
	.set _ZN9rocsparseL19gebsrmvn_4xn_kernelILj128ELj1ELj64EdEEvi20rocsparse_direction_NS_24const_host_device_scalarIT2_EEPKiS6_PKS3_S8_S4_PS3_21rocsparse_index_base_b.uses_flat_scratch, 0
	.set _ZN9rocsparseL19gebsrmvn_4xn_kernelILj128ELj1ELj64EdEEvi20rocsparse_direction_NS_24const_host_device_scalarIT2_EEPKiS6_PKS3_S8_S4_PS3_21rocsparse_index_base_b.has_dyn_sized_stack, 0
	.set _ZN9rocsparseL19gebsrmvn_4xn_kernelILj128ELj1ELj64EdEEvi20rocsparse_direction_NS_24const_host_device_scalarIT2_EEPKiS6_PKS3_S8_S4_PS3_21rocsparse_index_base_b.has_recursion, 0
	.set _ZN9rocsparseL19gebsrmvn_4xn_kernelILj128ELj1ELj64EdEEvi20rocsparse_direction_NS_24const_host_device_scalarIT2_EEPKiS6_PKS3_S8_S4_PS3_21rocsparse_index_base_b.has_indirect_call, 0
	.section	.AMDGPU.csdata,"",@progbits
; Kernel info:
; codeLenInByte = 1392
; TotalNumSgprs: 22
; NumVgprs: 34
; NumAgprs: 0
; TotalNumVgprs: 34
; ScratchSize: 0
; MemoryBound: 0
; FloatMode: 240
; IeeeMode: 1
; LDSByteSize: 0 bytes/workgroup (compile time only)
; SGPRBlocks: 2
; VGPRBlocks: 4
; NumSGPRsForWavesPerEU: 22
; NumVGPRsForWavesPerEU: 34
; AccumOffset: 36
; Occupancy: 8
; WaveLimiterHint : 1
; COMPUTE_PGM_RSRC2:SCRATCH_EN: 0
; COMPUTE_PGM_RSRC2:USER_SGPR: 2
; COMPUTE_PGM_RSRC2:TRAP_HANDLER: 0
; COMPUTE_PGM_RSRC2:TGID_X_EN: 1
; COMPUTE_PGM_RSRC2:TGID_Y_EN: 0
; COMPUTE_PGM_RSRC2:TGID_Z_EN: 0
; COMPUTE_PGM_RSRC2:TIDIG_COMP_CNT: 0
; COMPUTE_PGM_RSRC3_GFX90A:ACCUM_OFFSET: 8
; COMPUTE_PGM_RSRC3_GFX90A:TG_SPLIT: 0
	.section	.text._ZN9rocsparseL19gebsrmvn_4xn_kernelILj128ELj2ELj4EdEEvi20rocsparse_direction_NS_24const_host_device_scalarIT2_EEPKiS6_PKS3_S8_S4_PS3_21rocsparse_index_base_b,"axG",@progbits,_ZN9rocsparseL19gebsrmvn_4xn_kernelILj128ELj2ELj4EdEEvi20rocsparse_direction_NS_24const_host_device_scalarIT2_EEPKiS6_PKS3_S8_S4_PS3_21rocsparse_index_base_b,comdat
	.globl	_ZN9rocsparseL19gebsrmvn_4xn_kernelILj128ELj2ELj4EdEEvi20rocsparse_direction_NS_24const_host_device_scalarIT2_EEPKiS6_PKS3_S8_S4_PS3_21rocsparse_index_base_b ; -- Begin function _ZN9rocsparseL19gebsrmvn_4xn_kernelILj128ELj2ELj4EdEEvi20rocsparse_direction_NS_24const_host_device_scalarIT2_EEPKiS6_PKS3_S8_S4_PS3_21rocsparse_index_base_b
	.p2align	8
	.type	_ZN9rocsparseL19gebsrmvn_4xn_kernelILj128ELj2ELj4EdEEvi20rocsparse_direction_NS_24const_host_device_scalarIT2_EEPKiS6_PKS3_S8_S4_PS3_21rocsparse_index_base_b,@function
_ZN9rocsparseL19gebsrmvn_4xn_kernelILj128ELj2ELj4EdEEvi20rocsparse_direction_NS_24const_host_device_scalarIT2_EEPKiS6_PKS3_S8_S4_PS3_21rocsparse_index_base_b: ; @_ZN9rocsparseL19gebsrmvn_4xn_kernelILj128ELj2ELj4EdEEvi20rocsparse_direction_NS_24const_host_device_scalarIT2_EEPKiS6_PKS3_S8_S4_PS3_21rocsparse_index_base_b
; %bb.0:
	s_load_dwordx2 s[12:13], s[0:1], 0x40
	s_load_dwordx2 s[8:9], s[0:1], 0x8
	;; [unrolled: 1-line block ×3, first 2 shown]
	s_waitcnt lgkmcnt(0)
	s_bitcmp1_b32 s13, 0
	s_cselect_b64 s[10:11], -1, 0
	s_xor_b64 s[6:7], s[10:11], -1
	s_and_b64 vcc, exec, s[10:11]
	v_mov_b64_e32 v[2:3], s[8:9]
	s_cbranch_vccnz .LBB42_2
; %bb.1:
	v_mov_b64_e32 v[2:3], s[8:9]
	flat_load_dwordx2 v[2:3], v[2:3]
.LBB42_2:
	s_andn2_b64 vcc, exec, s[6:7]
	v_mov_b64_e32 v[4:5], s[4:5]
	s_cbranch_vccnz .LBB42_4
; %bb.3:
	v_mov_b64_e32 v[4:5], s[4:5]
	flat_load_dwordx2 v[4:5], v[4:5]
.LBB42_4:
	s_waitcnt vmcnt(0) lgkmcnt(0)
	v_cmp_neq_f64_e32 vcc, 0, v[2:3]
	v_cmp_neq_f64_e64 s[4:5], 1.0, v[4:5]
	s_or_b64 s[4:5], vcc, s[4:5]
	s_and_saveexec_b64 s[6:7], s[4:5]
	s_cbranch_execz .LBB42_23
; %bb.5:
	s_load_dwordx2 s[14:15], s[0:1], 0x0
	v_lshrrev_b32_e32 v1, 2, v0
	v_lshl_or_b32 v6, s2, 5, v1
	s_waitcnt lgkmcnt(0)
	v_cmp_gt_i32_e32 vcc, s14, v6
	s_and_b64 exec, exec, vcc
	s_cbranch_execz .LBB42_23
; %bb.6:
	s_load_dwordx8 s[4:11], s[0:1], 0x10
	v_ashrrev_i32_e32 v7, 31, v6
	s_cmp_lg_u32 s15, 0
	s_waitcnt lgkmcnt(0)
	v_lshl_add_u64 v[8:9], v[6:7], 2, s[4:5]
	global_load_dwordx2 v[8:9], v[8:9], off
	v_and_b32_e32 v7, 3, v0
	s_waitcnt vmcnt(0)
	v_subrev_u32_e32 v0, s12, v8
	v_subrev_u32_e32 v20, s12, v9
	v_add_u32_e32 v12, v0, v7
	v_cmp_lt_i32_e64 s[2:3], v12, v20
	s_cbranch_scc0 .LBB42_12
; %bb.7:
	v_mov_b64_e32 v[8:9], 0
	v_mov_b64_e32 v[0:1], 0
	;; [unrolled: 1-line block ×4, first 2 shown]
	s_and_saveexec_b64 s[4:5], s[2:3]
	s_cbranch_execz .LBB42_11
; %bb.8:
	v_lshlrev_b32_e32 v16, 3, v12
	v_mov_b64_e32 v[8:9], 0
	s_mov_b64 s[14:15], 0
	v_mov_b32_e32 v17, 0
	v_mov_b32_e32 v18, v12
	v_mov_b64_e32 v[0:1], 0
	v_mov_b64_e32 v[10:11], 0
	;; [unrolled: 1-line block ×3, first 2 shown]
.LBB42_9:                               ; =>This Inner Loop Header: Depth=1
	v_ashrrev_i32_e32 v19, 31, v18
	v_lshl_add_u64 v[22:23], v[18:19], 2, s[6:7]
	global_load_dword v13, v[22:23], off
	v_lshl_add_u64 v[42:43], v[16:17], 3, s[8:9]
	v_mov_b32_e32 v35, v17
	global_load_dwordx4 v[22:25], v[42:43], off offset:32
	global_load_dwordx4 v[26:29], v[42:43], off offset:16
	global_load_dwordx4 v[30:33], v[42:43], off
	v_add_u32_e32 v18, 4, v18
	v_cmp_ge_i32_e32 vcc, v18, v20
	v_add_u32_e32 v16, 32, v16
	s_or_b64 s[14:15], vcc, s[14:15]
	s_waitcnt vmcnt(3)
	v_subrev_u32_e32 v13, s12, v13
	v_lshlrev_b32_e32 v34, 1, v13
	v_lshl_add_u64 v[44:45], v[34:35], 3, s[10:11]
	global_load_dwordx4 v[34:37], v[44:45], off
	global_load_dwordx4 v[38:41], v[42:43], off offset:48
	s_waitcnt vmcnt(1)
	v_fmac_f64_e32 v[8:9], v[30:31], v[34:35]
	v_fmac_f64_e32 v[14:15], v[32:33], v[34:35]
	;; [unrolled: 1-line block ×6, first 2 shown]
	s_waitcnt vmcnt(0)
	v_fmac_f64_e32 v[10:11], v[38:39], v[36:37]
	v_fmac_f64_e32 v[0:1], v[40:41], v[36:37]
	s_andn2_b64 exec, exec, s[14:15]
	s_cbranch_execnz .LBB42_9
; %bb.10:
	s_or_b64 exec, exec, s[14:15]
.LBB42_11:
	s_or_b64 exec, exec, s[4:5]
	s_cbranch_execz .LBB42_13
	s_branch .LBB42_18
.LBB42_12:
                                        ; implicit-def: $vgpr8_vgpr9
                                        ; implicit-def: $vgpr0_vgpr1
                                        ; implicit-def: $vgpr10_vgpr11
                                        ; implicit-def: $vgpr14_vgpr15
.LBB42_13:
	v_mov_b64_e32 v[8:9], 0
	v_mov_b64_e32 v[0:1], 0
	;; [unrolled: 1-line block ×4, first 2 shown]
	s_and_saveexec_b64 s[4:5], s[2:3]
	s_cbranch_execz .LBB42_17
; %bb.14:
	v_lshlrev_b32_e32 v16, 3, v12
	v_mov_b64_e32 v[8:9], 0
	s_mov_b64 s[2:3], 0
	v_mov_b32_e32 v17, 0
	v_mov_b64_e32 v[0:1], 0
	v_mov_b64_e32 v[10:11], 0
	;; [unrolled: 1-line block ×3, first 2 shown]
.LBB42_15:                              ; =>This Inner Loop Header: Depth=1
	v_ashrrev_i32_e32 v13, 31, v12
	v_lshl_add_u64 v[18:19], v[12:13], 2, s[6:7]
	global_load_dword v13, v[18:19], off
	v_lshl_add_u64 v[18:19], v[16:17], 3, s[8:9]
	v_mov_b32_e32 v39, v17
	global_load_dwordx4 v[22:25], v[18:19], off offset:48
	global_load_dwordx4 v[26:29], v[18:19], off offset:32
	;; [unrolled: 1-line block ×3, first 2 shown]
	global_load_dwordx4 v[34:37], v[18:19], off
	v_add_u32_e32 v12, 4, v12
	v_cmp_ge_i32_e32 vcc, v12, v20
	v_add_u32_e32 v16, 32, v16
	s_or_b64 s[2:3], vcc, s[2:3]
	s_waitcnt vmcnt(4)
	v_subrev_u32_e32 v13, s12, v13
	v_lshlrev_b32_e32 v38, 1, v13
	v_lshl_add_u64 v[18:19], v[38:39], 3, s[10:11]
	global_load_dwordx4 v[38:41], v[18:19], off
	s_waitcnt vmcnt(0)
	v_fmac_f64_e32 v[8:9], v[34:35], v[38:39]
	v_fmac_f64_e32 v[14:15], v[30:31], v[38:39]
	;; [unrolled: 1-line block ×8, first 2 shown]
	s_andn2_b64 exec, exec, s[2:3]
	s_cbranch_execnz .LBB42_15
; %bb.16:
	s_or_b64 exec, exec, s[2:3]
.LBB42_17:
	s_or_b64 exec, exec, s[4:5]
.LBB42_18:
	v_mov_b32_dpp v18, v10 row_shr:1 row_mask:0xf bank_mask:0xf
	v_mov_b32_dpp v19, v11 row_shr:1 row_mask:0xf bank_mask:0xf
	;; [unrolled: 1-line block ×6, first 2 shown]
	v_add_f64 v[18:19], v[10:11], v[18:19]
	v_mov_b32_dpp v10, v0 row_shr:1 row_mask:0xf bank_mask:0xf
	v_mov_b32_dpp v11, v1 row_shr:1 row_mask:0xf bank_mask:0xf
	v_add_f64 v[8:9], v[8:9], v[12:13]
	v_add_f64 v[14:15], v[14:15], v[16:17]
	;; [unrolled: 1-line block ×3, first 2 shown]
	v_mov_b32_dpp v12, v8 row_shr:2 row_mask:0xf bank_mask:0xf
	v_mov_b32_dpp v13, v9 row_shr:2 row_mask:0xf bank_mask:0xf
	v_mov_b32_dpp v16, v14 row_shr:2 row_mask:0xf bank_mask:0xf
	v_mov_b32_dpp v17, v15 row_shr:2 row_mask:0xf bank_mask:0xf
	v_mov_b32_dpp v20, v18 row_shr:2 row_mask:0xf bank_mask:0xf
	v_mov_b32_dpp v21, v19 row_shr:2 row_mask:0xf bank_mask:0xf
	v_mov_b32_dpp v24, v22 row_shr:2 row_mask:0xf bank_mask:0xf
	v_mov_b32_dpp v25, v23 row_shr:2 row_mask:0xf bank_mask:0xf
	v_cmp_eq_u32_e32 vcc, 3, v7
	s_and_b64 exec, exec, vcc
	s_cbranch_execz .LBB42_23
; %bb.19:
	s_load_dwordx2 s[0:1], s[0:1], 0x38
	v_add_f64 v[12:13], v[8:9], v[12:13]
	v_add_f64 v[10:11], v[14:15], v[16:17]
	;; [unrolled: 1-line block ×4, first 2 shown]
	v_cmp_eq_f64_e32 vcc, 0, v[4:5]
	s_and_saveexec_b64 s[2:3], vcc
	s_xor_b64 s[2:3], exec, s[2:3]
	s_cbranch_execz .LBB42_21
; %bb.20:
	v_lshlrev_b32_e32 v6, 2, v6
	v_ashrrev_i32_e32 v7, 31, v6
	v_mul_f64 v[4:5], v[2:3], v[12:13]
	s_waitcnt lgkmcnt(0)
	v_lshl_add_u64 v[12:13], v[6:7], 3, s[0:1]
	v_mul_f64 v[6:7], v[2:3], v[10:11]
	v_mul_f64 v[0:1], v[2:3], v[0:1]
	;; [unrolled: 1-line block ×3, first 2 shown]
	global_store_dwordx4 v[12:13], v[4:7], off
	global_store_dwordx4 v[12:13], v[0:3], off offset:16
                                        ; implicit-def: $vgpr6
                                        ; implicit-def: $vgpr2_vgpr3
                                        ; implicit-def: $vgpr12_vgpr13
                                        ; implicit-def: $vgpr4_vgpr5
                                        ; implicit-def: $vgpr10_vgpr11
                                        ; implicit-def: $vgpr0_vgpr1
                                        ; implicit-def: $vgpr8_vgpr9
.LBB42_21:
	s_andn2_saveexec_b64 s[2:3], s[2:3]
	s_cbranch_execz .LBB42_23
; %bb.22:
	v_lshlrev_b32_e32 v6, 2, v6
	v_ashrrev_i32_e32 v7, 31, v6
	s_waitcnt lgkmcnt(0)
	v_lshl_add_u64 v[6:7], v[6:7], 3, s[0:1]
	global_load_dwordx4 v[14:17], v[6:7], off
	global_load_dwordx4 v[18:21], v[6:7], off offset:16
	v_mul_f64 v[22:23], v[2:3], v[12:13]
	v_mul_f64 v[24:25], v[2:3], v[10:11]
	;; [unrolled: 1-line block ×4, first 2 shown]
	s_waitcnt vmcnt(1)
	v_fmac_f64_e32 v[22:23], v[4:5], v[14:15]
	v_fmac_f64_e32 v[24:25], v[4:5], v[16:17]
	s_waitcnt vmcnt(0)
	v_fmac_f64_e32 v[0:1], v[4:5], v[18:19]
	v_fmac_f64_e32 v[2:3], v[4:5], v[20:21]
	global_store_dwordx4 v[6:7], v[22:25], off
	global_store_dwordx4 v[6:7], v[0:3], off offset:16
.LBB42_23:
	s_endpgm
	.section	.rodata,"a",@progbits
	.p2align	6, 0x0
	.amdhsa_kernel _ZN9rocsparseL19gebsrmvn_4xn_kernelILj128ELj2ELj4EdEEvi20rocsparse_direction_NS_24const_host_device_scalarIT2_EEPKiS6_PKS3_S8_S4_PS3_21rocsparse_index_base_b
		.amdhsa_group_segment_fixed_size 0
		.amdhsa_private_segment_fixed_size 0
		.amdhsa_kernarg_size 72
		.amdhsa_user_sgpr_count 2
		.amdhsa_user_sgpr_dispatch_ptr 0
		.amdhsa_user_sgpr_queue_ptr 0
		.amdhsa_user_sgpr_kernarg_segment_ptr 1
		.amdhsa_user_sgpr_dispatch_id 0
		.amdhsa_user_sgpr_kernarg_preload_length 0
		.amdhsa_user_sgpr_kernarg_preload_offset 0
		.amdhsa_user_sgpr_private_segment_size 0
		.amdhsa_uses_dynamic_stack 0
		.amdhsa_enable_private_segment 0
		.amdhsa_system_sgpr_workgroup_id_x 1
		.amdhsa_system_sgpr_workgroup_id_y 0
		.amdhsa_system_sgpr_workgroup_id_z 0
		.amdhsa_system_sgpr_workgroup_info 0
		.amdhsa_system_vgpr_workitem_id 0
		.amdhsa_next_free_vgpr 46
		.amdhsa_next_free_sgpr 16
		.amdhsa_accum_offset 48
		.amdhsa_reserve_vcc 1
		.amdhsa_float_round_mode_32 0
		.amdhsa_float_round_mode_16_64 0
		.amdhsa_float_denorm_mode_32 3
		.amdhsa_float_denorm_mode_16_64 3
		.amdhsa_dx10_clamp 1
		.amdhsa_ieee_mode 1
		.amdhsa_fp16_overflow 0
		.amdhsa_tg_split 0
		.amdhsa_exception_fp_ieee_invalid_op 0
		.amdhsa_exception_fp_denorm_src 0
		.amdhsa_exception_fp_ieee_div_zero 0
		.amdhsa_exception_fp_ieee_overflow 0
		.amdhsa_exception_fp_ieee_underflow 0
		.amdhsa_exception_fp_ieee_inexact 0
		.amdhsa_exception_int_div_zero 0
	.end_amdhsa_kernel
	.section	.text._ZN9rocsparseL19gebsrmvn_4xn_kernelILj128ELj2ELj4EdEEvi20rocsparse_direction_NS_24const_host_device_scalarIT2_EEPKiS6_PKS3_S8_S4_PS3_21rocsparse_index_base_b,"axG",@progbits,_ZN9rocsparseL19gebsrmvn_4xn_kernelILj128ELj2ELj4EdEEvi20rocsparse_direction_NS_24const_host_device_scalarIT2_EEPKiS6_PKS3_S8_S4_PS3_21rocsparse_index_base_b,comdat
.Lfunc_end42:
	.size	_ZN9rocsparseL19gebsrmvn_4xn_kernelILj128ELj2ELj4EdEEvi20rocsparse_direction_NS_24const_host_device_scalarIT2_EEPKiS6_PKS3_S8_S4_PS3_21rocsparse_index_base_b, .Lfunc_end42-_ZN9rocsparseL19gebsrmvn_4xn_kernelILj128ELj2ELj4EdEEvi20rocsparse_direction_NS_24const_host_device_scalarIT2_EEPKiS6_PKS3_S8_S4_PS3_21rocsparse_index_base_b
                                        ; -- End function
	.set _ZN9rocsparseL19gebsrmvn_4xn_kernelILj128ELj2ELj4EdEEvi20rocsparse_direction_NS_24const_host_device_scalarIT2_EEPKiS6_PKS3_S8_S4_PS3_21rocsparse_index_base_b.num_vgpr, 46
	.set _ZN9rocsparseL19gebsrmvn_4xn_kernelILj128ELj2ELj4EdEEvi20rocsparse_direction_NS_24const_host_device_scalarIT2_EEPKiS6_PKS3_S8_S4_PS3_21rocsparse_index_base_b.num_agpr, 0
	.set _ZN9rocsparseL19gebsrmvn_4xn_kernelILj128ELj2ELj4EdEEvi20rocsparse_direction_NS_24const_host_device_scalarIT2_EEPKiS6_PKS3_S8_S4_PS3_21rocsparse_index_base_b.numbered_sgpr, 16
	.set _ZN9rocsparseL19gebsrmvn_4xn_kernelILj128ELj2ELj4EdEEvi20rocsparse_direction_NS_24const_host_device_scalarIT2_EEPKiS6_PKS3_S8_S4_PS3_21rocsparse_index_base_b.num_named_barrier, 0
	.set _ZN9rocsparseL19gebsrmvn_4xn_kernelILj128ELj2ELj4EdEEvi20rocsparse_direction_NS_24const_host_device_scalarIT2_EEPKiS6_PKS3_S8_S4_PS3_21rocsparse_index_base_b.private_seg_size, 0
	.set _ZN9rocsparseL19gebsrmvn_4xn_kernelILj128ELj2ELj4EdEEvi20rocsparse_direction_NS_24const_host_device_scalarIT2_EEPKiS6_PKS3_S8_S4_PS3_21rocsparse_index_base_b.uses_vcc, 1
	.set _ZN9rocsparseL19gebsrmvn_4xn_kernelILj128ELj2ELj4EdEEvi20rocsparse_direction_NS_24const_host_device_scalarIT2_EEPKiS6_PKS3_S8_S4_PS3_21rocsparse_index_base_b.uses_flat_scratch, 0
	.set _ZN9rocsparseL19gebsrmvn_4xn_kernelILj128ELj2ELj4EdEEvi20rocsparse_direction_NS_24const_host_device_scalarIT2_EEPKiS6_PKS3_S8_S4_PS3_21rocsparse_index_base_b.has_dyn_sized_stack, 0
	.set _ZN9rocsparseL19gebsrmvn_4xn_kernelILj128ELj2ELj4EdEEvi20rocsparse_direction_NS_24const_host_device_scalarIT2_EEPKiS6_PKS3_S8_S4_PS3_21rocsparse_index_base_b.has_recursion, 0
	.set _ZN9rocsparseL19gebsrmvn_4xn_kernelILj128ELj2ELj4EdEEvi20rocsparse_direction_NS_24const_host_device_scalarIT2_EEPKiS6_PKS3_S8_S4_PS3_21rocsparse_index_base_b.has_indirect_call, 0
	.section	.AMDGPU.csdata,"",@progbits
; Kernel info:
; codeLenInByte = 1076
; TotalNumSgprs: 22
; NumVgprs: 46
; NumAgprs: 0
; TotalNumVgprs: 46
; ScratchSize: 0
; MemoryBound: 0
; FloatMode: 240
; IeeeMode: 1
; LDSByteSize: 0 bytes/workgroup (compile time only)
; SGPRBlocks: 2
; VGPRBlocks: 5
; NumSGPRsForWavesPerEU: 22
; NumVGPRsForWavesPerEU: 46
; AccumOffset: 48
; Occupancy: 8
; WaveLimiterHint : 1
; COMPUTE_PGM_RSRC2:SCRATCH_EN: 0
; COMPUTE_PGM_RSRC2:USER_SGPR: 2
; COMPUTE_PGM_RSRC2:TRAP_HANDLER: 0
; COMPUTE_PGM_RSRC2:TGID_X_EN: 1
; COMPUTE_PGM_RSRC2:TGID_Y_EN: 0
; COMPUTE_PGM_RSRC2:TGID_Z_EN: 0
; COMPUTE_PGM_RSRC2:TIDIG_COMP_CNT: 0
; COMPUTE_PGM_RSRC3_GFX90A:ACCUM_OFFSET: 11
; COMPUTE_PGM_RSRC3_GFX90A:TG_SPLIT: 0
	.section	.text._ZN9rocsparseL19gebsrmvn_4xn_kernelILj128ELj2ELj8EdEEvi20rocsparse_direction_NS_24const_host_device_scalarIT2_EEPKiS6_PKS3_S8_S4_PS3_21rocsparse_index_base_b,"axG",@progbits,_ZN9rocsparseL19gebsrmvn_4xn_kernelILj128ELj2ELj8EdEEvi20rocsparse_direction_NS_24const_host_device_scalarIT2_EEPKiS6_PKS3_S8_S4_PS3_21rocsparse_index_base_b,comdat
	.globl	_ZN9rocsparseL19gebsrmvn_4xn_kernelILj128ELj2ELj8EdEEvi20rocsparse_direction_NS_24const_host_device_scalarIT2_EEPKiS6_PKS3_S8_S4_PS3_21rocsparse_index_base_b ; -- Begin function _ZN9rocsparseL19gebsrmvn_4xn_kernelILj128ELj2ELj8EdEEvi20rocsparse_direction_NS_24const_host_device_scalarIT2_EEPKiS6_PKS3_S8_S4_PS3_21rocsparse_index_base_b
	.p2align	8
	.type	_ZN9rocsparseL19gebsrmvn_4xn_kernelILj128ELj2ELj8EdEEvi20rocsparse_direction_NS_24const_host_device_scalarIT2_EEPKiS6_PKS3_S8_S4_PS3_21rocsparse_index_base_b,@function
_ZN9rocsparseL19gebsrmvn_4xn_kernelILj128ELj2ELj8EdEEvi20rocsparse_direction_NS_24const_host_device_scalarIT2_EEPKiS6_PKS3_S8_S4_PS3_21rocsparse_index_base_b: ; @_ZN9rocsparseL19gebsrmvn_4xn_kernelILj128ELj2ELj8EdEEvi20rocsparse_direction_NS_24const_host_device_scalarIT2_EEPKiS6_PKS3_S8_S4_PS3_21rocsparse_index_base_b
; %bb.0:
	s_load_dwordx2 s[12:13], s[0:1], 0x40
	s_load_dwordx2 s[8:9], s[0:1], 0x8
	s_load_dwordx2 s[4:5], s[0:1], 0x30
	s_waitcnt lgkmcnt(0)
	s_bitcmp1_b32 s13, 0
	s_cselect_b64 s[10:11], -1, 0
	s_xor_b64 s[6:7], s[10:11], -1
	s_and_b64 vcc, exec, s[10:11]
	v_mov_b64_e32 v[2:3], s[8:9]
	s_cbranch_vccnz .LBB43_2
; %bb.1:
	v_mov_b64_e32 v[2:3], s[8:9]
	flat_load_dwordx2 v[2:3], v[2:3]
.LBB43_2:
	s_andn2_b64 vcc, exec, s[6:7]
	v_mov_b64_e32 v[4:5], s[4:5]
	s_cbranch_vccnz .LBB43_4
; %bb.3:
	v_mov_b64_e32 v[4:5], s[4:5]
	flat_load_dwordx2 v[4:5], v[4:5]
.LBB43_4:
	s_waitcnt vmcnt(0) lgkmcnt(0)
	v_cmp_neq_f64_e32 vcc, 0, v[2:3]
	v_cmp_neq_f64_e64 s[4:5], 1.0, v[4:5]
	s_or_b64 s[4:5], vcc, s[4:5]
	s_and_saveexec_b64 s[6:7], s[4:5]
	s_cbranch_execz .LBB43_23
; %bb.5:
	s_load_dwordx2 s[14:15], s[0:1], 0x0
	v_lshrrev_b32_e32 v1, 3, v0
	v_lshl_or_b32 v6, s2, 4, v1
	s_waitcnt lgkmcnt(0)
	v_cmp_gt_i32_e32 vcc, s14, v6
	s_and_b64 exec, exec, vcc
	s_cbranch_execz .LBB43_23
; %bb.6:
	s_load_dwordx8 s[4:11], s[0:1], 0x10
	v_ashrrev_i32_e32 v7, 31, v6
	s_cmp_lg_u32 s15, 0
	s_waitcnt lgkmcnt(0)
	v_lshl_add_u64 v[8:9], v[6:7], 2, s[4:5]
	global_load_dwordx2 v[8:9], v[8:9], off
	v_and_b32_e32 v7, 7, v0
	s_waitcnt vmcnt(0)
	v_subrev_u32_e32 v0, s12, v8
	v_subrev_u32_e32 v20, s12, v9
	v_add_u32_e32 v12, v0, v7
	v_cmp_lt_i32_e64 s[2:3], v12, v20
	s_cbranch_scc0 .LBB43_12
; %bb.7:
	v_mov_b64_e32 v[8:9], 0
	v_mov_b64_e32 v[0:1], 0
	;; [unrolled: 1-line block ×4, first 2 shown]
	s_and_saveexec_b64 s[4:5], s[2:3]
	s_cbranch_execz .LBB43_11
; %bb.8:
	v_lshlrev_b32_e32 v16, 3, v12
	v_mov_b64_e32 v[8:9], 0
	s_mov_b64 s[14:15], 0
	v_mov_b32_e32 v17, 0
	v_mov_b32_e32 v18, v12
	v_mov_b64_e32 v[0:1], 0
	v_mov_b64_e32 v[10:11], 0
	;; [unrolled: 1-line block ×3, first 2 shown]
.LBB43_9:                               ; =>This Inner Loop Header: Depth=1
	v_ashrrev_i32_e32 v19, 31, v18
	v_lshl_add_u64 v[22:23], v[18:19], 2, s[6:7]
	global_load_dword v13, v[22:23], off
	v_lshl_add_u64 v[42:43], v[16:17], 3, s[8:9]
	v_mov_b32_e32 v35, v17
	global_load_dwordx4 v[22:25], v[42:43], off offset:32
	global_load_dwordx4 v[26:29], v[42:43], off offset:16
	global_load_dwordx4 v[30:33], v[42:43], off
	v_add_u32_e32 v18, 8, v18
	v_cmp_ge_i32_e32 vcc, v18, v20
	v_add_u32_e32 v16, 64, v16
	s_or_b64 s[14:15], vcc, s[14:15]
	s_waitcnt vmcnt(3)
	v_subrev_u32_e32 v13, s12, v13
	v_lshlrev_b32_e32 v34, 1, v13
	v_lshl_add_u64 v[44:45], v[34:35], 3, s[10:11]
	global_load_dwordx4 v[34:37], v[44:45], off
	global_load_dwordx4 v[38:41], v[42:43], off offset:48
	s_waitcnt vmcnt(1)
	v_fmac_f64_e32 v[8:9], v[30:31], v[34:35]
	v_fmac_f64_e32 v[14:15], v[32:33], v[34:35]
	;; [unrolled: 1-line block ×6, first 2 shown]
	s_waitcnt vmcnt(0)
	v_fmac_f64_e32 v[10:11], v[38:39], v[36:37]
	v_fmac_f64_e32 v[0:1], v[40:41], v[36:37]
	s_andn2_b64 exec, exec, s[14:15]
	s_cbranch_execnz .LBB43_9
; %bb.10:
	s_or_b64 exec, exec, s[14:15]
.LBB43_11:
	s_or_b64 exec, exec, s[4:5]
	s_cbranch_execz .LBB43_13
	s_branch .LBB43_18
.LBB43_12:
                                        ; implicit-def: $vgpr8_vgpr9
                                        ; implicit-def: $vgpr0_vgpr1
                                        ; implicit-def: $vgpr10_vgpr11
                                        ; implicit-def: $vgpr14_vgpr15
.LBB43_13:
	v_mov_b64_e32 v[8:9], 0
	v_mov_b64_e32 v[0:1], 0
	;; [unrolled: 1-line block ×4, first 2 shown]
	s_and_saveexec_b64 s[4:5], s[2:3]
	s_cbranch_execz .LBB43_17
; %bb.14:
	v_lshlrev_b32_e32 v16, 3, v12
	v_mov_b64_e32 v[8:9], 0
	s_mov_b64 s[2:3], 0
	v_mov_b32_e32 v17, 0
	v_mov_b64_e32 v[0:1], 0
	v_mov_b64_e32 v[10:11], 0
	;; [unrolled: 1-line block ×3, first 2 shown]
.LBB43_15:                              ; =>This Inner Loop Header: Depth=1
	v_ashrrev_i32_e32 v13, 31, v12
	v_lshl_add_u64 v[18:19], v[12:13], 2, s[6:7]
	global_load_dword v13, v[18:19], off
	v_lshl_add_u64 v[18:19], v[16:17], 3, s[8:9]
	v_mov_b32_e32 v39, v17
	global_load_dwordx4 v[22:25], v[18:19], off offset:48
	global_load_dwordx4 v[26:29], v[18:19], off offset:32
	;; [unrolled: 1-line block ×3, first 2 shown]
	global_load_dwordx4 v[34:37], v[18:19], off
	v_add_u32_e32 v12, 8, v12
	v_cmp_ge_i32_e32 vcc, v12, v20
	v_add_u32_e32 v16, 64, v16
	s_or_b64 s[2:3], vcc, s[2:3]
	s_waitcnt vmcnt(4)
	v_subrev_u32_e32 v13, s12, v13
	v_lshlrev_b32_e32 v38, 1, v13
	v_lshl_add_u64 v[18:19], v[38:39], 3, s[10:11]
	global_load_dwordx4 v[38:41], v[18:19], off
	s_waitcnt vmcnt(0)
	v_fmac_f64_e32 v[8:9], v[34:35], v[38:39]
	v_fmac_f64_e32 v[14:15], v[30:31], v[38:39]
	;; [unrolled: 1-line block ×8, first 2 shown]
	s_andn2_b64 exec, exec, s[2:3]
	s_cbranch_execnz .LBB43_15
; %bb.16:
	s_or_b64 exec, exec, s[2:3]
.LBB43_17:
	s_or_b64 exec, exec, s[4:5]
.LBB43_18:
	v_mov_b32_dpp v18, v10 row_shr:1 row_mask:0xf bank_mask:0xf
	v_mov_b32_dpp v19, v11 row_shr:1 row_mask:0xf bank_mask:0xf
	v_add_f64 v[10:11], v[10:11], v[18:19]
	v_mov_b32_dpp v12, v8 row_shr:1 row_mask:0xf bank_mask:0xf
	v_mov_b32_dpp v13, v9 row_shr:1 row_mask:0xf bank_mask:0xf
	;; [unrolled: 1-line block ×6, first 2 shown]
	v_add_f64 v[18:19], v[10:11], v[18:19]
	v_mov_b32_dpp v10, v0 row_shr:1 row_mask:0xf bank_mask:0xf
	v_mov_b32_dpp v11, v1 row_shr:1 row_mask:0xf bank_mask:0xf
	v_add_f64 v[8:9], v[8:9], v[12:13]
	v_add_f64 v[14:15], v[14:15], v[16:17]
	;; [unrolled: 1-line block ×3, first 2 shown]
	v_mov_b32_dpp v12, v8 row_shr:2 row_mask:0xf bank_mask:0xf
	v_mov_b32_dpp v13, v9 row_shr:2 row_mask:0xf bank_mask:0xf
	;; [unrolled: 1-line block ×6, first 2 shown]
	v_add_f64 v[8:9], v[8:9], v[12:13]
	v_add_f64 v[14:15], v[14:15], v[16:17]
	;; [unrolled: 1-line block ×3, first 2 shown]
	v_mov_b32_dpp v12, v8 row_shr:4 row_mask:0xf bank_mask:0xe
	v_mov_b32_dpp v13, v9 row_shr:4 row_mask:0xf bank_mask:0xe
	;; [unrolled: 1-line block ×8, first 2 shown]
	v_cmp_eq_u32_e32 vcc, 7, v7
	s_and_b64 exec, exec, vcc
	s_cbranch_execz .LBB43_23
; %bb.19:
	s_load_dwordx2 s[0:1], s[0:1], 0x38
	v_add_f64 v[12:13], v[8:9], v[12:13]
	v_add_f64 v[10:11], v[14:15], v[16:17]
	;; [unrolled: 1-line block ×4, first 2 shown]
	v_cmp_eq_f64_e32 vcc, 0, v[4:5]
	s_and_saveexec_b64 s[2:3], vcc
	s_xor_b64 s[2:3], exec, s[2:3]
	s_cbranch_execz .LBB43_21
; %bb.20:
	v_lshlrev_b32_e32 v6, 2, v6
	v_ashrrev_i32_e32 v7, 31, v6
	v_mul_f64 v[4:5], v[2:3], v[12:13]
	s_waitcnt lgkmcnt(0)
	v_lshl_add_u64 v[12:13], v[6:7], 3, s[0:1]
	v_mul_f64 v[6:7], v[2:3], v[10:11]
	v_mul_f64 v[0:1], v[2:3], v[0:1]
	;; [unrolled: 1-line block ×3, first 2 shown]
	global_store_dwordx4 v[12:13], v[4:7], off
	global_store_dwordx4 v[12:13], v[0:3], off offset:16
                                        ; implicit-def: $vgpr6
                                        ; implicit-def: $vgpr2_vgpr3
                                        ; implicit-def: $vgpr12_vgpr13
                                        ; implicit-def: $vgpr4_vgpr5
                                        ; implicit-def: $vgpr10_vgpr11
                                        ; implicit-def: $vgpr0_vgpr1
                                        ; implicit-def: $vgpr8_vgpr9
.LBB43_21:
	s_andn2_saveexec_b64 s[2:3], s[2:3]
	s_cbranch_execz .LBB43_23
; %bb.22:
	v_lshlrev_b32_e32 v6, 2, v6
	v_ashrrev_i32_e32 v7, 31, v6
	s_waitcnt lgkmcnt(0)
	v_lshl_add_u64 v[6:7], v[6:7], 3, s[0:1]
	global_load_dwordx4 v[14:17], v[6:7], off
	global_load_dwordx4 v[18:21], v[6:7], off offset:16
	v_mul_f64 v[22:23], v[2:3], v[12:13]
	v_mul_f64 v[24:25], v[2:3], v[10:11]
	v_mul_f64 v[0:1], v[2:3], v[0:1]
	v_mul_f64 v[2:3], v[2:3], v[8:9]
	s_waitcnt vmcnt(1)
	v_fmac_f64_e32 v[22:23], v[4:5], v[14:15]
	v_fmac_f64_e32 v[24:25], v[4:5], v[16:17]
	s_waitcnt vmcnt(0)
	v_fmac_f64_e32 v[0:1], v[4:5], v[18:19]
	v_fmac_f64_e32 v[2:3], v[4:5], v[20:21]
	global_store_dwordx4 v[6:7], v[22:25], off
	global_store_dwordx4 v[6:7], v[0:3], off offset:16
.LBB43_23:
	s_endpgm
	.section	.rodata,"a",@progbits
	.p2align	6, 0x0
	.amdhsa_kernel _ZN9rocsparseL19gebsrmvn_4xn_kernelILj128ELj2ELj8EdEEvi20rocsparse_direction_NS_24const_host_device_scalarIT2_EEPKiS6_PKS3_S8_S4_PS3_21rocsparse_index_base_b
		.amdhsa_group_segment_fixed_size 0
		.amdhsa_private_segment_fixed_size 0
		.amdhsa_kernarg_size 72
		.amdhsa_user_sgpr_count 2
		.amdhsa_user_sgpr_dispatch_ptr 0
		.amdhsa_user_sgpr_queue_ptr 0
		.amdhsa_user_sgpr_kernarg_segment_ptr 1
		.amdhsa_user_sgpr_dispatch_id 0
		.amdhsa_user_sgpr_kernarg_preload_length 0
		.amdhsa_user_sgpr_kernarg_preload_offset 0
		.amdhsa_user_sgpr_private_segment_size 0
		.amdhsa_uses_dynamic_stack 0
		.amdhsa_enable_private_segment 0
		.amdhsa_system_sgpr_workgroup_id_x 1
		.amdhsa_system_sgpr_workgroup_id_y 0
		.amdhsa_system_sgpr_workgroup_id_z 0
		.amdhsa_system_sgpr_workgroup_info 0
		.amdhsa_system_vgpr_workitem_id 0
		.amdhsa_next_free_vgpr 46
		.amdhsa_next_free_sgpr 16
		.amdhsa_accum_offset 48
		.amdhsa_reserve_vcc 1
		.amdhsa_float_round_mode_32 0
		.amdhsa_float_round_mode_16_64 0
		.amdhsa_float_denorm_mode_32 3
		.amdhsa_float_denorm_mode_16_64 3
		.amdhsa_dx10_clamp 1
		.amdhsa_ieee_mode 1
		.amdhsa_fp16_overflow 0
		.amdhsa_tg_split 0
		.amdhsa_exception_fp_ieee_invalid_op 0
		.amdhsa_exception_fp_denorm_src 0
		.amdhsa_exception_fp_ieee_div_zero 0
		.amdhsa_exception_fp_ieee_overflow 0
		.amdhsa_exception_fp_ieee_underflow 0
		.amdhsa_exception_fp_ieee_inexact 0
		.amdhsa_exception_int_div_zero 0
	.end_amdhsa_kernel
	.section	.text._ZN9rocsparseL19gebsrmvn_4xn_kernelILj128ELj2ELj8EdEEvi20rocsparse_direction_NS_24const_host_device_scalarIT2_EEPKiS6_PKS3_S8_S4_PS3_21rocsparse_index_base_b,"axG",@progbits,_ZN9rocsparseL19gebsrmvn_4xn_kernelILj128ELj2ELj8EdEEvi20rocsparse_direction_NS_24const_host_device_scalarIT2_EEPKiS6_PKS3_S8_S4_PS3_21rocsparse_index_base_b,comdat
.Lfunc_end43:
	.size	_ZN9rocsparseL19gebsrmvn_4xn_kernelILj128ELj2ELj8EdEEvi20rocsparse_direction_NS_24const_host_device_scalarIT2_EEPKiS6_PKS3_S8_S4_PS3_21rocsparse_index_base_b, .Lfunc_end43-_ZN9rocsparseL19gebsrmvn_4xn_kernelILj128ELj2ELj8EdEEvi20rocsparse_direction_NS_24const_host_device_scalarIT2_EEPKiS6_PKS3_S8_S4_PS3_21rocsparse_index_base_b
                                        ; -- End function
	.set _ZN9rocsparseL19gebsrmvn_4xn_kernelILj128ELj2ELj8EdEEvi20rocsparse_direction_NS_24const_host_device_scalarIT2_EEPKiS6_PKS3_S8_S4_PS3_21rocsparse_index_base_b.num_vgpr, 46
	.set _ZN9rocsparseL19gebsrmvn_4xn_kernelILj128ELj2ELj8EdEEvi20rocsparse_direction_NS_24const_host_device_scalarIT2_EEPKiS6_PKS3_S8_S4_PS3_21rocsparse_index_base_b.num_agpr, 0
	.set _ZN9rocsparseL19gebsrmvn_4xn_kernelILj128ELj2ELj8EdEEvi20rocsparse_direction_NS_24const_host_device_scalarIT2_EEPKiS6_PKS3_S8_S4_PS3_21rocsparse_index_base_b.numbered_sgpr, 16
	.set _ZN9rocsparseL19gebsrmvn_4xn_kernelILj128ELj2ELj8EdEEvi20rocsparse_direction_NS_24const_host_device_scalarIT2_EEPKiS6_PKS3_S8_S4_PS3_21rocsparse_index_base_b.num_named_barrier, 0
	.set _ZN9rocsparseL19gebsrmvn_4xn_kernelILj128ELj2ELj8EdEEvi20rocsparse_direction_NS_24const_host_device_scalarIT2_EEPKiS6_PKS3_S8_S4_PS3_21rocsparse_index_base_b.private_seg_size, 0
	.set _ZN9rocsparseL19gebsrmvn_4xn_kernelILj128ELj2ELj8EdEEvi20rocsparse_direction_NS_24const_host_device_scalarIT2_EEPKiS6_PKS3_S8_S4_PS3_21rocsparse_index_base_b.uses_vcc, 1
	.set _ZN9rocsparseL19gebsrmvn_4xn_kernelILj128ELj2ELj8EdEEvi20rocsparse_direction_NS_24const_host_device_scalarIT2_EEPKiS6_PKS3_S8_S4_PS3_21rocsparse_index_base_b.uses_flat_scratch, 0
	.set _ZN9rocsparseL19gebsrmvn_4xn_kernelILj128ELj2ELj8EdEEvi20rocsparse_direction_NS_24const_host_device_scalarIT2_EEPKiS6_PKS3_S8_S4_PS3_21rocsparse_index_base_b.has_dyn_sized_stack, 0
	.set _ZN9rocsparseL19gebsrmvn_4xn_kernelILj128ELj2ELj8EdEEvi20rocsparse_direction_NS_24const_host_device_scalarIT2_EEPKiS6_PKS3_S8_S4_PS3_21rocsparse_index_base_b.has_recursion, 0
	.set _ZN9rocsparseL19gebsrmvn_4xn_kernelILj128ELj2ELj8EdEEvi20rocsparse_direction_NS_24const_host_device_scalarIT2_EEPKiS6_PKS3_S8_S4_PS3_21rocsparse_index_base_b.has_indirect_call, 0
	.section	.AMDGPU.csdata,"",@progbits
; Kernel info:
; codeLenInByte = 1172
; TotalNumSgprs: 22
; NumVgprs: 46
; NumAgprs: 0
; TotalNumVgprs: 46
; ScratchSize: 0
; MemoryBound: 0
; FloatMode: 240
; IeeeMode: 1
; LDSByteSize: 0 bytes/workgroup (compile time only)
; SGPRBlocks: 2
; VGPRBlocks: 5
; NumSGPRsForWavesPerEU: 22
; NumVGPRsForWavesPerEU: 46
; AccumOffset: 48
; Occupancy: 8
; WaveLimiterHint : 1
; COMPUTE_PGM_RSRC2:SCRATCH_EN: 0
; COMPUTE_PGM_RSRC2:USER_SGPR: 2
; COMPUTE_PGM_RSRC2:TRAP_HANDLER: 0
; COMPUTE_PGM_RSRC2:TGID_X_EN: 1
; COMPUTE_PGM_RSRC2:TGID_Y_EN: 0
; COMPUTE_PGM_RSRC2:TGID_Z_EN: 0
; COMPUTE_PGM_RSRC2:TIDIG_COMP_CNT: 0
; COMPUTE_PGM_RSRC3_GFX90A:ACCUM_OFFSET: 11
; COMPUTE_PGM_RSRC3_GFX90A:TG_SPLIT: 0
	.section	.text._ZN9rocsparseL19gebsrmvn_4xn_kernelILj128ELj2ELj16EdEEvi20rocsparse_direction_NS_24const_host_device_scalarIT2_EEPKiS6_PKS3_S8_S4_PS3_21rocsparse_index_base_b,"axG",@progbits,_ZN9rocsparseL19gebsrmvn_4xn_kernelILj128ELj2ELj16EdEEvi20rocsparse_direction_NS_24const_host_device_scalarIT2_EEPKiS6_PKS3_S8_S4_PS3_21rocsparse_index_base_b,comdat
	.globl	_ZN9rocsparseL19gebsrmvn_4xn_kernelILj128ELj2ELj16EdEEvi20rocsparse_direction_NS_24const_host_device_scalarIT2_EEPKiS6_PKS3_S8_S4_PS3_21rocsparse_index_base_b ; -- Begin function _ZN9rocsparseL19gebsrmvn_4xn_kernelILj128ELj2ELj16EdEEvi20rocsparse_direction_NS_24const_host_device_scalarIT2_EEPKiS6_PKS3_S8_S4_PS3_21rocsparse_index_base_b
	.p2align	8
	.type	_ZN9rocsparseL19gebsrmvn_4xn_kernelILj128ELj2ELj16EdEEvi20rocsparse_direction_NS_24const_host_device_scalarIT2_EEPKiS6_PKS3_S8_S4_PS3_21rocsparse_index_base_b,@function
_ZN9rocsparseL19gebsrmvn_4xn_kernelILj128ELj2ELj16EdEEvi20rocsparse_direction_NS_24const_host_device_scalarIT2_EEPKiS6_PKS3_S8_S4_PS3_21rocsparse_index_base_b: ; @_ZN9rocsparseL19gebsrmvn_4xn_kernelILj128ELj2ELj16EdEEvi20rocsparse_direction_NS_24const_host_device_scalarIT2_EEPKiS6_PKS3_S8_S4_PS3_21rocsparse_index_base_b
; %bb.0:
	s_load_dwordx2 s[12:13], s[0:1], 0x40
	s_load_dwordx2 s[8:9], s[0:1], 0x8
	;; [unrolled: 1-line block ×3, first 2 shown]
	s_waitcnt lgkmcnt(0)
	s_bitcmp1_b32 s13, 0
	s_cselect_b64 s[10:11], -1, 0
	s_xor_b64 s[6:7], s[10:11], -1
	s_and_b64 vcc, exec, s[10:11]
	v_mov_b64_e32 v[2:3], s[8:9]
	s_cbranch_vccnz .LBB44_2
; %bb.1:
	v_mov_b64_e32 v[2:3], s[8:9]
	flat_load_dwordx2 v[2:3], v[2:3]
.LBB44_2:
	s_andn2_b64 vcc, exec, s[6:7]
	v_mov_b64_e32 v[4:5], s[4:5]
	s_cbranch_vccnz .LBB44_4
; %bb.3:
	v_mov_b64_e32 v[4:5], s[4:5]
	flat_load_dwordx2 v[4:5], v[4:5]
.LBB44_4:
	s_waitcnt vmcnt(0) lgkmcnt(0)
	v_cmp_neq_f64_e32 vcc, 0, v[2:3]
	v_cmp_neq_f64_e64 s[4:5], 1.0, v[4:5]
	s_or_b64 s[4:5], vcc, s[4:5]
	s_and_saveexec_b64 s[6:7], s[4:5]
	s_cbranch_execz .LBB44_23
; %bb.5:
	s_load_dwordx2 s[14:15], s[0:1], 0x0
	v_lshrrev_b32_e32 v1, 4, v0
	v_lshl_or_b32 v6, s2, 3, v1
	s_waitcnt lgkmcnt(0)
	v_cmp_gt_i32_e32 vcc, s14, v6
	s_and_b64 exec, exec, vcc
	s_cbranch_execz .LBB44_23
; %bb.6:
	s_load_dwordx8 s[4:11], s[0:1], 0x10
	v_ashrrev_i32_e32 v7, 31, v6
	s_cmp_lg_u32 s15, 0
	s_waitcnt lgkmcnt(0)
	v_lshl_add_u64 v[8:9], v[6:7], 2, s[4:5]
	global_load_dwordx2 v[8:9], v[8:9], off
	v_and_b32_e32 v7, 15, v0
	s_waitcnt vmcnt(0)
	v_subrev_u32_e32 v0, s12, v8
	v_subrev_u32_e32 v20, s12, v9
	v_add_u32_e32 v14, v0, v7
	v_cmp_lt_i32_e64 s[2:3], v14, v20
	s_cbranch_scc0 .LBB44_12
; %bb.7:
	v_mov_b64_e32 v[10:11], 0
	v_mov_b64_e32 v[0:1], 0
	v_mov_b64_e32 v[8:9], 0
	v_mov_b64_e32 v[12:13], 0
	s_and_saveexec_b64 s[4:5], s[2:3]
	s_cbranch_execz .LBB44_11
; %bb.8:
	v_lshlrev_b32_e32 v16, 3, v14
	v_mov_b64_e32 v[10:11], 0
	s_mov_b64 s[14:15], 0
	v_mov_b32_e32 v17, 0
	v_mov_b32_e32 v18, v14
	v_mov_b64_e32 v[0:1], 0
	v_mov_b64_e32 v[8:9], 0
	;; [unrolled: 1-line block ×3, first 2 shown]
.LBB44_9:                               ; =>This Inner Loop Header: Depth=1
	v_ashrrev_i32_e32 v19, 31, v18
	v_lshl_add_u64 v[22:23], v[18:19], 2, s[6:7]
	global_load_dword v15, v[22:23], off
	v_lshl_add_u64 v[42:43], v[16:17], 3, s[8:9]
	v_mov_b32_e32 v35, v17
	global_load_dwordx4 v[22:25], v[42:43], off offset:32
	global_load_dwordx4 v[26:29], v[42:43], off offset:16
	global_load_dwordx4 v[30:33], v[42:43], off
	v_add_u32_e32 v18, 16, v18
	v_cmp_ge_i32_e32 vcc, v18, v20
	v_add_u32_e32 v16, 0x80, v16
	s_or_b64 s[14:15], vcc, s[14:15]
	s_waitcnt vmcnt(3)
	v_subrev_u32_e32 v15, s12, v15
	v_lshlrev_b32_e32 v34, 1, v15
	v_lshl_add_u64 v[44:45], v[34:35], 3, s[10:11]
	global_load_dwordx4 v[34:37], v[44:45], off
	global_load_dwordx4 v[38:41], v[42:43], off offset:48
	s_waitcnt vmcnt(1)
	v_fmac_f64_e32 v[10:11], v[30:31], v[34:35]
	v_fmac_f64_e32 v[12:13], v[32:33], v[34:35]
	;; [unrolled: 1-line block ×6, first 2 shown]
	s_waitcnt vmcnt(0)
	v_fmac_f64_e32 v[8:9], v[38:39], v[36:37]
	v_fmac_f64_e32 v[0:1], v[40:41], v[36:37]
	s_andn2_b64 exec, exec, s[14:15]
	s_cbranch_execnz .LBB44_9
; %bb.10:
	s_or_b64 exec, exec, s[14:15]
.LBB44_11:
	s_or_b64 exec, exec, s[4:5]
	s_cbranch_execz .LBB44_13
	s_branch .LBB44_18
.LBB44_12:
                                        ; implicit-def: $vgpr10_vgpr11
                                        ; implicit-def: $vgpr0_vgpr1
                                        ; implicit-def: $vgpr8_vgpr9
                                        ; implicit-def: $vgpr12_vgpr13
.LBB44_13:
	v_mov_b64_e32 v[10:11], 0
	v_mov_b64_e32 v[0:1], 0
	;; [unrolled: 1-line block ×4, first 2 shown]
	s_and_saveexec_b64 s[4:5], s[2:3]
	s_cbranch_execz .LBB44_17
; %bb.14:
	v_lshlrev_b32_e32 v16, 3, v14
	v_mov_b64_e32 v[10:11], 0
	s_mov_b64 s[2:3], 0
	v_mov_b32_e32 v17, 0
	v_mov_b64_e32 v[0:1], 0
	v_mov_b64_e32 v[8:9], 0
	;; [unrolled: 1-line block ×3, first 2 shown]
.LBB44_15:                              ; =>This Inner Loop Header: Depth=1
	v_ashrrev_i32_e32 v15, 31, v14
	v_lshl_add_u64 v[18:19], v[14:15], 2, s[6:7]
	global_load_dword v15, v[18:19], off
	v_lshl_add_u64 v[18:19], v[16:17], 3, s[8:9]
	v_mov_b32_e32 v39, v17
	global_load_dwordx4 v[22:25], v[18:19], off offset:48
	global_load_dwordx4 v[26:29], v[18:19], off offset:32
	global_load_dwordx4 v[30:33], v[18:19], off offset:16
	global_load_dwordx4 v[34:37], v[18:19], off
	v_add_u32_e32 v14, 16, v14
	v_cmp_ge_i32_e32 vcc, v14, v20
	v_add_u32_e32 v16, 0x80, v16
	s_or_b64 s[2:3], vcc, s[2:3]
	s_waitcnt vmcnt(4)
	v_subrev_u32_e32 v15, s12, v15
	v_lshlrev_b32_e32 v38, 1, v15
	v_lshl_add_u64 v[18:19], v[38:39], 3, s[10:11]
	global_load_dwordx4 v[38:41], v[18:19], off
	s_waitcnt vmcnt(0)
	v_fmac_f64_e32 v[10:11], v[34:35], v[38:39]
	v_fmac_f64_e32 v[12:13], v[30:31], v[38:39]
	;; [unrolled: 1-line block ×8, first 2 shown]
	s_andn2_b64 exec, exec, s[2:3]
	s_cbranch_execnz .LBB44_15
; %bb.16:
	s_or_b64 exec, exec, s[2:3]
.LBB44_17:
	s_or_b64 exec, exec, s[4:5]
.LBB44_18:
	v_mov_b32_dpp v16, v12 row_shr:1 row_mask:0xf bank_mask:0xf
	v_mov_b32_dpp v17, v13 row_shr:1 row_mask:0xf bank_mask:0xf
	v_add_f64 v[12:13], v[12:13], v[16:17]
	v_mov_b32_dpp v14, v10 row_shr:1 row_mask:0xf bank_mask:0xf
	v_mov_b32_dpp v15, v11 row_shr:1 row_mask:0xf bank_mask:0xf
	;; [unrolled: 1-line block ×4, first 2 shown]
	v_add_f64 v[12:13], v[12:13], v[16:17]
	v_add_f64 v[10:11], v[10:11], v[14:15]
	v_cmp_eq_u32_e32 vcc, 15, v7
	v_mov_b32_dpp v16, v12 row_shr:4 row_mask:0xf bank_mask:0xe
	v_mov_b32_dpp v17, v13 row_shr:4 row_mask:0xf bank_mask:0xe
	v_add_f64 v[16:17], v[12:13], v[16:17]
	v_mov_b32_dpp v12, v8 row_shr:1 row_mask:0xf bank_mask:0xf
	v_mov_b32_dpp v13, v9 row_shr:1 row_mask:0xf bank_mask:0xf
	v_add_f64 v[8:9], v[8:9], v[12:13]
	v_mov_b32_dpp v14, v10 row_shr:2 row_mask:0xf bank_mask:0xf
	v_mov_b32_dpp v15, v11 row_shr:2 row_mask:0xf bank_mask:0xf
	;; [unrolled: 1-line block ×4, first 2 shown]
	v_add_f64 v[8:9], v[8:9], v[12:13]
	v_add_f64 v[10:11], v[10:11], v[14:15]
	v_mov_b32_dpp v18, v16 row_shr:8 row_mask:0xf bank_mask:0xc
	v_mov_b32_dpp v12, v8 row_shr:4 row_mask:0xf bank_mask:0xe
	;; [unrolled: 1-line block ×3, first 2 shown]
	v_add_f64 v[8:9], v[8:9], v[12:13]
	v_mov_b32_dpp v12, v0 row_shr:1 row_mask:0xf bank_mask:0xf
	v_mov_b32_dpp v13, v1 row_shr:1 row_mask:0xf bank_mask:0xf
	v_add_f64 v[0:1], v[0:1], v[12:13]
	v_mov_b32_dpp v14, v10 row_shr:4 row_mask:0xf bank_mask:0xe
	v_mov_b32_dpp v15, v11 row_shr:4 row_mask:0xf bank_mask:0xe
	;; [unrolled: 1-line block ×4, first 2 shown]
	v_add_f64 v[0:1], v[0:1], v[12:13]
	v_add_f64 v[10:11], v[10:11], v[14:15]
	v_mov_b32_dpp v19, v17 row_shr:8 row_mask:0xf bank_mask:0xc
	v_mov_b32_dpp v12, v0 row_shr:4 row_mask:0xf bank_mask:0xe
	;; [unrolled: 1-line block ×3, first 2 shown]
	v_add_f64 v[22:23], v[0:1], v[12:13]
	v_mov_b32_dpp v14, v10 row_shr:8 row_mask:0xf bank_mask:0xc
	v_mov_b32_dpp v15, v11 row_shr:8 row_mask:0xf bank_mask:0xc
	;; [unrolled: 1-line block ×6, first 2 shown]
	s_and_b64 exec, exec, vcc
	s_cbranch_execz .LBB44_23
; %bb.19:
	s_load_dwordx2 s[0:1], s[0:1], 0x38
	v_add_f64 v[12:13], v[10:11], v[14:15]
	v_add_f64 v[10:11], v[16:17], v[18:19]
	;; [unrolled: 1-line block ×4, first 2 shown]
	v_cmp_eq_f64_e32 vcc, 0, v[4:5]
	s_and_saveexec_b64 s[2:3], vcc
	s_xor_b64 s[2:3], exec, s[2:3]
	s_cbranch_execz .LBB44_21
; %bb.20:
	v_lshlrev_b32_e32 v6, 2, v6
	v_ashrrev_i32_e32 v7, 31, v6
	v_mul_f64 v[4:5], v[2:3], v[12:13]
	s_waitcnt lgkmcnt(0)
	v_lshl_add_u64 v[12:13], v[6:7], 3, s[0:1]
	v_mul_f64 v[6:7], v[2:3], v[10:11]
	v_mul_f64 v[0:1], v[2:3], v[0:1]
	;; [unrolled: 1-line block ×3, first 2 shown]
	global_store_dwordx4 v[12:13], v[4:7], off
	global_store_dwordx4 v[12:13], v[0:3], off offset:16
                                        ; implicit-def: $vgpr6
                                        ; implicit-def: $vgpr2_vgpr3
                                        ; implicit-def: $vgpr12_vgpr13
                                        ; implicit-def: $vgpr4_vgpr5
                                        ; implicit-def: $vgpr10_vgpr11
                                        ; implicit-def: $vgpr0_vgpr1
                                        ; implicit-def: $vgpr8_vgpr9
.LBB44_21:
	s_andn2_saveexec_b64 s[2:3], s[2:3]
	s_cbranch_execz .LBB44_23
; %bb.22:
	v_lshlrev_b32_e32 v6, 2, v6
	v_ashrrev_i32_e32 v7, 31, v6
	s_waitcnt lgkmcnt(0)
	v_lshl_add_u64 v[6:7], v[6:7], 3, s[0:1]
	global_load_dwordx4 v[14:17], v[6:7], off
	global_load_dwordx4 v[18:21], v[6:7], off offset:16
	v_mul_f64 v[22:23], v[2:3], v[12:13]
	v_mul_f64 v[24:25], v[2:3], v[10:11]
	;; [unrolled: 1-line block ×4, first 2 shown]
	s_waitcnt vmcnt(1)
	v_fmac_f64_e32 v[22:23], v[4:5], v[14:15]
	v_fmac_f64_e32 v[24:25], v[4:5], v[16:17]
	s_waitcnt vmcnt(0)
	v_fmac_f64_e32 v[0:1], v[4:5], v[18:19]
	v_fmac_f64_e32 v[2:3], v[4:5], v[20:21]
	global_store_dwordx4 v[6:7], v[22:25], off
	global_store_dwordx4 v[6:7], v[0:3], off offset:16
.LBB44_23:
	s_endpgm
	.section	.rodata,"a",@progbits
	.p2align	6, 0x0
	.amdhsa_kernel _ZN9rocsparseL19gebsrmvn_4xn_kernelILj128ELj2ELj16EdEEvi20rocsparse_direction_NS_24const_host_device_scalarIT2_EEPKiS6_PKS3_S8_S4_PS3_21rocsparse_index_base_b
		.amdhsa_group_segment_fixed_size 0
		.amdhsa_private_segment_fixed_size 0
		.amdhsa_kernarg_size 72
		.amdhsa_user_sgpr_count 2
		.amdhsa_user_sgpr_dispatch_ptr 0
		.amdhsa_user_sgpr_queue_ptr 0
		.amdhsa_user_sgpr_kernarg_segment_ptr 1
		.amdhsa_user_sgpr_dispatch_id 0
		.amdhsa_user_sgpr_kernarg_preload_length 0
		.amdhsa_user_sgpr_kernarg_preload_offset 0
		.amdhsa_user_sgpr_private_segment_size 0
		.amdhsa_uses_dynamic_stack 0
		.amdhsa_enable_private_segment 0
		.amdhsa_system_sgpr_workgroup_id_x 1
		.amdhsa_system_sgpr_workgroup_id_y 0
		.amdhsa_system_sgpr_workgroup_id_z 0
		.amdhsa_system_sgpr_workgroup_info 0
		.amdhsa_system_vgpr_workitem_id 0
		.amdhsa_next_free_vgpr 46
		.amdhsa_next_free_sgpr 16
		.amdhsa_accum_offset 48
		.amdhsa_reserve_vcc 1
		.amdhsa_float_round_mode_32 0
		.amdhsa_float_round_mode_16_64 0
		.amdhsa_float_denorm_mode_32 3
		.amdhsa_float_denorm_mode_16_64 3
		.amdhsa_dx10_clamp 1
		.amdhsa_ieee_mode 1
		.amdhsa_fp16_overflow 0
		.amdhsa_tg_split 0
		.amdhsa_exception_fp_ieee_invalid_op 0
		.amdhsa_exception_fp_denorm_src 0
		.amdhsa_exception_fp_ieee_div_zero 0
		.amdhsa_exception_fp_ieee_overflow 0
		.amdhsa_exception_fp_ieee_underflow 0
		.amdhsa_exception_fp_ieee_inexact 0
		.amdhsa_exception_int_div_zero 0
	.end_amdhsa_kernel
	.section	.text._ZN9rocsparseL19gebsrmvn_4xn_kernelILj128ELj2ELj16EdEEvi20rocsparse_direction_NS_24const_host_device_scalarIT2_EEPKiS6_PKS3_S8_S4_PS3_21rocsparse_index_base_b,"axG",@progbits,_ZN9rocsparseL19gebsrmvn_4xn_kernelILj128ELj2ELj16EdEEvi20rocsparse_direction_NS_24const_host_device_scalarIT2_EEPKiS6_PKS3_S8_S4_PS3_21rocsparse_index_base_b,comdat
.Lfunc_end44:
	.size	_ZN9rocsparseL19gebsrmvn_4xn_kernelILj128ELj2ELj16EdEEvi20rocsparse_direction_NS_24const_host_device_scalarIT2_EEPKiS6_PKS3_S8_S4_PS3_21rocsparse_index_base_b, .Lfunc_end44-_ZN9rocsparseL19gebsrmvn_4xn_kernelILj128ELj2ELj16EdEEvi20rocsparse_direction_NS_24const_host_device_scalarIT2_EEPKiS6_PKS3_S8_S4_PS3_21rocsparse_index_base_b
                                        ; -- End function
	.set _ZN9rocsparseL19gebsrmvn_4xn_kernelILj128ELj2ELj16EdEEvi20rocsparse_direction_NS_24const_host_device_scalarIT2_EEPKiS6_PKS3_S8_S4_PS3_21rocsparse_index_base_b.num_vgpr, 46
	.set _ZN9rocsparseL19gebsrmvn_4xn_kernelILj128ELj2ELj16EdEEvi20rocsparse_direction_NS_24const_host_device_scalarIT2_EEPKiS6_PKS3_S8_S4_PS3_21rocsparse_index_base_b.num_agpr, 0
	.set _ZN9rocsparseL19gebsrmvn_4xn_kernelILj128ELj2ELj16EdEEvi20rocsparse_direction_NS_24const_host_device_scalarIT2_EEPKiS6_PKS3_S8_S4_PS3_21rocsparse_index_base_b.numbered_sgpr, 16
	.set _ZN9rocsparseL19gebsrmvn_4xn_kernelILj128ELj2ELj16EdEEvi20rocsparse_direction_NS_24const_host_device_scalarIT2_EEPKiS6_PKS3_S8_S4_PS3_21rocsparse_index_base_b.num_named_barrier, 0
	.set _ZN9rocsparseL19gebsrmvn_4xn_kernelILj128ELj2ELj16EdEEvi20rocsparse_direction_NS_24const_host_device_scalarIT2_EEPKiS6_PKS3_S8_S4_PS3_21rocsparse_index_base_b.private_seg_size, 0
	.set _ZN9rocsparseL19gebsrmvn_4xn_kernelILj128ELj2ELj16EdEEvi20rocsparse_direction_NS_24const_host_device_scalarIT2_EEPKiS6_PKS3_S8_S4_PS3_21rocsparse_index_base_b.uses_vcc, 1
	.set _ZN9rocsparseL19gebsrmvn_4xn_kernelILj128ELj2ELj16EdEEvi20rocsparse_direction_NS_24const_host_device_scalarIT2_EEPKiS6_PKS3_S8_S4_PS3_21rocsparse_index_base_b.uses_flat_scratch, 0
	.set _ZN9rocsparseL19gebsrmvn_4xn_kernelILj128ELj2ELj16EdEEvi20rocsparse_direction_NS_24const_host_device_scalarIT2_EEPKiS6_PKS3_S8_S4_PS3_21rocsparse_index_base_b.has_dyn_sized_stack, 0
	.set _ZN9rocsparseL19gebsrmvn_4xn_kernelILj128ELj2ELj16EdEEvi20rocsparse_direction_NS_24const_host_device_scalarIT2_EEPKiS6_PKS3_S8_S4_PS3_21rocsparse_index_base_b.has_recursion, 0
	.set _ZN9rocsparseL19gebsrmvn_4xn_kernelILj128ELj2ELj16EdEEvi20rocsparse_direction_NS_24const_host_device_scalarIT2_EEPKiS6_PKS3_S8_S4_PS3_21rocsparse_index_base_b.has_indirect_call, 0
	.section	.AMDGPU.csdata,"",@progbits
; Kernel info:
; codeLenInByte = 1276
; TotalNumSgprs: 22
; NumVgprs: 46
; NumAgprs: 0
; TotalNumVgprs: 46
; ScratchSize: 0
; MemoryBound: 0
; FloatMode: 240
; IeeeMode: 1
; LDSByteSize: 0 bytes/workgroup (compile time only)
; SGPRBlocks: 2
; VGPRBlocks: 5
; NumSGPRsForWavesPerEU: 22
; NumVGPRsForWavesPerEU: 46
; AccumOffset: 48
; Occupancy: 8
; WaveLimiterHint : 1
; COMPUTE_PGM_RSRC2:SCRATCH_EN: 0
; COMPUTE_PGM_RSRC2:USER_SGPR: 2
; COMPUTE_PGM_RSRC2:TRAP_HANDLER: 0
; COMPUTE_PGM_RSRC2:TGID_X_EN: 1
; COMPUTE_PGM_RSRC2:TGID_Y_EN: 0
; COMPUTE_PGM_RSRC2:TGID_Z_EN: 0
; COMPUTE_PGM_RSRC2:TIDIG_COMP_CNT: 0
; COMPUTE_PGM_RSRC3_GFX90A:ACCUM_OFFSET: 11
; COMPUTE_PGM_RSRC3_GFX90A:TG_SPLIT: 0
	.section	.text._ZN9rocsparseL19gebsrmvn_4xn_kernelILj128ELj2ELj32EdEEvi20rocsparse_direction_NS_24const_host_device_scalarIT2_EEPKiS6_PKS3_S8_S4_PS3_21rocsparse_index_base_b,"axG",@progbits,_ZN9rocsparseL19gebsrmvn_4xn_kernelILj128ELj2ELj32EdEEvi20rocsparse_direction_NS_24const_host_device_scalarIT2_EEPKiS6_PKS3_S8_S4_PS3_21rocsparse_index_base_b,comdat
	.globl	_ZN9rocsparseL19gebsrmvn_4xn_kernelILj128ELj2ELj32EdEEvi20rocsparse_direction_NS_24const_host_device_scalarIT2_EEPKiS6_PKS3_S8_S4_PS3_21rocsparse_index_base_b ; -- Begin function _ZN9rocsparseL19gebsrmvn_4xn_kernelILj128ELj2ELj32EdEEvi20rocsparse_direction_NS_24const_host_device_scalarIT2_EEPKiS6_PKS3_S8_S4_PS3_21rocsparse_index_base_b
	.p2align	8
	.type	_ZN9rocsparseL19gebsrmvn_4xn_kernelILj128ELj2ELj32EdEEvi20rocsparse_direction_NS_24const_host_device_scalarIT2_EEPKiS6_PKS3_S8_S4_PS3_21rocsparse_index_base_b,@function
_ZN9rocsparseL19gebsrmvn_4xn_kernelILj128ELj2ELj32EdEEvi20rocsparse_direction_NS_24const_host_device_scalarIT2_EEPKiS6_PKS3_S8_S4_PS3_21rocsparse_index_base_b: ; @_ZN9rocsparseL19gebsrmvn_4xn_kernelILj128ELj2ELj32EdEEvi20rocsparse_direction_NS_24const_host_device_scalarIT2_EEPKiS6_PKS3_S8_S4_PS3_21rocsparse_index_base_b
; %bb.0:
	s_load_dwordx2 s[12:13], s[0:1], 0x40
	s_load_dwordx2 s[8:9], s[0:1], 0x8
	;; [unrolled: 1-line block ×3, first 2 shown]
	s_waitcnt lgkmcnt(0)
	s_bitcmp1_b32 s13, 0
	s_cselect_b64 s[10:11], -1, 0
	s_xor_b64 s[6:7], s[10:11], -1
	s_and_b64 vcc, exec, s[10:11]
	v_mov_b64_e32 v[2:3], s[8:9]
	s_cbranch_vccnz .LBB45_2
; %bb.1:
	v_mov_b64_e32 v[2:3], s[8:9]
	flat_load_dwordx2 v[2:3], v[2:3]
.LBB45_2:
	s_andn2_b64 vcc, exec, s[6:7]
	v_mov_b64_e32 v[4:5], s[4:5]
	s_cbranch_vccnz .LBB45_4
; %bb.3:
	v_mov_b64_e32 v[4:5], s[4:5]
	flat_load_dwordx2 v[4:5], v[4:5]
.LBB45_4:
	s_waitcnt vmcnt(0) lgkmcnt(0)
	v_cmp_neq_f64_e32 vcc, 0, v[2:3]
	v_cmp_neq_f64_e64 s[4:5], 1.0, v[4:5]
	s_or_b64 s[4:5], vcc, s[4:5]
	s_and_saveexec_b64 s[6:7], s[4:5]
	s_cbranch_execz .LBB45_23
; %bb.5:
	s_load_dwordx2 s[14:15], s[0:1], 0x0
	v_lshrrev_b32_e32 v1, 5, v0
	v_lshl_or_b32 v6, s2, 2, v1
	s_waitcnt lgkmcnt(0)
	v_cmp_gt_i32_e32 vcc, s14, v6
	s_and_b64 exec, exec, vcc
	s_cbranch_execz .LBB45_23
; %bb.6:
	s_load_dwordx8 s[4:11], s[0:1], 0x10
	v_ashrrev_i32_e32 v7, 31, v6
	s_cmp_lg_u32 s15, 0
	s_waitcnt lgkmcnt(0)
	v_lshl_add_u64 v[8:9], v[6:7], 2, s[4:5]
	global_load_dwordx2 v[8:9], v[8:9], off
	v_and_b32_e32 v7, 31, v0
	s_waitcnt vmcnt(0)
	v_subrev_u32_e32 v0, s12, v8
	v_subrev_u32_e32 v20, s12, v9
	v_add_u32_e32 v14, v0, v7
	v_cmp_lt_i32_e64 s[2:3], v14, v20
	s_cbranch_scc0 .LBB45_12
; %bb.7:
	v_mov_b64_e32 v[10:11], 0
	v_mov_b64_e32 v[0:1], 0
	v_mov_b64_e32 v[8:9], 0
	v_mov_b64_e32 v[12:13], 0
	s_and_saveexec_b64 s[4:5], s[2:3]
	s_cbranch_execz .LBB45_11
; %bb.8:
	v_lshlrev_b32_e32 v16, 3, v14
	v_mov_b64_e32 v[10:11], 0
	s_mov_b64 s[14:15], 0
	v_mov_b32_e32 v17, 0
	v_mov_b32_e32 v18, v14
	v_mov_b64_e32 v[0:1], 0
	v_mov_b64_e32 v[8:9], 0
	;; [unrolled: 1-line block ×3, first 2 shown]
.LBB45_9:                               ; =>This Inner Loop Header: Depth=1
	v_ashrrev_i32_e32 v19, 31, v18
	v_lshl_add_u64 v[22:23], v[18:19], 2, s[6:7]
	global_load_dword v15, v[22:23], off
	v_lshl_add_u64 v[42:43], v[16:17], 3, s[8:9]
	v_mov_b32_e32 v35, v17
	global_load_dwordx4 v[22:25], v[42:43], off offset:32
	global_load_dwordx4 v[26:29], v[42:43], off offset:16
	global_load_dwordx4 v[30:33], v[42:43], off
	v_add_u32_e32 v18, 32, v18
	v_cmp_ge_i32_e32 vcc, v18, v20
	v_add_u32_e32 v16, 0x100, v16
	s_or_b64 s[14:15], vcc, s[14:15]
	s_waitcnt vmcnt(3)
	v_subrev_u32_e32 v15, s12, v15
	v_lshlrev_b32_e32 v34, 1, v15
	v_lshl_add_u64 v[44:45], v[34:35], 3, s[10:11]
	global_load_dwordx4 v[34:37], v[44:45], off
	global_load_dwordx4 v[38:41], v[42:43], off offset:48
	s_waitcnt vmcnt(1)
	v_fmac_f64_e32 v[10:11], v[30:31], v[34:35]
	v_fmac_f64_e32 v[12:13], v[32:33], v[34:35]
	;; [unrolled: 1-line block ×6, first 2 shown]
	s_waitcnt vmcnt(0)
	v_fmac_f64_e32 v[8:9], v[38:39], v[36:37]
	v_fmac_f64_e32 v[0:1], v[40:41], v[36:37]
	s_andn2_b64 exec, exec, s[14:15]
	s_cbranch_execnz .LBB45_9
; %bb.10:
	s_or_b64 exec, exec, s[14:15]
.LBB45_11:
	s_or_b64 exec, exec, s[4:5]
	s_cbranch_execz .LBB45_13
	s_branch .LBB45_18
.LBB45_12:
                                        ; implicit-def: $vgpr10_vgpr11
                                        ; implicit-def: $vgpr0_vgpr1
                                        ; implicit-def: $vgpr8_vgpr9
                                        ; implicit-def: $vgpr12_vgpr13
.LBB45_13:
	v_mov_b64_e32 v[10:11], 0
	v_mov_b64_e32 v[0:1], 0
	;; [unrolled: 1-line block ×4, first 2 shown]
	s_and_saveexec_b64 s[4:5], s[2:3]
	s_cbranch_execz .LBB45_17
; %bb.14:
	v_lshlrev_b32_e32 v16, 3, v14
	v_mov_b64_e32 v[10:11], 0
	s_mov_b64 s[2:3], 0
	v_mov_b32_e32 v17, 0
	v_mov_b64_e32 v[0:1], 0
	v_mov_b64_e32 v[8:9], 0
	;; [unrolled: 1-line block ×3, first 2 shown]
.LBB45_15:                              ; =>This Inner Loop Header: Depth=1
	v_ashrrev_i32_e32 v15, 31, v14
	v_lshl_add_u64 v[18:19], v[14:15], 2, s[6:7]
	global_load_dword v15, v[18:19], off
	v_lshl_add_u64 v[18:19], v[16:17], 3, s[8:9]
	v_mov_b32_e32 v39, v17
	global_load_dwordx4 v[22:25], v[18:19], off offset:48
	global_load_dwordx4 v[26:29], v[18:19], off offset:32
	;; [unrolled: 1-line block ×3, first 2 shown]
	global_load_dwordx4 v[34:37], v[18:19], off
	v_add_u32_e32 v14, 32, v14
	v_cmp_ge_i32_e32 vcc, v14, v20
	v_add_u32_e32 v16, 0x100, v16
	s_or_b64 s[2:3], vcc, s[2:3]
	s_waitcnt vmcnt(4)
	v_subrev_u32_e32 v15, s12, v15
	v_lshlrev_b32_e32 v38, 1, v15
	v_lshl_add_u64 v[18:19], v[38:39], 3, s[10:11]
	global_load_dwordx4 v[38:41], v[18:19], off
	s_waitcnt vmcnt(0)
	v_fmac_f64_e32 v[10:11], v[34:35], v[38:39]
	v_fmac_f64_e32 v[12:13], v[30:31], v[38:39]
	;; [unrolled: 1-line block ×8, first 2 shown]
	s_andn2_b64 exec, exec, s[2:3]
	s_cbranch_execnz .LBB45_15
; %bb.16:
	s_or_b64 exec, exec, s[2:3]
.LBB45_17:
	s_or_b64 exec, exec, s[4:5]
.LBB45_18:
	v_mov_b32_dpp v16, v12 row_shr:1 row_mask:0xf bank_mask:0xf
	v_mov_b32_dpp v17, v13 row_shr:1 row_mask:0xf bank_mask:0xf
	v_add_f64 v[12:13], v[12:13], v[16:17]
	v_mov_b32_dpp v14, v10 row_shr:1 row_mask:0xf bank_mask:0xf
	v_mov_b32_dpp v15, v11 row_shr:1 row_mask:0xf bank_mask:0xf
	;; [unrolled: 1-line block ×4, first 2 shown]
	v_add_f64 v[12:13], v[12:13], v[16:17]
	v_add_f64 v[10:11], v[10:11], v[14:15]
	v_cmp_eq_u32_e32 vcc, 31, v7
	v_mov_b32_dpp v16, v12 row_shr:4 row_mask:0xf bank_mask:0xe
	v_mov_b32_dpp v17, v13 row_shr:4 row_mask:0xf bank_mask:0xe
	v_add_f64 v[12:13], v[12:13], v[16:17]
	v_mov_b32_dpp v14, v10 row_shr:2 row_mask:0xf bank_mask:0xf
	v_mov_b32_dpp v15, v11 row_shr:2 row_mask:0xf bank_mask:0xf
	;; [unrolled: 1-line block ×4, first 2 shown]
	v_add_f64 v[16:17], v[12:13], v[16:17]
	v_mov_b32_dpp v12, v8 row_shr:1 row_mask:0xf bank_mask:0xf
	v_mov_b32_dpp v13, v9 row_shr:1 row_mask:0xf bank_mask:0xf
	v_add_f64 v[8:9], v[8:9], v[12:13]
	v_add_f64 v[10:11], v[10:11], v[14:15]
	v_mov_b32_dpp v18, v16 row_bcast:15 row_mask:0xa bank_mask:0xf
	v_mov_b32_dpp v12, v8 row_shr:2 row_mask:0xf bank_mask:0xf
	v_mov_b32_dpp v13, v9 row_shr:2 row_mask:0xf bank_mask:0xf
	v_add_f64 v[8:9], v[8:9], v[12:13]
	v_mov_b32_dpp v14, v10 row_shr:4 row_mask:0xf bank_mask:0xe
	v_mov_b32_dpp v15, v11 row_shr:4 row_mask:0xf bank_mask:0xe
	;; [unrolled: 1-line block ×4, first 2 shown]
	v_add_f64 v[8:9], v[8:9], v[12:13]
	v_add_f64 v[10:11], v[10:11], v[14:15]
	v_mov_b32_dpp v19, v17 row_bcast:15 row_mask:0xa bank_mask:0xf
	v_mov_b32_dpp v12, v8 row_shr:8 row_mask:0xf bank_mask:0xc
	v_mov_b32_dpp v13, v9 row_shr:8 row_mask:0xf bank_mask:0xc
	v_add_f64 v[8:9], v[8:9], v[12:13]
	v_mov_b32_dpp v12, v0 row_shr:1 row_mask:0xf bank_mask:0xf
	v_mov_b32_dpp v13, v1 row_shr:1 row_mask:0xf bank_mask:0xf
	v_add_f64 v[0:1], v[0:1], v[12:13]
	v_mov_b32_dpp v14, v10 row_shr:8 row_mask:0xf bank_mask:0xc
	v_mov_b32_dpp v15, v11 row_shr:8 row_mask:0xf bank_mask:0xc
	;; [unrolled: 1-line block ×4, first 2 shown]
	v_add_f64 v[0:1], v[0:1], v[12:13]
	v_add_f64 v[10:11], v[10:11], v[14:15]
	v_mov_b32_dpp v20, v8 row_bcast:15 row_mask:0xa bank_mask:0xf
	v_mov_b32_dpp v12, v0 row_shr:4 row_mask:0xf bank_mask:0xe
	v_mov_b32_dpp v13, v1 row_shr:4 row_mask:0xf bank_mask:0xe
	v_add_f64 v[0:1], v[0:1], v[12:13]
	v_mov_b32_dpp v14, v10 row_bcast:15 row_mask:0xa bank_mask:0xf
	v_mov_b32_dpp v15, v11 row_bcast:15 row_mask:0xa bank_mask:0xf
	v_mov_b32_dpp v12, v0 row_shr:8 row_mask:0xf bank_mask:0xc
	v_mov_b32_dpp v13, v1 row_shr:8 row_mask:0xf bank_mask:0xc
	v_add_f64 v[22:23], v[0:1], v[12:13]
	v_mov_b32_dpp v21, v9 row_bcast:15 row_mask:0xa bank_mask:0xf
	s_nop 0
	v_mov_b32_dpp v24, v22 row_bcast:15 row_mask:0xa bank_mask:0xf
	v_mov_b32_dpp v25, v23 row_bcast:15 row_mask:0xa bank_mask:0xf
	s_and_b64 exec, exec, vcc
	s_cbranch_execz .LBB45_23
; %bb.19:
	s_load_dwordx2 s[0:1], s[0:1], 0x38
	v_add_f64 v[12:13], v[10:11], v[14:15]
	v_add_f64 v[10:11], v[16:17], v[18:19]
	v_add_f64 v[0:1], v[8:9], v[20:21]
	v_add_f64 v[8:9], v[22:23], v[24:25]
	v_cmp_eq_f64_e32 vcc, 0, v[4:5]
	s_and_saveexec_b64 s[2:3], vcc
	s_xor_b64 s[2:3], exec, s[2:3]
	s_cbranch_execz .LBB45_21
; %bb.20:
	v_lshlrev_b32_e32 v6, 2, v6
	v_ashrrev_i32_e32 v7, 31, v6
	v_mul_f64 v[4:5], v[2:3], v[12:13]
	s_waitcnt lgkmcnt(0)
	v_lshl_add_u64 v[12:13], v[6:7], 3, s[0:1]
	v_mul_f64 v[6:7], v[2:3], v[10:11]
	v_mul_f64 v[0:1], v[2:3], v[0:1]
	;; [unrolled: 1-line block ×3, first 2 shown]
	global_store_dwordx4 v[12:13], v[4:7], off
	global_store_dwordx4 v[12:13], v[0:3], off offset:16
                                        ; implicit-def: $vgpr6
                                        ; implicit-def: $vgpr2_vgpr3
                                        ; implicit-def: $vgpr12_vgpr13
                                        ; implicit-def: $vgpr4_vgpr5
                                        ; implicit-def: $vgpr10_vgpr11
                                        ; implicit-def: $vgpr0_vgpr1
                                        ; implicit-def: $vgpr8_vgpr9
.LBB45_21:
	s_andn2_saveexec_b64 s[2:3], s[2:3]
	s_cbranch_execz .LBB45_23
; %bb.22:
	v_lshlrev_b32_e32 v6, 2, v6
	v_ashrrev_i32_e32 v7, 31, v6
	s_waitcnt lgkmcnt(0)
	v_lshl_add_u64 v[6:7], v[6:7], 3, s[0:1]
	global_load_dwordx4 v[14:17], v[6:7], off
	global_load_dwordx4 v[18:21], v[6:7], off offset:16
	v_mul_f64 v[22:23], v[2:3], v[12:13]
	v_mul_f64 v[24:25], v[2:3], v[10:11]
	;; [unrolled: 1-line block ×4, first 2 shown]
	s_waitcnt vmcnt(1)
	v_fmac_f64_e32 v[22:23], v[4:5], v[14:15]
	v_fmac_f64_e32 v[24:25], v[4:5], v[16:17]
	s_waitcnt vmcnt(0)
	v_fmac_f64_e32 v[0:1], v[4:5], v[18:19]
	v_fmac_f64_e32 v[2:3], v[4:5], v[20:21]
	global_store_dwordx4 v[6:7], v[22:25], off
	global_store_dwordx4 v[6:7], v[0:3], off offset:16
.LBB45_23:
	s_endpgm
	.section	.rodata,"a",@progbits
	.p2align	6, 0x0
	.amdhsa_kernel _ZN9rocsparseL19gebsrmvn_4xn_kernelILj128ELj2ELj32EdEEvi20rocsparse_direction_NS_24const_host_device_scalarIT2_EEPKiS6_PKS3_S8_S4_PS3_21rocsparse_index_base_b
		.amdhsa_group_segment_fixed_size 0
		.amdhsa_private_segment_fixed_size 0
		.amdhsa_kernarg_size 72
		.amdhsa_user_sgpr_count 2
		.amdhsa_user_sgpr_dispatch_ptr 0
		.amdhsa_user_sgpr_queue_ptr 0
		.amdhsa_user_sgpr_kernarg_segment_ptr 1
		.amdhsa_user_sgpr_dispatch_id 0
		.amdhsa_user_sgpr_kernarg_preload_length 0
		.amdhsa_user_sgpr_kernarg_preload_offset 0
		.amdhsa_user_sgpr_private_segment_size 0
		.amdhsa_uses_dynamic_stack 0
		.amdhsa_enable_private_segment 0
		.amdhsa_system_sgpr_workgroup_id_x 1
		.amdhsa_system_sgpr_workgroup_id_y 0
		.amdhsa_system_sgpr_workgroup_id_z 0
		.amdhsa_system_sgpr_workgroup_info 0
		.amdhsa_system_vgpr_workitem_id 0
		.amdhsa_next_free_vgpr 46
		.amdhsa_next_free_sgpr 16
		.amdhsa_accum_offset 48
		.amdhsa_reserve_vcc 1
		.amdhsa_float_round_mode_32 0
		.amdhsa_float_round_mode_16_64 0
		.amdhsa_float_denorm_mode_32 3
		.amdhsa_float_denorm_mode_16_64 3
		.amdhsa_dx10_clamp 1
		.amdhsa_ieee_mode 1
		.amdhsa_fp16_overflow 0
		.amdhsa_tg_split 0
		.amdhsa_exception_fp_ieee_invalid_op 0
		.amdhsa_exception_fp_denorm_src 0
		.amdhsa_exception_fp_ieee_div_zero 0
		.amdhsa_exception_fp_ieee_overflow 0
		.amdhsa_exception_fp_ieee_underflow 0
		.amdhsa_exception_fp_ieee_inexact 0
		.amdhsa_exception_int_div_zero 0
	.end_amdhsa_kernel
	.section	.text._ZN9rocsparseL19gebsrmvn_4xn_kernelILj128ELj2ELj32EdEEvi20rocsparse_direction_NS_24const_host_device_scalarIT2_EEPKiS6_PKS3_S8_S4_PS3_21rocsparse_index_base_b,"axG",@progbits,_ZN9rocsparseL19gebsrmvn_4xn_kernelILj128ELj2ELj32EdEEvi20rocsparse_direction_NS_24const_host_device_scalarIT2_EEPKiS6_PKS3_S8_S4_PS3_21rocsparse_index_base_b,comdat
.Lfunc_end45:
	.size	_ZN9rocsparseL19gebsrmvn_4xn_kernelILj128ELj2ELj32EdEEvi20rocsparse_direction_NS_24const_host_device_scalarIT2_EEPKiS6_PKS3_S8_S4_PS3_21rocsparse_index_base_b, .Lfunc_end45-_ZN9rocsparseL19gebsrmvn_4xn_kernelILj128ELj2ELj32EdEEvi20rocsparse_direction_NS_24const_host_device_scalarIT2_EEPKiS6_PKS3_S8_S4_PS3_21rocsparse_index_base_b
                                        ; -- End function
	.set _ZN9rocsparseL19gebsrmvn_4xn_kernelILj128ELj2ELj32EdEEvi20rocsparse_direction_NS_24const_host_device_scalarIT2_EEPKiS6_PKS3_S8_S4_PS3_21rocsparse_index_base_b.num_vgpr, 46
	.set _ZN9rocsparseL19gebsrmvn_4xn_kernelILj128ELj2ELj32EdEEvi20rocsparse_direction_NS_24const_host_device_scalarIT2_EEPKiS6_PKS3_S8_S4_PS3_21rocsparse_index_base_b.num_agpr, 0
	.set _ZN9rocsparseL19gebsrmvn_4xn_kernelILj128ELj2ELj32EdEEvi20rocsparse_direction_NS_24const_host_device_scalarIT2_EEPKiS6_PKS3_S8_S4_PS3_21rocsparse_index_base_b.numbered_sgpr, 16
	.set _ZN9rocsparseL19gebsrmvn_4xn_kernelILj128ELj2ELj32EdEEvi20rocsparse_direction_NS_24const_host_device_scalarIT2_EEPKiS6_PKS3_S8_S4_PS3_21rocsparse_index_base_b.num_named_barrier, 0
	.set _ZN9rocsparseL19gebsrmvn_4xn_kernelILj128ELj2ELj32EdEEvi20rocsparse_direction_NS_24const_host_device_scalarIT2_EEPKiS6_PKS3_S8_S4_PS3_21rocsparse_index_base_b.private_seg_size, 0
	.set _ZN9rocsparseL19gebsrmvn_4xn_kernelILj128ELj2ELj32EdEEvi20rocsparse_direction_NS_24const_host_device_scalarIT2_EEPKiS6_PKS3_S8_S4_PS3_21rocsparse_index_base_b.uses_vcc, 1
	.set _ZN9rocsparseL19gebsrmvn_4xn_kernelILj128ELj2ELj32EdEEvi20rocsparse_direction_NS_24const_host_device_scalarIT2_EEPKiS6_PKS3_S8_S4_PS3_21rocsparse_index_base_b.uses_flat_scratch, 0
	.set _ZN9rocsparseL19gebsrmvn_4xn_kernelILj128ELj2ELj32EdEEvi20rocsparse_direction_NS_24const_host_device_scalarIT2_EEPKiS6_PKS3_S8_S4_PS3_21rocsparse_index_base_b.has_dyn_sized_stack, 0
	.set _ZN9rocsparseL19gebsrmvn_4xn_kernelILj128ELj2ELj32EdEEvi20rocsparse_direction_NS_24const_host_device_scalarIT2_EEPKiS6_PKS3_S8_S4_PS3_21rocsparse_index_base_b.has_recursion, 0
	.set _ZN9rocsparseL19gebsrmvn_4xn_kernelILj128ELj2ELj32EdEEvi20rocsparse_direction_NS_24const_host_device_scalarIT2_EEPKiS6_PKS3_S8_S4_PS3_21rocsparse_index_base_b.has_indirect_call, 0
	.section	.AMDGPU.csdata,"",@progbits
; Kernel info:
; codeLenInByte = 1376
; TotalNumSgprs: 22
; NumVgprs: 46
; NumAgprs: 0
; TotalNumVgprs: 46
; ScratchSize: 0
; MemoryBound: 0
; FloatMode: 240
; IeeeMode: 1
; LDSByteSize: 0 bytes/workgroup (compile time only)
; SGPRBlocks: 2
; VGPRBlocks: 5
; NumSGPRsForWavesPerEU: 22
; NumVGPRsForWavesPerEU: 46
; AccumOffset: 48
; Occupancy: 8
; WaveLimiterHint : 1
; COMPUTE_PGM_RSRC2:SCRATCH_EN: 0
; COMPUTE_PGM_RSRC2:USER_SGPR: 2
; COMPUTE_PGM_RSRC2:TRAP_HANDLER: 0
; COMPUTE_PGM_RSRC2:TGID_X_EN: 1
; COMPUTE_PGM_RSRC2:TGID_Y_EN: 0
; COMPUTE_PGM_RSRC2:TGID_Z_EN: 0
; COMPUTE_PGM_RSRC2:TIDIG_COMP_CNT: 0
; COMPUTE_PGM_RSRC3_GFX90A:ACCUM_OFFSET: 11
; COMPUTE_PGM_RSRC3_GFX90A:TG_SPLIT: 0
	.section	.text._ZN9rocsparseL19gebsrmvn_4xn_kernelILj128ELj2ELj64EdEEvi20rocsparse_direction_NS_24const_host_device_scalarIT2_EEPKiS6_PKS3_S8_S4_PS3_21rocsparse_index_base_b,"axG",@progbits,_ZN9rocsparseL19gebsrmvn_4xn_kernelILj128ELj2ELj64EdEEvi20rocsparse_direction_NS_24const_host_device_scalarIT2_EEPKiS6_PKS3_S8_S4_PS3_21rocsparse_index_base_b,comdat
	.globl	_ZN9rocsparseL19gebsrmvn_4xn_kernelILj128ELj2ELj64EdEEvi20rocsparse_direction_NS_24const_host_device_scalarIT2_EEPKiS6_PKS3_S8_S4_PS3_21rocsparse_index_base_b ; -- Begin function _ZN9rocsparseL19gebsrmvn_4xn_kernelILj128ELj2ELj64EdEEvi20rocsparse_direction_NS_24const_host_device_scalarIT2_EEPKiS6_PKS3_S8_S4_PS3_21rocsparse_index_base_b
	.p2align	8
	.type	_ZN9rocsparseL19gebsrmvn_4xn_kernelILj128ELj2ELj64EdEEvi20rocsparse_direction_NS_24const_host_device_scalarIT2_EEPKiS6_PKS3_S8_S4_PS3_21rocsparse_index_base_b,@function
_ZN9rocsparseL19gebsrmvn_4xn_kernelILj128ELj2ELj64EdEEvi20rocsparse_direction_NS_24const_host_device_scalarIT2_EEPKiS6_PKS3_S8_S4_PS3_21rocsparse_index_base_b: ; @_ZN9rocsparseL19gebsrmvn_4xn_kernelILj128ELj2ELj64EdEEvi20rocsparse_direction_NS_24const_host_device_scalarIT2_EEPKiS6_PKS3_S8_S4_PS3_21rocsparse_index_base_b
; %bb.0:
	s_load_dwordx2 s[12:13], s[0:1], 0x40
	s_load_dwordx2 s[8:9], s[0:1], 0x8
	;; [unrolled: 1-line block ×3, first 2 shown]
	s_waitcnt lgkmcnt(0)
	s_bitcmp1_b32 s13, 0
	s_cselect_b64 s[10:11], -1, 0
	s_xor_b64 s[6:7], s[10:11], -1
	s_and_b64 vcc, exec, s[10:11]
	v_mov_b64_e32 v[2:3], s[8:9]
	s_cbranch_vccnz .LBB46_2
; %bb.1:
	v_mov_b64_e32 v[2:3], s[8:9]
	flat_load_dwordx2 v[2:3], v[2:3]
.LBB46_2:
	s_andn2_b64 vcc, exec, s[6:7]
	v_mov_b64_e32 v[4:5], s[4:5]
	s_cbranch_vccnz .LBB46_4
; %bb.3:
	v_mov_b64_e32 v[4:5], s[4:5]
	flat_load_dwordx2 v[4:5], v[4:5]
.LBB46_4:
	s_waitcnt vmcnt(0) lgkmcnt(0)
	v_cmp_neq_f64_e32 vcc, 0, v[2:3]
	v_cmp_neq_f64_e64 s[4:5], 1.0, v[4:5]
	s_or_b64 s[4:5], vcc, s[4:5]
	s_and_saveexec_b64 s[6:7], s[4:5]
	s_cbranch_execz .LBB46_23
; %bb.5:
	s_load_dwordx2 s[14:15], s[0:1], 0x0
	v_lshrrev_b32_e32 v1, 6, v0
	v_lshl_or_b32 v6, s2, 1, v1
	s_waitcnt lgkmcnt(0)
	v_cmp_gt_i32_e32 vcc, s14, v6
	s_and_b64 exec, exec, vcc
	s_cbranch_execz .LBB46_23
; %bb.6:
	s_load_dwordx8 s[4:11], s[0:1], 0x10
	v_ashrrev_i32_e32 v7, 31, v6
	s_cmp_lg_u32 s15, 0
	s_waitcnt lgkmcnt(0)
	v_lshl_add_u64 v[8:9], v[6:7], 2, s[4:5]
	global_load_dwordx2 v[8:9], v[8:9], off
	v_and_b32_e32 v7, 63, v0
	s_waitcnt vmcnt(0)
	v_subrev_u32_e32 v0, s12, v8
	v_subrev_u32_e32 v20, s12, v9
	v_add_u32_e32 v14, v0, v7
	v_cmp_lt_i32_e64 s[2:3], v14, v20
	s_cbranch_scc0 .LBB46_12
; %bb.7:
	v_mov_b64_e32 v[10:11], 0
	v_mov_b64_e32 v[0:1], 0
	;; [unrolled: 1-line block ×4, first 2 shown]
	s_and_saveexec_b64 s[4:5], s[2:3]
	s_cbranch_execz .LBB46_11
; %bb.8:
	v_lshlrev_b32_e32 v16, 3, v14
	v_mov_b64_e32 v[10:11], 0
	s_mov_b64 s[14:15], 0
	v_mov_b32_e32 v17, 0
	v_mov_b32_e32 v18, v14
	v_mov_b64_e32 v[0:1], 0
	v_mov_b64_e32 v[8:9], 0
	;; [unrolled: 1-line block ×3, first 2 shown]
.LBB46_9:                               ; =>This Inner Loop Header: Depth=1
	v_ashrrev_i32_e32 v19, 31, v18
	v_lshl_add_u64 v[22:23], v[18:19], 2, s[6:7]
	global_load_dword v15, v[22:23], off
	v_lshl_add_u64 v[42:43], v[16:17], 3, s[8:9]
	v_mov_b32_e32 v35, v17
	global_load_dwordx4 v[22:25], v[42:43], off offset:32
	global_load_dwordx4 v[26:29], v[42:43], off offset:16
	global_load_dwordx4 v[30:33], v[42:43], off
	v_add_u32_e32 v18, 64, v18
	v_cmp_ge_i32_e32 vcc, v18, v20
	v_add_u32_e32 v16, 0x200, v16
	s_or_b64 s[14:15], vcc, s[14:15]
	s_waitcnt vmcnt(3)
	v_subrev_u32_e32 v15, s12, v15
	v_lshlrev_b32_e32 v34, 1, v15
	v_lshl_add_u64 v[44:45], v[34:35], 3, s[10:11]
	global_load_dwordx4 v[34:37], v[44:45], off
	global_load_dwordx4 v[38:41], v[42:43], off offset:48
	s_waitcnt vmcnt(1)
	v_fmac_f64_e32 v[10:11], v[30:31], v[34:35]
	v_fmac_f64_e32 v[12:13], v[32:33], v[34:35]
	;; [unrolled: 1-line block ×6, first 2 shown]
	s_waitcnt vmcnt(0)
	v_fmac_f64_e32 v[8:9], v[38:39], v[36:37]
	v_fmac_f64_e32 v[0:1], v[40:41], v[36:37]
	s_andn2_b64 exec, exec, s[14:15]
	s_cbranch_execnz .LBB46_9
; %bb.10:
	s_or_b64 exec, exec, s[14:15]
.LBB46_11:
	s_or_b64 exec, exec, s[4:5]
	s_cbranch_execz .LBB46_13
	s_branch .LBB46_18
.LBB46_12:
                                        ; implicit-def: $vgpr10_vgpr11
                                        ; implicit-def: $vgpr0_vgpr1
                                        ; implicit-def: $vgpr8_vgpr9
                                        ; implicit-def: $vgpr12_vgpr13
.LBB46_13:
	v_mov_b64_e32 v[10:11], 0
	v_mov_b64_e32 v[0:1], 0
	;; [unrolled: 1-line block ×4, first 2 shown]
	s_and_saveexec_b64 s[4:5], s[2:3]
	s_cbranch_execz .LBB46_17
; %bb.14:
	v_lshlrev_b32_e32 v16, 3, v14
	v_mov_b64_e32 v[10:11], 0
	s_mov_b64 s[2:3], 0
	v_mov_b32_e32 v17, 0
	v_mov_b64_e32 v[0:1], 0
	v_mov_b64_e32 v[8:9], 0
	;; [unrolled: 1-line block ×3, first 2 shown]
.LBB46_15:                              ; =>This Inner Loop Header: Depth=1
	v_ashrrev_i32_e32 v15, 31, v14
	v_lshl_add_u64 v[18:19], v[14:15], 2, s[6:7]
	global_load_dword v15, v[18:19], off
	v_lshl_add_u64 v[18:19], v[16:17], 3, s[8:9]
	v_mov_b32_e32 v39, v17
	global_load_dwordx4 v[22:25], v[18:19], off offset:48
	global_load_dwordx4 v[26:29], v[18:19], off offset:32
	;; [unrolled: 1-line block ×3, first 2 shown]
	global_load_dwordx4 v[34:37], v[18:19], off
	v_add_u32_e32 v14, 64, v14
	v_cmp_ge_i32_e32 vcc, v14, v20
	v_add_u32_e32 v16, 0x200, v16
	s_or_b64 s[2:3], vcc, s[2:3]
	s_waitcnt vmcnt(4)
	v_subrev_u32_e32 v15, s12, v15
	v_lshlrev_b32_e32 v38, 1, v15
	v_lshl_add_u64 v[18:19], v[38:39], 3, s[10:11]
	global_load_dwordx4 v[38:41], v[18:19], off
	s_waitcnt vmcnt(0)
	v_fmac_f64_e32 v[10:11], v[34:35], v[38:39]
	v_fmac_f64_e32 v[12:13], v[30:31], v[38:39]
	;; [unrolled: 1-line block ×8, first 2 shown]
	s_andn2_b64 exec, exec, s[2:3]
	s_cbranch_execnz .LBB46_15
; %bb.16:
	s_or_b64 exec, exec, s[2:3]
.LBB46_17:
	s_or_b64 exec, exec, s[4:5]
.LBB46_18:
	v_mov_b32_dpp v14, v10 row_shr:1 row_mask:0xf bank_mask:0xf
	v_mov_b32_dpp v15, v11 row_shr:1 row_mask:0xf bank_mask:0xf
	v_mov_b32_dpp v16, v12 row_shr:1 row_mask:0xf bank_mask:0xf
	v_mov_b32_dpp v17, v13 row_shr:1 row_mask:0xf bank_mask:0xf
	v_mov_b32_dpp v18, v8 row_shr:1 row_mask:0xf bank_mask:0xf
	v_mov_b32_dpp v19, v9 row_shr:1 row_mask:0xf bank_mask:0xf
	v_mov_b32_dpp v20, v0 row_shr:1 row_mask:0xf bank_mask:0xf
	v_mov_b32_dpp v21, v1 row_shr:1 row_mask:0xf bank_mask:0xf
	v_add_f64 v[10:11], v[10:11], v[14:15]
	v_add_f64 v[12:13], v[12:13], v[16:17]
	v_add_f64 v[8:9], v[8:9], v[18:19]
	v_add_f64 v[0:1], v[0:1], v[20:21]
	v_mov_b32_dpp v14, v10 row_shr:2 row_mask:0xf bank_mask:0xf
	v_mov_b32_dpp v15, v11 row_shr:2 row_mask:0xf bank_mask:0xf
	v_mov_b32_dpp v16, v12 row_shr:2 row_mask:0xf bank_mask:0xf
	v_mov_b32_dpp v17, v13 row_shr:2 row_mask:0xf bank_mask:0xf
	v_mov_b32_dpp v18, v8 row_shr:2 row_mask:0xf bank_mask:0xf
	v_mov_b32_dpp v19, v9 row_shr:2 row_mask:0xf bank_mask:0xf
	v_mov_b32_dpp v20, v0 row_shr:2 row_mask:0xf bank_mask:0xf
	v_mov_b32_dpp v21, v1 row_shr:2 row_mask:0xf bank_mask:0xf
	v_add_f64 v[10:11], v[10:11], v[14:15]
	v_add_f64 v[12:13], v[12:13], v[16:17]
	v_add_f64 v[8:9], v[8:9], v[18:19]
	v_add_f64 v[0:1], v[0:1], v[20:21]
	;; [unrolled: 12-line block ×4, first 2 shown]
	v_mov_b32_dpp v14, v10 row_bcast:15 row_mask:0xa bank_mask:0xf
	v_mov_b32_dpp v15, v11 row_bcast:15 row_mask:0xa bank_mask:0xf
	;; [unrolled: 1-line block ×8, first 2 shown]
	v_add_f64 v[10:11], v[10:11], v[14:15]
	v_add_f64 v[12:13], v[12:13], v[16:17]
	;; [unrolled: 1-line block ×4, first 2 shown]
	v_mov_b32_dpp v14, v10 row_bcast:31 row_mask:0xc bank_mask:0xf
	v_mov_b32_dpp v15, v11 row_bcast:31 row_mask:0xc bank_mask:0xf
	;; [unrolled: 1-line block ×8, first 2 shown]
	v_cmp_eq_u32_e32 vcc, 63, v7
	s_and_b64 exec, exec, vcc
	s_cbranch_execz .LBB46_23
; %bb.19:
	s_load_dwordx2 s[0:1], s[0:1], 0x38
	v_add_f64 v[14:15], v[10:11], v[14:15]
	v_add_f64 v[10:11], v[12:13], v[16:17]
	;; [unrolled: 1-line block ×4, first 2 shown]
	v_cmp_eq_f64_e32 vcc, 0, v[4:5]
	s_and_saveexec_b64 s[2:3], vcc
	s_xor_b64 s[2:3], exec, s[2:3]
	s_cbranch_execz .LBB46_21
; %bb.20:
	v_lshlrev_b32_e32 v6, 2, v6
	v_ashrrev_i32_e32 v7, 31, v6
	v_mul_f64 v[4:5], v[2:3], v[14:15]
	s_waitcnt lgkmcnt(0)
	v_lshl_add_u64 v[12:13], v[6:7], 3, s[0:1]
	v_mul_f64 v[6:7], v[2:3], v[10:11]
	v_mul_f64 v[0:1], v[2:3], v[0:1]
	;; [unrolled: 1-line block ×3, first 2 shown]
	global_store_dwordx4 v[12:13], v[4:7], off
	global_store_dwordx4 v[12:13], v[0:3], off offset:16
                                        ; implicit-def: $vgpr6
                                        ; implicit-def: $vgpr2_vgpr3
                                        ; implicit-def: $vgpr14_vgpr15
                                        ; implicit-def: $vgpr4_vgpr5
                                        ; implicit-def: $vgpr10_vgpr11
                                        ; implicit-def: $vgpr0_vgpr1
                                        ; implicit-def: $vgpr8_vgpr9
.LBB46_21:
	s_andn2_saveexec_b64 s[2:3], s[2:3]
	s_cbranch_execz .LBB46_23
; %bb.22:
	v_lshlrev_b32_e32 v6, 2, v6
	v_ashrrev_i32_e32 v7, 31, v6
	s_waitcnt lgkmcnt(0)
	v_lshl_add_u64 v[6:7], v[6:7], 3, s[0:1]
	global_load_dwordx4 v[16:19], v[6:7], off
	global_load_dwordx4 v[20:23], v[6:7], off offset:16
	v_mul_f64 v[12:13], v[2:3], v[14:15]
	v_mul_f64 v[14:15], v[2:3], v[10:11]
	;; [unrolled: 1-line block ×4, first 2 shown]
	s_waitcnt vmcnt(1)
	v_fmac_f64_e32 v[12:13], v[4:5], v[16:17]
	v_fmac_f64_e32 v[14:15], v[4:5], v[18:19]
	s_waitcnt vmcnt(0)
	v_fmac_f64_e32 v[0:1], v[4:5], v[20:21]
	v_fmac_f64_e32 v[2:3], v[4:5], v[22:23]
	global_store_dwordx4 v[6:7], v[12:15], off
	global_store_dwordx4 v[6:7], v[0:3], off offset:16
.LBB46_23:
	s_endpgm
	.section	.rodata,"a",@progbits
	.p2align	6, 0x0
	.amdhsa_kernel _ZN9rocsparseL19gebsrmvn_4xn_kernelILj128ELj2ELj64EdEEvi20rocsparse_direction_NS_24const_host_device_scalarIT2_EEPKiS6_PKS3_S8_S4_PS3_21rocsparse_index_base_b
		.amdhsa_group_segment_fixed_size 0
		.amdhsa_private_segment_fixed_size 0
		.amdhsa_kernarg_size 72
		.amdhsa_user_sgpr_count 2
		.amdhsa_user_sgpr_dispatch_ptr 0
		.amdhsa_user_sgpr_queue_ptr 0
		.amdhsa_user_sgpr_kernarg_segment_ptr 1
		.amdhsa_user_sgpr_dispatch_id 0
		.amdhsa_user_sgpr_kernarg_preload_length 0
		.amdhsa_user_sgpr_kernarg_preload_offset 0
		.amdhsa_user_sgpr_private_segment_size 0
		.amdhsa_uses_dynamic_stack 0
		.amdhsa_enable_private_segment 0
		.amdhsa_system_sgpr_workgroup_id_x 1
		.amdhsa_system_sgpr_workgroup_id_y 0
		.amdhsa_system_sgpr_workgroup_id_z 0
		.amdhsa_system_sgpr_workgroup_info 0
		.amdhsa_system_vgpr_workitem_id 0
		.amdhsa_next_free_vgpr 46
		.amdhsa_next_free_sgpr 16
		.amdhsa_accum_offset 48
		.amdhsa_reserve_vcc 1
		.amdhsa_float_round_mode_32 0
		.amdhsa_float_round_mode_16_64 0
		.amdhsa_float_denorm_mode_32 3
		.amdhsa_float_denorm_mode_16_64 3
		.amdhsa_dx10_clamp 1
		.amdhsa_ieee_mode 1
		.amdhsa_fp16_overflow 0
		.amdhsa_tg_split 0
		.amdhsa_exception_fp_ieee_invalid_op 0
		.amdhsa_exception_fp_denorm_src 0
		.amdhsa_exception_fp_ieee_div_zero 0
		.amdhsa_exception_fp_ieee_overflow 0
		.amdhsa_exception_fp_ieee_underflow 0
		.amdhsa_exception_fp_ieee_inexact 0
		.amdhsa_exception_int_div_zero 0
	.end_amdhsa_kernel
	.section	.text._ZN9rocsparseL19gebsrmvn_4xn_kernelILj128ELj2ELj64EdEEvi20rocsparse_direction_NS_24const_host_device_scalarIT2_EEPKiS6_PKS3_S8_S4_PS3_21rocsparse_index_base_b,"axG",@progbits,_ZN9rocsparseL19gebsrmvn_4xn_kernelILj128ELj2ELj64EdEEvi20rocsparse_direction_NS_24const_host_device_scalarIT2_EEPKiS6_PKS3_S8_S4_PS3_21rocsparse_index_base_b,comdat
.Lfunc_end46:
	.size	_ZN9rocsparseL19gebsrmvn_4xn_kernelILj128ELj2ELj64EdEEvi20rocsparse_direction_NS_24const_host_device_scalarIT2_EEPKiS6_PKS3_S8_S4_PS3_21rocsparse_index_base_b, .Lfunc_end46-_ZN9rocsparseL19gebsrmvn_4xn_kernelILj128ELj2ELj64EdEEvi20rocsparse_direction_NS_24const_host_device_scalarIT2_EEPKiS6_PKS3_S8_S4_PS3_21rocsparse_index_base_b
                                        ; -- End function
	.set _ZN9rocsparseL19gebsrmvn_4xn_kernelILj128ELj2ELj64EdEEvi20rocsparse_direction_NS_24const_host_device_scalarIT2_EEPKiS6_PKS3_S8_S4_PS3_21rocsparse_index_base_b.num_vgpr, 46
	.set _ZN9rocsparseL19gebsrmvn_4xn_kernelILj128ELj2ELj64EdEEvi20rocsparse_direction_NS_24const_host_device_scalarIT2_EEPKiS6_PKS3_S8_S4_PS3_21rocsparse_index_base_b.num_agpr, 0
	.set _ZN9rocsparseL19gebsrmvn_4xn_kernelILj128ELj2ELj64EdEEvi20rocsparse_direction_NS_24const_host_device_scalarIT2_EEPKiS6_PKS3_S8_S4_PS3_21rocsparse_index_base_b.numbered_sgpr, 16
	.set _ZN9rocsparseL19gebsrmvn_4xn_kernelILj128ELj2ELj64EdEEvi20rocsparse_direction_NS_24const_host_device_scalarIT2_EEPKiS6_PKS3_S8_S4_PS3_21rocsparse_index_base_b.num_named_barrier, 0
	.set _ZN9rocsparseL19gebsrmvn_4xn_kernelILj128ELj2ELj64EdEEvi20rocsparse_direction_NS_24const_host_device_scalarIT2_EEPKiS6_PKS3_S8_S4_PS3_21rocsparse_index_base_b.private_seg_size, 0
	.set _ZN9rocsparseL19gebsrmvn_4xn_kernelILj128ELj2ELj64EdEEvi20rocsparse_direction_NS_24const_host_device_scalarIT2_EEPKiS6_PKS3_S8_S4_PS3_21rocsparse_index_base_b.uses_vcc, 1
	.set _ZN9rocsparseL19gebsrmvn_4xn_kernelILj128ELj2ELj64EdEEvi20rocsparse_direction_NS_24const_host_device_scalarIT2_EEPKiS6_PKS3_S8_S4_PS3_21rocsparse_index_base_b.uses_flat_scratch, 0
	.set _ZN9rocsparseL19gebsrmvn_4xn_kernelILj128ELj2ELj64EdEEvi20rocsparse_direction_NS_24const_host_device_scalarIT2_EEPKiS6_PKS3_S8_S4_PS3_21rocsparse_index_base_b.has_dyn_sized_stack, 0
	.set _ZN9rocsparseL19gebsrmvn_4xn_kernelILj128ELj2ELj64EdEEvi20rocsparse_direction_NS_24const_host_device_scalarIT2_EEPKiS6_PKS3_S8_S4_PS3_21rocsparse_index_base_b.has_recursion, 0
	.set _ZN9rocsparseL19gebsrmvn_4xn_kernelILj128ELj2ELj64EdEEvi20rocsparse_direction_NS_24const_host_device_scalarIT2_EEPKiS6_PKS3_S8_S4_PS3_21rocsparse_index_base_b.has_indirect_call, 0
	.section	.AMDGPU.csdata,"",@progbits
; Kernel info:
; codeLenInByte = 1468
; TotalNumSgprs: 22
; NumVgprs: 46
; NumAgprs: 0
; TotalNumVgprs: 46
; ScratchSize: 0
; MemoryBound: 0
; FloatMode: 240
; IeeeMode: 1
; LDSByteSize: 0 bytes/workgroup (compile time only)
; SGPRBlocks: 2
; VGPRBlocks: 5
; NumSGPRsForWavesPerEU: 22
; NumVGPRsForWavesPerEU: 46
; AccumOffset: 48
; Occupancy: 8
; WaveLimiterHint : 1
; COMPUTE_PGM_RSRC2:SCRATCH_EN: 0
; COMPUTE_PGM_RSRC2:USER_SGPR: 2
; COMPUTE_PGM_RSRC2:TRAP_HANDLER: 0
; COMPUTE_PGM_RSRC2:TGID_X_EN: 1
; COMPUTE_PGM_RSRC2:TGID_Y_EN: 0
; COMPUTE_PGM_RSRC2:TGID_Z_EN: 0
; COMPUTE_PGM_RSRC2:TIDIG_COMP_CNT: 0
; COMPUTE_PGM_RSRC3_GFX90A:ACCUM_OFFSET: 11
; COMPUTE_PGM_RSRC3_GFX90A:TG_SPLIT: 0
	.section	.text._ZN9rocsparseL19gebsrmvn_4xn_kernelILj128ELj3ELj4EdEEvi20rocsparse_direction_NS_24const_host_device_scalarIT2_EEPKiS6_PKS3_S8_S4_PS3_21rocsparse_index_base_b,"axG",@progbits,_ZN9rocsparseL19gebsrmvn_4xn_kernelILj128ELj3ELj4EdEEvi20rocsparse_direction_NS_24const_host_device_scalarIT2_EEPKiS6_PKS3_S8_S4_PS3_21rocsparse_index_base_b,comdat
	.globl	_ZN9rocsparseL19gebsrmvn_4xn_kernelILj128ELj3ELj4EdEEvi20rocsparse_direction_NS_24const_host_device_scalarIT2_EEPKiS6_PKS3_S8_S4_PS3_21rocsparse_index_base_b ; -- Begin function _ZN9rocsparseL19gebsrmvn_4xn_kernelILj128ELj3ELj4EdEEvi20rocsparse_direction_NS_24const_host_device_scalarIT2_EEPKiS6_PKS3_S8_S4_PS3_21rocsparse_index_base_b
	.p2align	8
	.type	_ZN9rocsparseL19gebsrmvn_4xn_kernelILj128ELj3ELj4EdEEvi20rocsparse_direction_NS_24const_host_device_scalarIT2_EEPKiS6_PKS3_S8_S4_PS3_21rocsparse_index_base_b,@function
_ZN9rocsparseL19gebsrmvn_4xn_kernelILj128ELj3ELj4EdEEvi20rocsparse_direction_NS_24const_host_device_scalarIT2_EEPKiS6_PKS3_S8_S4_PS3_21rocsparse_index_base_b: ; @_ZN9rocsparseL19gebsrmvn_4xn_kernelILj128ELj3ELj4EdEEvi20rocsparse_direction_NS_24const_host_device_scalarIT2_EEPKiS6_PKS3_S8_S4_PS3_21rocsparse_index_base_b
; %bb.0:
	s_load_dwordx2 s[12:13], s[0:1], 0x40
	s_load_dwordx2 s[8:9], s[0:1], 0x8
	;; [unrolled: 1-line block ×3, first 2 shown]
	s_waitcnt lgkmcnt(0)
	s_bitcmp1_b32 s13, 0
	s_cselect_b64 s[10:11], -1, 0
	s_xor_b64 s[6:7], s[10:11], -1
	s_and_b64 vcc, exec, s[10:11]
	v_mov_b64_e32 v[2:3], s[8:9]
	s_cbranch_vccnz .LBB47_2
; %bb.1:
	v_mov_b64_e32 v[2:3], s[8:9]
	flat_load_dwordx2 v[2:3], v[2:3]
.LBB47_2:
	s_andn2_b64 vcc, exec, s[6:7]
	v_mov_b64_e32 v[4:5], s[4:5]
	s_cbranch_vccnz .LBB47_4
; %bb.3:
	v_mov_b64_e32 v[4:5], s[4:5]
	flat_load_dwordx2 v[4:5], v[4:5]
.LBB47_4:
	s_waitcnt vmcnt(0) lgkmcnt(0)
	v_cmp_neq_f64_e32 vcc, 0, v[2:3]
	v_cmp_neq_f64_e64 s[4:5], 1.0, v[4:5]
	s_or_b64 s[4:5], vcc, s[4:5]
	s_and_saveexec_b64 s[6:7], s[4:5]
	s_cbranch_execz .LBB47_23
; %bb.5:
	s_load_dwordx2 s[14:15], s[0:1], 0x0
	v_lshrrev_b32_e32 v1, 2, v0
	v_lshl_or_b32 v6, s2, 5, v1
	s_waitcnt lgkmcnt(0)
	v_cmp_gt_i32_e32 vcc, s14, v6
	s_and_b64 exec, exec, vcc
	s_cbranch_execz .LBB47_23
; %bb.6:
	s_load_dwordx8 s[4:11], s[0:1], 0x10
	v_ashrrev_i32_e32 v7, 31, v6
	s_cmp_lg_u32 s15, 0
	s_waitcnt lgkmcnt(0)
	v_lshl_add_u64 v[8:9], v[6:7], 2, s[4:5]
	global_load_dwordx2 v[8:9], v[8:9], off
	v_and_b32_e32 v7, 3, v0
	s_waitcnt vmcnt(0)
	v_subrev_u32_e32 v0, s12, v8
	v_subrev_u32_e32 v20, s12, v9
	v_add_u32_e32 v12, v0, v7
	v_cmp_lt_i32_e64 s[2:3], v12, v20
	s_cbranch_scc0 .LBB47_12
; %bb.7:
	v_mov_b64_e32 v[8:9], 0
	v_mov_b64_e32 v[0:1], 0
	;; [unrolled: 1-line block ×4, first 2 shown]
	s_and_saveexec_b64 s[4:5], s[2:3]
	s_cbranch_execz .LBB47_11
; %bb.8:
	v_mul_lo_u32 v16, v12, 12
	v_mov_b64_e32 v[8:9], 0
	s_mov_b64 s[14:15], 0
	v_mov_b32_e32 v17, 0
	v_mov_b32_e32 v18, v12
	v_mov_b64_e32 v[0:1], 0
	v_mov_b64_e32 v[10:11], 0
	;; [unrolled: 1-line block ×3, first 2 shown]
.LBB47_9:                               ; =>This Inner Loop Header: Depth=1
	v_ashrrev_i32_e32 v19, 31, v18
	v_lshl_add_u64 v[22:23], v[18:19], 2, s[6:7]
	global_load_dword v13, v[22:23], off
	v_add_u32_e32 v32, 4, v16
	v_mov_b32_e32 v33, v17
	v_lshl_add_u64 v[30:31], v[16:17], 3, s[8:9]
	v_mov_b32_e32 v47, v17
	v_add_u32_e32 v34, 8, v16
	v_mov_b32_e32 v35, v17
	v_lshl_add_u64 v[52:53], v[32:33], 3, s[8:9]
	global_load_dwordx4 v[22:25], v[30:31], off offset:16
	global_load_dwordx4 v[26:29], v[30:31], off
	v_lshl_add_u64 v[54:55], v[34:35], 3, s[8:9]
	global_load_dwordx4 v[30:33], v[52:53], off offset:16
	global_load_dwordx4 v[34:37], v[52:53], off
	global_load_dwordx4 v[38:41], v[54:55], off offset:16
	global_load_dwordx4 v[42:45], v[54:55], off
	v_mov_b32_e32 v49, v17
	v_mov_b32_e32 v51, v17
	v_add_u32_e32 v18, 4, v18
	v_cmp_ge_i32_e32 vcc, v18, v20
	v_add_u32_e32 v16, 48, v16
	s_or_b64 s[14:15], vcc, s[14:15]
	s_waitcnt vmcnt(6)
	v_subrev_u32_e32 v13, s12, v13
	v_lshl_add_u32 v46, v13, 1, v13
	v_lshl_add_u64 v[52:53], v[46:47], 3, s[10:11]
	v_add_u32_e32 v48, 1, v46
	v_add_u32_e32 v50, 2, v46
	global_load_dwordx2 v[46:47], v[52:53], off
	v_lshl_add_u64 v[48:49], v[48:49], 3, s[10:11]
	v_lshl_add_u64 v[50:51], v[50:51], 3, s[10:11]
	global_load_dwordx2 v[52:53], v[48:49], off
	global_load_dwordx2 v[54:55], v[50:51], off
	s_waitcnt vmcnt(2)
	v_fmac_f64_e32 v[8:9], v[26:27], v[46:47]
	v_fmac_f64_e32 v[14:15], v[28:29], v[46:47]
	v_fmac_f64_e32 v[10:11], v[22:23], v[46:47]
	v_fmac_f64_e32 v[0:1], v[24:25], v[46:47]
	s_waitcnt vmcnt(1)
	v_fmac_f64_e32 v[8:9], v[34:35], v[52:53]
	v_fmac_f64_e32 v[14:15], v[36:37], v[52:53]
	v_fmac_f64_e32 v[10:11], v[30:31], v[52:53]
	v_fmac_f64_e32 v[0:1], v[32:33], v[52:53]
	;; [unrolled: 5-line block ×3, first 2 shown]
	s_andn2_b64 exec, exec, s[14:15]
	s_cbranch_execnz .LBB47_9
; %bb.10:
	s_or_b64 exec, exec, s[14:15]
.LBB47_11:
	s_or_b64 exec, exec, s[4:5]
	s_cbranch_execz .LBB47_13
	s_branch .LBB47_18
.LBB47_12:
                                        ; implicit-def: $vgpr8_vgpr9
                                        ; implicit-def: $vgpr0_vgpr1
                                        ; implicit-def: $vgpr10_vgpr11
                                        ; implicit-def: $vgpr14_vgpr15
.LBB47_13:
	v_mov_b64_e32 v[8:9], 0
	v_mov_b64_e32 v[0:1], 0
	;; [unrolled: 1-line block ×4, first 2 shown]
	s_and_saveexec_b64 s[4:5], s[2:3]
	s_cbranch_execz .LBB47_17
; %bb.14:
	v_mad_u64_u32 v[16:17], s[2:3], v12, 12, 11
	v_mov_b64_e32 v[8:9], 0
	s_mov_b64 s[2:3], 0
	v_mov_b32_e32 v19, 0
	v_mov_b64_e32 v[0:1], 0
	v_mov_b64_e32 v[10:11], 0
	;; [unrolled: 1-line block ×3, first 2 shown]
.LBB47_15:                              ; =>This Inner Loop Header: Depth=1
	v_ashrrev_i32_e32 v13, 31, v12
	v_lshl_add_u64 v[22:23], v[12:13], 2, s[6:7]
	global_load_dword v13, v[22:23], off
	v_add_u32_e32 v18, -11, v16
	v_add_u32_e32 v22, -5, v16
	v_mov_b32_e32 v23, v19
	v_add_u32_e32 v24, -2, v16
	v_mov_b32_e32 v25, v19
	v_lshl_add_u64 v[32:33], v[18:19], 3, s[8:9]
	v_lshl_add_u64 v[34:35], v[22:23], 3, s[8:9]
	;; [unrolled: 1-line block ×3, first 2 shown]
	global_load_dwordx4 v[22:25], v[32:33], off offset:16
	global_load_dwordx4 v[26:29], v[32:33], off
	global_load_dwordx2 v[40:41], v[34:35], off
	global_load_dwordx2 v[42:43], v[36:37], off
	v_mov_b32_e32 v31, v19
	v_mov_b32_e32 v17, v19
	v_lshl_add_u64 v[38:39], v[16:17], 3, s[8:9]
	v_add_u32_e32 v12, 4, v12
	v_cmp_ge_i32_e32 vcc, v12, v20
	s_or_b64 s[2:3], vcc, s[2:3]
	s_waitcnt vmcnt(4)
	v_subrev_u32_e32 v13, s12, v13
	v_lshl_add_u32 v30, v13, 1, v13
	v_add_u32_e32 v18, 1, v30
	v_lshl_add_u64 v[34:35], v[18:19], 3, s[10:11]
	v_add_u32_e32 v18, -7, v16
	v_lshl_add_u64 v[36:37], v[18:19], 3, s[8:9]
	v_add_u32_e32 v18, -4, v16
	;; [unrolled: 2-line block ×3, first 2 shown]
	v_lshl_add_u64 v[32:33], v[30:31], 3, s[10:11]
	v_lshl_add_u64 v[46:47], v[18:19], 3, s[8:9]
	v_add_u32_e32 v18, 2, v30
	global_load_dwordx2 v[32:33], v[32:33], off
	s_nop 0
	global_load_dwordx2 v[34:35], v[34:35], off
	s_waitcnt vmcnt(1)
	v_fmac_f64_e32 v[8:9], v[26:27], v[32:33]
	global_load_dwordx2 v[36:37], v[36:37], off
	s_nop 0
	global_load_dwordx2 v[30:31], v[44:45], off
	global_load_dwordx2 v[48:49], v[46:47], off
	v_lshl_add_u64 v[44:45], v[18:19], 3, s[10:11]
	v_add_u32_e32 v18, -6, v16
	v_lshl_add_u64 v[46:47], v[18:19], 3, s[8:9]
	v_add_u32_e32 v18, -3, v16
	global_load_dwordx2 v[44:45], v[44:45], off
	v_lshl_add_u64 v[50:51], v[18:19], 3, s[8:9]
	global_load_dwordx2 v[52:53], v[46:47], off
	global_load_dwordx2 v[54:55], v[50:51], off
	global_load_dwordx2 v[56:57], v[38:39], off
	v_fmac_f64_e32 v[14:15], v[24:25], v[32:33]
	v_fmac_f64_e32 v[10:11], v[40:41], v[32:33]
	;; [unrolled: 1-line block ×3, first 2 shown]
	s_waitcnt vmcnt(7)
	v_fmac_f64_e32 v[8:9], v[28:29], v[34:35]
	v_add_u32_e32 v16, 48, v16
	s_waitcnt vmcnt(6)
	v_fmac_f64_e32 v[14:15], v[36:37], v[34:35]
	s_waitcnt vmcnt(5)
	v_fmac_f64_e32 v[10:11], v[30:31], v[34:35]
	;; [unrolled: 2-line block ×7, first 2 shown]
	s_andn2_b64 exec, exec, s[2:3]
	s_cbranch_execnz .LBB47_15
; %bb.16:
	s_or_b64 exec, exec, s[2:3]
.LBB47_17:
	s_or_b64 exec, exec, s[4:5]
.LBB47_18:
	v_mov_b32_dpp v18, v10 row_shr:1 row_mask:0xf bank_mask:0xf
	v_mov_b32_dpp v19, v11 row_shr:1 row_mask:0xf bank_mask:0xf
	;; [unrolled: 1-line block ×6, first 2 shown]
	v_add_f64 v[18:19], v[10:11], v[18:19]
	v_mov_b32_dpp v10, v0 row_shr:1 row_mask:0xf bank_mask:0xf
	v_mov_b32_dpp v11, v1 row_shr:1 row_mask:0xf bank_mask:0xf
	v_add_f64 v[8:9], v[8:9], v[12:13]
	v_add_f64 v[14:15], v[14:15], v[16:17]
	;; [unrolled: 1-line block ×3, first 2 shown]
	v_mov_b32_dpp v12, v8 row_shr:2 row_mask:0xf bank_mask:0xf
	v_mov_b32_dpp v13, v9 row_shr:2 row_mask:0xf bank_mask:0xf
	;; [unrolled: 1-line block ×8, first 2 shown]
	v_cmp_eq_u32_e32 vcc, 3, v7
	s_and_b64 exec, exec, vcc
	s_cbranch_execz .LBB47_23
; %bb.19:
	s_load_dwordx2 s[0:1], s[0:1], 0x38
	v_add_f64 v[12:13], v[8:9], v[12:13]
	v_add_f64 v[10:11], v[14:15], v[16:17]
	;; [unrolled: 1-line block ×4, first 2 shown]
	v_cmp_eq_f64_e32 vcc, 0, v[4:5]
	s_and_saveexec_b64 s[2:3], vcc
	s_xor_b64 s[2:3], exec, s[2:3]
	s_cbranch_execz .LBB47_21
; %bb.20:
	v_lshlrev_b32_e32 v6, 2, v6
	v_ashrrev_i32_e32 v7, 31, v6
	v_mul_f64 v[4:5], v[2:3], v[12:13]
	s_waitcnt lgkmcnt(0)
	v_lshl_add_u64 v[12:13], v[6:7], 3, s[0:1]
	v_mul_f64 v[6:7], v[2:3], v[10:11]
	v_mul_f64 v[0:1], v[2:3], v[0:1]
	;; [unrolled: 1-line block ×3, first 2 shown]
	global_store_dwordx4 v[12:13], v[4:7], off
	global_store_dwordx4 v[12:13], v[0:3], off offset:16
                                        ; implicit-def: $vgpr6
                                        ; implicit-def: $vgpr2_vgpr3
                                        ; implicit-def: $vgpr12_vgpr13
                                        ; implicit-def: $vgpr4_vgpr5
                                        ; implicit-def: $vgpr10_vgpr11
                                        ; implicit-def: $vgpr0_vgpr1
                                        ; implicit-def: $vgpr8_vgpr9
.LBB47_21:
	s_andn2_saveexec_b64 s[2:3], s[2:3]
	s_cbranch_execz .LBB47_23
; %bb.22:
	v_lshlrev_b32_e32 v6, 2, v6
	v_ashrrev_i32_e32 v7, 31, v6
	s_waitcnt lgkmcnt(0)
	v_lshl_add_u64 v[6:7], v[6:7], 3, s[0:1]
	global_load_dwordx4 v[14:17], v[6:7], off
	global_load_dwordx4 v[18:21], v[6:7], off offset:16
	v_mul_f64 v[22:23], v[2:3], v[12:13]
	v_mul_f64 v[24:25], v[2:3], v[10:11]
	;; [unrolled: 1-line block ×4, first 2 shown]
	s_waitcnt vmcnt(1)
	v_fmac_f64_e32 v[22:23], v[4:5], v[14:15]
	v_fmac_f64_e32 v[24:25], v[4:5], v[16:17]
	s_waitcnt vmcnt(0)
	v_fmac_f64_e32 v[0:1], v[4:5], v[18:19]
	v_fmac_f64_e32 v[2:3], v[4:5], v[20:21]
	global_store_dwordx4 v[6:7], v[22:25], off
	global_store_dwordx4 v[6:7], v[0:3], off offset:16
.LBB47_23:
	s_endpgm
	.section	.rodata,"a",@progbits
	.p2align	6, 0x0
	.amdhsa_kernel _ZN9rocsparseL19gebsrmvn_4xn_kernelILj128ELj3ELj4EdEEvi20rocsparse_direction_NS_24const_host_device_scalarIT2_EEPKiS6_PKS3_S8_S4_PS3_21rocsparse_index_base_b
		.amdhsa_group_segment_fixed_size 0
		.amdhsa_private_segment_fixed_size 0
		.amdhsa_kernarg_size 72
		.amdhsa_user_sgpr_count 2
		.amdhsa_user_sgpr_dispatch_ptr 0
		.amdhsa_user_sgpr_queue_ptr 0
		.amdhsa_user_sgpr_kernarg_segment_ptr 1
		.amdhsa_user_sgpr_dispatch_id 0
		.amdhsa_user_sgpr_kernarg_preload_length 0
		.amdhsa_user_sgpr_kernarg_preload_offset 0
		.amdhsa_user_sgpr_private_segment_size 0
		.amdhsa_uses_dynamic_stack 0
		.amdhsa_enable_private_segment 0
		.amdhsa_system_sgpr_workgroup_id_x 1
		.amdhsa_system_sgpr_workgroup_id_y 0
		.amdhsa_system_sgpr_workgroup_id_z 0
		.amdhsa_system_sgpr_workgroup_info 0
		.amdhsa_system_vgpr_workitem_id 0
		.amdhsa_next_free_vgpr 58
		.amdhsa_next_free_sgpr 16
		.amdhsa_accum_offset 60
		.amdhsa_reserve_vcc 1
		.amdhsa_float_round_mode_32 0
		.amdhsa_float_round_mode_16_64 0
		.amdhsa_float_denorm_mode_32 3
		.amdhsa_float_denorm_mode_16_64 3
		.amdhsa_dx10_clamp 1
		.amdhsa_ieee_mode 1
		.amdhsa_fp16_overflow 0
		.amdhsa_tg_split 0
		.amdhsa_exception_fp_ieee_invalid_op 0
		.amdhsa_exception_fp_denorm_src 0
		.amdhsa_exception_fp_ieee_div_zero 0
		.amdhsa_exception_fp_ieee_overflow 0
		.amdhsa_exception_fp_ieee_underflow 0
		.amdhsa_exception_fp_ieee_inexact 0
		.amdhsa_exception_int_div_zero 0
	.end_amdhsa_kernel
	.section	.text._ZN9rocsparseL19gebsrmvn_4xn_kernelILj128ELj3ELj4EdEEvi20rocsparse_direction_NS_24const_host_device_scalarIT2_EEPKiS6_PKS3_S8_S4_PS3_21rocsparse_index_base_b,"axG",@progbits,_ZN9rocsparseL19gebsrmvn_4xn_kernelILj128ELj3ELj4EdEEvi20rocsparse_direction_NS_24const_host_device_scalarIT2_EEPKiS6_PKS3_S8_S4_PS3_21rocsparse_index_base_b,comdat
.Lfunc_end47:
	.size	_ZN9rocsparseL19gebsrmvn_4xn_kernelILj128ELj3ELj4EdEEvi20rocsparse_direction_NS_24const_host_device_scalarIT2_EEPKiS6_PKS3_S8_S4_PS3_21rocsparse_index_base_b, .Lfunc_end47-_ZN9rocsparseL19gebsrmvn_4xn_kernelILj128ELj3ELj4EdEEvi20rocsparse_direction_NS_24const_host_device_scalarIT2_EEPKiS6_PKS3_S8_S4_PS3_21rocsparse_index_base_b
                                        ; -- End function
	.set _ZN9rocsparseL19gebsrmvn_4xn_kernelILj128ELj3ELj4EdEEvi20rocsparse_direction_NS_24const_host_device_scalarIT2_EEPKiS6_PKS3_S8_S4_PS3_21rocsparse_index_base_b.num_vgpr, 58
	.set _ZN9rocsparseL19gebsrmvn_4xn_kernelILj128ELj3ELj4EdEEvi20rocsparse_direction_NS_24const_host_device_scalarIT2_EEPKiS6_PKS3_S8_S4_PS3_21rocsparse_index_base_b.num_agpr, 0
	.set _ZN9rocsparseL19gebsrmvn_4xn_kernelILj128ELj3ELj4EdEEvi20rocsparse_direction_NS_24const_host_device_scalarIT2_EEPKiS6_PKS3_S8_S4_PS3_21rocsparse_index_base_b.numbered_sgpr, 16
	.set _ZN9rocsparseL19gebsrmvn_4xn_kernelILj128ELj3ELj4EdEEvi20rocsparse_direction_NS_24const_host_device_scalarIT2_EEPKiS6_PKS3_S8_S4_PS3_21rocsparse_index_base_b.num_named_barrier, 0
	.set _ZN9rocsparseL19gebsrmvn_4xn_kernelILj128ELj3ELj4EdEEvi20rocsparse_direction_NS_24const_host_device_scalarIT2_EEPKiS6_PKS3_S8_S4_PS3_21rocsparse_index_base_b.private_seg_size, 0
	.set _ZN9rocsparseL19gebsrmvn_4xn_kernelILj128ELj3ELj4EdEEvi20rocsparse_direction_NS_24const_host_device_scalarIT2_EEPKiS6_PKS3_S8_S4_PS3_21rocsparse_index_base_b.uses_vcc, 1
	.set _ZN9rocsparseL19gebsrmvn_4xn_kernelILj128ELj3ELj4EdEEvi20rocsparse_direction_NS_24const_host_device_scalarIT2_EEPKiS6_PKS3_S8_S4_PS3_21rocsparse_index_base_b.uses_flat_scratch, 0
	.set _ZN9rocsparseL19gebsrmvn_4xn_kernelILj128ELj3ELj4EdEEvi20rocsparse_direction_NS_24const_host_device_scalarIT2_EEPKiS6_PKS3_S8_S4_PS3_21rocsparse_index_base_b.has_dyn_sized_stack, 0
	.set _ZN9rocsparseL19gebsrmvn_4xn_kernelILj128ELj3ELj4EdEEvi20rocsparse_direction_NS_24const_host_device_scalarIT2_EEPKiS6_PKS3_S8_S4_PS3_21rocsparse_index_base_b.has_recursion, 0
	.set _ZN9rocsparseL19gebsrmvn_4xn_kernelILj128ELj3ELj4EdEEvi20rocsparse_direction_NS_24const_host_device_scalarIT2_EEPKiS6_PKS3_S8_S4_PS3_21rocsparse_index_base_b.has_indirect_call, 0
	.section	.AMDGPU.csdata,"",@progbits
; Kernel info:
; codeLenInByte = 1460
; TotalNumSgprs: 22
; NumVgprs: 58
; NumAgprs: 0
; TotalNumVgprs: 58
; ScratchSize: 0
; MemoryBound: 0
; FloatMode: 240
; IeeeMode: 1
; LDSByteSize: 0 bytes/workgroup (compile time only)
; SGPRBlocks: 2
; VGPRBlocks: 7
; NumSGPRsForWavesPerEU: 22
; NumVGPRsForWavesPerEU: 58
; AccumOffset: 60
; Occupancy: 8
; WaveLimiterHint : 1
; COMPUTE_PGM_RSRC2:SCRATCH_EN: 0
; COMPUTE_PGM_RSRC2:USER_SGPR: 2
; COMPUTE_PGM_RSRC2:TRAP_HANDLER: 0
; COMPUTE_PGM_RSRC2:TGID_X_EN: 1
; COMPUTE_PGM_RSRC2:TGID_Y_EN: 0
; COMPUTE_PGM_RSRC2:TGID_Z_EN: 0
; COMPUTE_PGM_RSRC2:TIDIG_COMP_CNT: 0
; COMPUTE_PGM_RSRC3_GFX90A:ACCUM_OFFSET: 14
; COMPUTE_PGM_RSRC3_GFX90A:TG_SPLIT: 0
	.section	.text._ZN9rocsparseL19gebsrmvn_4xn_kernelILj128ELj3ELj8EdEEvi20rocsparse_direction_NS_24const_host_device_scalarIT2_EEPKiS6_PKS3_S8_S4_PS3_21rocsparse_index_base_b,"axG",@progbits,_ZN9rocsparseL19gebsrmvn_4xn_kernelILj128ELj3ELj8EdEEvi20rocsparse_direction_NS_24const_host_device_scalarIT2_EEPKiS6_PKS3_S8_S4_PS3_21rocsparse_index_base_b,comdat
	.globl	_ZN9rocsparseL19gebsrmvn_4xn_kernelILj128ELj3ELj8EdEEvi20rocsparse_direction_NS_24const_host_device_scalarIT2_EEPKiS6_PKS3_S8_S4_PS3_21rocsparse_index_base_b ; -- Begin function _ZN9rocsparseL19gebsrmvn_4xn_kernelILj128ELj3ELj8EdEEvi20rocsparse_direction_NS_24const_host_device_scalarIT2_EEPKiS6_PKS3_S8_S4_PS3_21rocsparse_index_base_b
	.p2align	8
	.type	_ZN9rocsparseL19gebsrmvn_4xn_kernelILj128ELj3ELj8EdEEvi20rocsparse_direction_NS_24const_host_device_scalarIT2_EEPKiS6_PKS3_S8_S4_PS3_21rocsparse_index_base_b,@function
_ZN9rocsparseL19gebsrmvn_4xn_kernelILj128ELj3ELj8EdEEvi20rocsparse_direction_NS_24const_host_device_scalarIT2_EEPKiS6_PKS3_S8_S4_PS3_21rocsparse_index_base_b: ; @_ZN9rocsparseL19gebsrmvn_4xn_kernelILj128ELj3ELj8EdEEvi20rocsparse_direction_NS_24const_host_device_scalarIT2_EEPKiS6_PKS3_S8_S4_PS3_21rocsparse_index_base_b
; %bb.0:
	s_load_dwordx2 s[12:13], s[0:1], 0x40
	s_load_dwordx2 s[8:9], s[0:1], 0x8
	;; [unrolled: 1-line block ×3, first 2 shown]
	s_waitcnt lgkmcnt(0)
	s_bitcmp1_b32 s13, 0
	s_cselect_b64 s[10:11], -1, 0
	s_xor_b64 s[6:7], s[10:11], -1
	s_and_b64 vcc, exec, s[10:11]
	v_mov_b64_e32 v[2:3], s[8:9]
	s_cbranch_vccnz .LBB48_2
; %bb.1:
	v_mov_b64_e32 v[2:3], s[8:9]
	flat_load_dwordx2 v[2:3], v[2:3]
.LBB48_2:
	s_andn2_b64 vcc, exec, s[6:7]
	v_mov_b64_e32 v[4:5], s[4:5]
	s_cbranch_vccnz .LBB48_4
; %bb.3:
	v_mov_b64_e32 v[4:5], s[4:5]
	flat_load_dwordx2 v[4:5], v[4:5]
.LBB48_4:
	s_waitcnt vmcnt(0) lgkmcnt(0)
	v_cmp_neq_f64_e32 vcc, 0, v[2:3]
	v_cmp_neq_f64_e64 s[4:5], 1.0, v[4:5]
	s_or_b64 s[4:5], vcc, s[4:5]
	s_and_saveexec_b64 s[6:7], s[4:5]
	s_cbranch_execz .LBB48_23
; %bb.5:
	s_load_dwordx2 s[14:15], s[0:1], 0x0
	v_lshrrev_b32_e32 v1, 3, v0
	v_lshl_or_b32 v6, s2, 4, v1
	s_waitcnt lgkmcnt(0)
	v_cmp_gt_i32_e32 vcc, s14, v6
	s_and_b64 exec, exec, vcc
	s_cbranch_execz .LBB48_23
; %bb.6:
	s_load_dwordx8 s[4:11], s[0:1], 0x10
	v_ashrrev_i32_e32 v7, 31, v6
	s_cmp_lg_u32 s15, 0
	s_waitcnt lgkmcnt(0)
	v_lshl_add_u64 v[8:9], v[6:7], 2, s[4:5]
	global_load_dwordx2 v[8:9], v[8:9], off
	v_and_b32_e32 v7, 7, v0
	s_waitcnt vmcnt(0)
	v_subrev_u32_e32 v0, s12, v8
	v_subrev_u32_e32 v20, s12, v9
	v_add_u32_e32 v12, v0, v7
	v_cmp_lt_i32_e64 s[2:3], v12, v20
	s_cbranch_scc0 .LBB48_12
; %bb.7:
	v_mov_b64_e32 v[8:9], 0
	v_mov_b64_e32 v[0:1], 0
	;; [unrolled: 1-line block ×4, first 2 shown]
	s_and_saveexec_b64 s[4:5], s[2:3]
	s_cbranch_execz .LBB48_11
; %bb.8:
	v_mul_lo_u32 v16, v12, 12
	v_mov_b64_e32 v[8:9], 0
	s_mov_b64 s[14:15], 0
	v_mov_b32_e32 v17, 0
	v_mov_b32_e32 v18, v12
	v_mov_b64_e32 v[0:1], 0
	v_mov_b64_e32 v[10:11], 0
	;; [unrolled: 1-line block ×3, first 2 shown]
.LBB48_9:                               ; =>This Inner Loop Header: Depth=1
	v_ashrrev_i32_e32 v19, 31, v18
	v_lshl_add_u64 v[22:23], v[18:19], 2, s[6:7]
	global_load_dword v13, v[22:23], off
	v_add_u32_e32 v32, 4, v16
	v_mov_b32_e32 v33, v17
	v_lshl_add_u64 v[30:31], v[16:17], 3, s[8:9]
	v_mov_b32_e32 v47, v17
	v_add_u32_e32 v34, 8, v16
	v_mov_b32_e32 v35, v17
	v_lshl_add_u64 v[52:53], v[32:33], 3, s[8:9]
	global_load_dwordx4 v[22:25], v[30:31], off offset:16
	global_load_dwordx4 v[26:29], v[30:31], off
	v_lshl_add_u64 v[54:55], v[34:35], 3, s[8:9]
	global_load_dwordx4 v[30:33], v[52:53], off offset:16
	global_load_dwordx4 v[34:37], v[52:53], off
	global_load_dwordx4 v[38:41], v[54:55], off offset:16
	global_load_dwordx4 v[42:45], v[54:55], off
	v_mov_b32_e32 v49, v17
	v_mov_b32_e32 v51, v17
	v_add_u32_e32 v18, 8, v18
	v_cmp_ge_i32_e32 vcc, v18, v20
	v_add_u32_e32 v16, 0x60, v16
	s_or_b64 s[14:15], vcc, s[14:15]
	s_waitcnt vmcnt(6)
	v_subrev_u32_e32 v13, s12, v13
	v_lshl_add_u32 v46, v13, 1, v13
	v_lshl_add_u64 v[52:53], v[46:47], 3, s[10:11]
	v_add_u32_e32 v48, 1, v46
	v_add_u32_e32 v50, 2, v46
	global_load_dwordx2 v[46:47], v[52:53], off
	v_lshl_add_u64 v[48:49], v[48:49], 3, s[10:11]
	v_lshl_add_u64 v[50:51], v[50:51], 3, s[10:11]
	global_load_dwordx2 v[52:53], v[48:49], off
	global_load_dwordx2 v[54:55], v[50:51], off
	s_waitcnt vmcnt(2)
	v_fmac_f64_e32 v[8:9], v[26:27], v[46:47]
	v_fmac_f64_e32 v[14:15], v[28:29], v[46:47]
	v_fmac_f64_e32 v[10:11], v[22:23], v[46:47]
	v_fmac_f64_e32 v[0:1], v[24:25], v[46:47]
	s_waitcnt vmcnt(1)
	v_fmac_f64_e32 v[8:9], v[34:35], v[52:53]
	v_fmac_f64_e32 v[14:15], v[36:37], v[52:53]
	v_fmac_f64_e32 v[10:11], v[30:31], v[52:53]
	v_fmac_f64_e32 v[0:1], v[32:33], v[52:53]
	;; [unrolled: 5-line block ×3, first 2 shown]
	s_andn2_b64 exec, exec, s[14:15]
	s_cbranch_execnz .LBB48_9
; %bb.10:
	s_or_b64 exec, exec, s[14:15]
.LBB48_11:
	s_or_b64 exec, exec, s[4:5]
	s_cbranch_execz .LBB48_13
	s_branch .LBB48_18
.LBB48_12:
                                        ; implicit-def: $vgpr8_vgpr9
                                        ; implicit-def: $vgpr0_vgpr1
                                        ; implicit-def: $vgpr10_vgpr11
                                        ; implicit-def: $vgpr14_vgpr15
.LBB48_13:
	v_mov_b64_e32 v[8:9], 0
	v_mov_b64_e32 v[0:1], 0
	;; [unrolled: 1-line block ×4, first 2 shown]
	s_and_saveexec_b64 s[4:5], s[2:3]
	s_cbranch_execz .LBB48_17
; %bb.14:
	v_mad_u64_u32 v[16:17], s[2:3], v12, 12, 11
	v_mov_b64_e32 v[8:9], 0
	s_mov_b64 s[2:3], 0
	v_mov_b32_e32 v19, 0
	v_mov_b64_e32 v[0:1], 0
	v_mov_b64_e32 v[10:11], 0
	;; [unrolled: 1-line block ×3, first 2 shown]
.LBB48_15:                              ; =>This Inner Loop Header: Depth=1
	v_ashrrev_i32_e32 v13, 31, v12
	v_lshl_add_u64 v[22:23], v[12:13], 2, s[6:7]
	global_load_dword v13, v[22:23], off
	v_add_u32_e32 v18, -11, v16
	v_add_u32_e32 v22, -5, v16
	v_mov_b32_e32 v23, v19
	v_add_u32_e32 v24, -2, v16
	v_mov_b32_e32 v25, v19
	v_lshl_add_u64 v[32:33], v[18:19], 3, s[8:9]
	v_lshl_add_u64 v[34:35], v[22:23], 3, s[8:9]
	;; [unrolled: 1-line block ×3, first 2 shown]
	global_load_dwordx4 v[22:25], v[32:33], off offset:16
	global_load_dwordx4 v[26:29], v[32:33], off
	global_load_dwordx2 v[40:41], v[34:35], off
	global_load_dwordx2 v[42:43], v[36:37], off
	v_mov_b32_e32 v31, v19
	v_mov_b32_e32 v17, v19
	v_lshl_add_u64 v[38:39], v[16:17], 3, s[8:9]
	v_add_u32_e32 v12, 8, v12
	v_cmp_ge_i32_e32 vcc, v12, v20
	s_or_b64 s[2:3], vcc, s[2:3]
	s_waitcnt vmcnt(4)
	v_subrev_u32_e32 v13, s12, v13
	v_lshl_add_u32 v30, v13, 1, v13
	v_add_u32_e32 v18, 1, v30
	v_lshl_add_u64 v[34:35], v[18:19], 3, s[10:11]
	v_add_u32_e32 v18, -7, v16
	v_lshl_add_u64 v[36:37], v[18:19], 3, s[8:9]
	v_add_u32_e32 v18, -4, v16
	;; [unrolled: 2-line block ×3, first 2 shown]
	v_lshl_add_u64 v[32:33], v[30:31], 3, s[10:11]
	v_lshl_add_u64 v[46:47], v[18:19], 3, s[8:9]
	v_add_u32_e32 v18, 2, v30
	global_load_dwordx2 v[32:33], v[32:33], off
	s_nop 0
	global_load_dwordx2 v[34:35], v[34:35], off
	s_waitcnt vmcnt(1)
	v_fmac_f64_e32 v[8:9], v[26:27], v[32:33]
	global_load_dwordx2 v[36:37], v[36:37], off
	s_nop 0
	global_load_dwordx2 v[30:31], v[44:45], off
	global_load_dwordx2 v[48:49], v[46:47], off
	v_lshl_add_u64 v[44:45], v[18:19], 3, s[10:11]
	v_add_u32_e32 v18, -6, v16
	v_lshl_add_u64 v[46:47], v[18:19], 3, s[8:9]
	v_add_u32_e32 v18, -3, v16
	global_load_dwordx2 v[44:45], v[44:45], off
	v_lshl_add_u64 v[50:51], v[18:19], 3, s[8:9]
	global_load_dwordx2 v[52:53], v[46:47], off
	global_load_dwordx2 v[54:55], v[50:51], off
	;; [unrolled: 1-line block ×3, first 2 shown]
	v_fmac_f64_e32 v[14:15], v[24:25], v[32:33]
	v_fmac_f64_e32 v[10:11], v[40:41], v[32:33]
	;; [unrolled: 1-line block ×3, first 2 shown]
	s_waitcnt vmcnt(7)
	v_fmac_f64_e32 v[8:9], v[28:29], v[34:35]
	v_add_u32_e32 v16, 0x60, v16
	s_waitcnt vmcnt(6)
	v_fmac_f64_e32 v[14:15], v[36:37], v[34:35]
	s_waitcnt vmcnt(5)
	v_fmac_f64_e32 v[10:11], v[30:31], v[34:35]
	s_waitcnt vmcnt(4)
	v_fmac_f64_e32 v[0:1], v[48:49], v[34:35]
	s_waitcnt vmcnt(3)
	v_fmac_f64_e32 v[8:9], v[22:23], v[44:45]
	s_waitcnt vmcnt(2)
	v_fmac_f64_e32 v[14:15], v[52:53], v[44:45]
	s_waitcnt vmcnt(1)
	v_fmac_f64_e32 v[10:11], v[54:55], v[44:45]
	s_waitcnt vmcnt(0)
	v_fmac_f64_e32 v[0:1], v[56:57], v[44:45]
	s_andn2_b64 exec, exec, s[2:3]
	s_cbranch_execnz .LBB48_15
; %bb.16:
	s_or_b64 exec, exec, s[2:3]
.LBB48_17:
	s_or_b64 exec, exec, s[4:5]
.LBB48_18:
	v_mov_b32_dpp v18, v10 row_shr:1 row_mask:0xf bank_mask:0xf
	v_mov_b32_dpp v19, v11 row_shr:1 row_mask:0xf bank_mask:0xf
	v_add_f64 v[10:11], v[10:11], v[18:19]
	v_mov_b32_dpp v12, v8 row_shr:1 row_mask:0xf bank_mask:0xf
	v_mov_b32_dpp v13, v9 row_shr:1 row_mask:0xf bank_mask:0xf
	;; [unrolled: 1-line block ×6, first 2 shown]
	v_add_f64 v[18:19], v[10:11], v[18:19]
	v_mov_b32_dpp v10, v0 row_shr:1 row_mask:0xf bank_mask:0xf
	v_mov_b32_dpp v11, v1 row_shr:1 row_mask:0xf bank_mask:0xf
	v_add_f64 v[8:9], v[8:9], v[12:13]
	v_add_f64 v[14:15], v[14:15], v[16:17]
	;; [unrolled: 1-line block ×3, first 2 shown]
	v_mov_b32_dpp v12, v8 row_shr:2 row_mask:0xf bank_mask:0xf
	v_mov_b32_dpp v13, v9 row_shr:2 row_mask:0xf bank_mask:0xf
	;; [unrolled: 1-line block ×6, first 2 shown]
	v_add_f64 v[8:9], v[8:9], v[12:13]
	v_add_f64 v[14:15], v[14:15], v[16:17]
	;; [unrolled: 1-line block ×3, first 2 shown]
	v_mov_b32_dpp v12, v8 row_shr:4 row_mask:0xf bank_mask:0xe
	v_mov_b32_dpp v13, v9 row_shr:4 row_mask:0xf bank_mask:0xe
	;; [unrolled: 1-line block ×8, first 2 shown]
	v_cmp_eq_u32_e32 vcc, 7, v7
	s_and_b64 exec, exec, vcc
	s_cbranch_execz .LBB48_23
; %bb.19:
	s_load_dwordx2 s[0:1], s[0:1], 0x38
	v_add_f64 v[12:13], v[8:9], v[12:13]
	v_add_f64 v[10:11], v[14:15], v[16:17]
	;; [unrolled: 1-line block ×4, first 2 shown]
	v_cmp_eq_f64_e32 vcc, 0, v[4:5]
	s_and_saveexec_b64 s[2:3], vcc
	s_xor_b64 s[2:3], exec, s[2:3]
	s_cbranch_execz .LBB48_21
; %bb.20:
	v_lshlrev_b32_e32 v6, 2, v6
	v_ashrrev_i32_e32 v7, 31, v6
	v_mul_f64 v[4:5], v[2:3], v[12:13]
	s_waitcnt lgkmcnt(0)
	v_lshl_add_u64 v[12:13], v[6:7], 3, s[0:1]
	v_mul_f64 v[6:7], v[2:3], v[10:11]
	v_mul_f64 v[0:1], v[2:3], v[0:1]
	;; [unrolled: 1-line block ×3, first 2 shown]
	global_store_dwordx4 v[12:13], v[4:7], off
	global_store_dwordx4 v[12:13], v[0:3], off offset:16
                                        ; implicit-def: $vgpr6
                                        ; implicit-def: $vgpr2_vgpr3
                                        ; implicit-def: $vgpr12_vgpr13
                                        ; implicit-def: $vgpr4_vgpr5
                                        ; implicit-def: $vgpr10_vgpr11
                                        ; implicit-def: $vgpr0_vgpr1
                                        ; implicit-def: $vgpr8_vgpr9
.LBB48_21:
	s_andn2_saveexec_b64 s[2:3], s[2:3]
	s_cbranch_execz .LBB48_23
; %bb.22:
	v_lshlrev_b32_e32 v6, 2, v6
	v_ashrrev_i32_e32 v7, 31, v6
	s_waitcnt lgkmcnt(0)
	v_lshl_add_u64 v[6:7], v[6:7], 3, s[0:1]
	global_load_dwordx4 v[14:17], v[6:7], off
	global_load_dwordx4 v[18:21], v[6:7], off offset:16
	v_mul_f64 v[22:23], v[2:3], v[12:13]
	v_mul_f64 v[24:25], v[2:3], v[10:11]
	;; [unrolled: 1-line block ×4, first 2 shown]
	s_waitcnt vmcnt(1)
	v_fmac_f64_e32 v[22:23], v[4:5], v[14:15]
	v_fmac_f64_e32 v[24:25], v[4:5], v[16:17]
	s_waitcnt vmcnt(0)
	v_fmac_f64_e32 v[0:1], v[4:5], v[18:19]
	v_fmac_f64_e32 v[2:3], v[4:5], v[20:21]
	global_store_dwordx4 v[6:7], v[22:25], off
	global_store_dwordx4 v[6:7], v[0:3], off offset:16
.LBB48_23:
	s_endpgm
	.section	.rodata,"a",@progbits
	.p2align	6, 0x0
	.amdhsa_kernel _ZN9rocsparseL19gebsrmvn_4xn_kernelILj128ELj3ELj8EdEEvi20rocsparse_direction_NS_24const_host_device_scalarIT2_EEPKiS6_PKS3_S8_S4_PS3_21rocsparse_index_base_b
		.amdhsa_group_segment_fixed_size 0
		.amdhsa_private_segment_fixed_size 0
		.amdhsa_kernarg_size 72
		.amdhsa_user_sgpr_count 2
		.amdhsa_user_sgpr_dispatch_ptr 0
		.amdhsa_user_sgpr_queue_ptr 0
		.amdhsa_user_sgpr_kernarg_segment_ptr 1
		.amdhsa_user_sgpr_dispatch_id 0
		.amdhsa_user_sgpr_kernarg_preload_length 0
		.amdhsa_user_sgpr_kernarg_preload_offset 0
		.amdhsa_user_sgpr_private_segment_size 0
		.amdhsa_uses_dynamic_stack 0
		.amdhsa_enable_private_segment 0
		.amdhsa_system_sgpr_workgroup_id_x 1
		.amdhsa_system_sgpr_workgroup_id_y 0
		.amdhsa_system_sgpr_workgroup_id_z 0
		.amdhsa_system_sgpr_workgroup_info 0
		.amdhsa_system_vgpr_workitem_id 0
		.amdhsa_next_free_vgpr 58
		.amdhsa_next_free_sgpr 16
		.amdhsa_accum_offset 60
		.amdhsa_reserve_vcc 1
		.amdhsa_float_round_mode_32 0
		.amdhsa_float_round_mode_16_64 0
		.amdhsa_float_denorm_mode_32 3
		.amdhsa_float_denorm_mode_16_64 3
		.amdhsa_dx10_clamp 1
		.amdhsa_ieee_mode 1
		.amdhsa_fp16_overflow 0
		.amdhsa_tg_split 0
		.amdhsa_exception_fp_ieee_invalid_op 0
		.amdhsa_exception_fp_denorm_src 0
		.amdhsa_exception_fp_ieee_div_zero 0
		.amdhsa_exception_fp_ieee_overflow 0
		.amdhsa_exception_fp_ieee_underflow 0
		.amdhsa_exception_fp_ieee_inexact 0
		.amdhsa_exception_int_div_zero 0
	.end_amdhsa_kernel
	.section	.text._ZN9rocsparseL19gebsrmvn_4xn_kernelILj128ELj3ELj8EdEEvi20rocsparse_direction_NS_24const_host_device_scalarIT2_EEPKiS6_PKS3_S8_S4_PS3_21rocsparse_index_base_b,"axG",@progbits,_ZN9rocsparseL19gebsrmvn_4xn_kernelILj128ELj3ELj8EdEEvi20rocsparse_direction_NS_24const_host_device_scalarIT2_EEPKiS6_PKS3_S8_S4_PS3_21rocsparse_index_base_b,comdat
.Lfunc_end48:
	.size	_ZN9rocsparseL19gebsrmvn_4xn_kernelILj128ELj3ELj8EdEEvi20rocsparse_direction_NS_24const_host_device_scalarIT2_EEPKiS6_PKS3_S8_S4_PS3_21rocsparse_index_base_b, .Lfunc_end48-_ZN9rocsparseL19gebsrmvn_4xn_kernelILj128ELj3ELj8EdEEvi20rocsparse_direction_NS_24const_host_device_scalarIT2_EEPKiS6_PKS3_S8_S4_PS3_21rocsparse_index_base_b
                                        ; -- End function
	.set _ZN9rocsparseL19gebsrmvn_4xn_kernelILj128ELj3ELj8EdEEvi20rocsparse_direction_NS_24const_host_device_scalarIT2_EEPKiS6_PKS3_S8_S4_PS3_21rocsparse_index_base_b.num_vgpr, 58
	.set _ZN9rocsparseL19gebsrmvn_4xn_kernelILj128ELj3ELj8EdEEvi20rocsparse_direction_NS_24const_host_device_scalarIT2_EEPKiS6_PKS3_S8_S4_PS3_21rocsparse_index_base_b.num_agpr, 0
	.set _ZN9rocsparseL19gebsrmvn_4xn_kernelILj128ELj3ELj8EdEEvi20rocsparse_direction_NS_24const_host_device_scalarIT2_EEPKiS6_PKS3_S8_S4_PS3_21rocsparse_index_base_b.numbered_sgpr, 16
	.set _ZN9rocsparseL19gebsrmvn_4xn_kernelILj128ELj3ELj8EdEEvi20rocsparse_direction_NS_24const_host_device_scalarIT2_EEPKiS6_PKS3_S8_S4_PS3_21rocsparse_index_base_b.num_named_barrier, 0
	.set _ZN9rocsparseL19gebsrmvn_4xn_kernelILj128ELj3ELj8EdEEvi20rocsparse_direction_NS_24const_host_device_scalarIT2_EEPKiS6_PKS3_S8_S4_PS3_21rocsparse_index_base_b.private_seg_size, 0
	.set _ZN9rocsparseL19gebsrmvn_4xn_kernelILj128ELj3ELj8EdEEvi20rocsparse_direction_NS_24const_host_device_scalarIT2_EEPKiS6_PKS3_S8_S4_PS3_21rocsparse_index_base_b.uses_vcc, 1
	.set _ZN9rocsparseL19gebsrmvn_4xn_kernelILj128ELj3ELj8EdEEvi20rocsparse_direction_NS_24const_host_device_scalarIT2_EEPKiS6_PKS3_S8_S4_PS3_21rocsparse_index_base_b.uses_flat_scratch, 0
	.set _ZN9rocsparseL19gebsrmvn_4xn_kernelILj128ELj3ELj8EdEEvi20rocsparse_direction_NS_24const_host_device_scalarIT2_EEPKiS6_PKS3_S8_S4_PS3_21rocsparse_index_base_b.has_dyn_sized_stack, 0
	.set _ZN9rocsparseL19gebsrmvn_4xn_kernelILj128ELj3ELj8EdEEvi20rocsparse_direction_NS_24const_host_device_scalarIT2_EEPKiS6_PKS3_S8_S4_PS3_21rocsparse_index_base_b.has_recursion, 0
	.set _ZN9rocsparseL19gebsrmvn_4xn_kernelILj128ELj3ELj8EdEEvi20rocsparse_direction_NS_24const_host_device_scalarIT2_EEPKiS6_PKS3_S8_S4_PS3_21rocsparse_index_base_b.has_indirect_call, 0
	.section	.AMDGPU.csdata,"",@progbits
; Kernel info:
; codeLenInByte = 1564
; TotalNumSgprs: 22
; NumVgprs: 58
; NumAgprs: 0
; TotalNumVgprs: 58
; ScratchSize: 0
; MemoryBound: 0
; FloatMode: 240
; IeeeMode: 1
; LDSByteSize: 0 bytes/workgroup (compile time only)
; SGPRBlocks: 2
; VGPRBlocks: 7
; NumSGPRsForWavesPerEU: 22
; NumVGPRsForWavesPerEU: 58
; AccumOffset: 60
; Occupancy: 8
; WaveLimiterHint : 1
; COMPUTE_PGM_RSRC2:SCRATCH_EN: 0
; COMPUTE_PGM_RSRC2:USER_SGPR: 2
; COMPUTE_PGM_RSRC2:TRAP_HANDLER: 0
; COMPUTE_PGM_RSRC2:TGID_X_EN: 1
; COMPUTE_PGM_RSRC2:TGID_Y_EN: 0
; COMPUTE_PGM_RSRC2:TGID_Z_EN: 0
; COMPUTE_PGM_RSRC2:TIDIG_COMP_CNT: 0
; COMPUTE_PGM_RSRC3_GFX90A:ACCUM_OFFSET: 14
; COMPUTE_PGM_RSRC3_GFX90A:TG_SPLIT: 0
	.section	.text._ZN9rocsparseL19gebsrmvn_4xn_kernelILj128ELj3ELj16EdEEvi20rocsparse_direction_NS_24const_host_device_scalarIT2_EEPKiS6_PKS3_S8_S4_PS3_21rocsparse_index_base_b,"axG",@progbits,_ZN9rocsparseL19gebsrmvn_4xn_kernelILj128ELj3ELj16EdEEvi20rocsparse_direction_NS_24const_host_device_scalarIT2_EEPKiS6_PKS3_S8_S4_PS3_21rocsparse_index_base_b,comdat
	.globl	_ZN9rocsparseL19gebsrmvn_4xn_kernelILj128ELj3ELj16EdEEvi20rocsparse_direction_NS_24const_host_device_scalarIT2_EEPKiS6_PKS3_S8_S4_PS3_21rocsparse_index_base_b ; -- Begin function _ZN9rocsparseL19gebsrmvn_4xn_kernelILj128ELj3ELj16EdEEvi20rocsparse_direction_NS_24const_host_device_scalarIT2_EEPKiS6_PKS3_S8_S4_PS3_21rocsparse_index_base_b
	.p2align	8
	.type	_ZN9rocsparseL19gebsrmvn_4xn_kernelILj128ELj3ELj16EdEEvi20rocsparse_direction_NS_24const_host_device_scalarIT2_EEPKiS6_PKS3_S8_S4_PS3_21rocsparse_index_base_b,@function
_ZN9rocsparseL19gebsrmvn_4xn_kernelILj128ELj3ELj16EdEEvi20rocsparse_direction_NS_24const_host_device_scalarIT2_EEPKiS6_PKS3_S8_S4_PS3_21rocsparse_index_base_b: ; @_ZN9rocsparseL19gebsrmvn_4xn_kernelILj128ELj3ELj16EdEEvi20rocsparse_direction_NS_24const_host_device_scalarIT2_EEPKiS6_PKS3_S8_S4_PS3_21rocsparse_index_base_b
; %bb.0:
	s_load_dwordx2 s[12:13], s[0:1], 0x40
	s_load_dwordx2 s[8:9], s[0:1], 0x8
	;; [unrolled: 1-line block ×3, first 2 shown]
	s_waitcnt lgkmcnt(0)
	s_bitcmp1_b32 s13, 0
	s_cselect_b64 s[10:11], -1, 0
	s_xor_b64 s[6:7], s[10:11], -1
	s_and_b64 vcc, exec, s[10:11]
	v_mov_b64_e32 v[2:3], s[8:9]
	s_cbranch_vccnz .LBB49_2
; %bb.1:
	v_mov_b64_e32 v[2:3], s[8:9]
	flat_load_dwordx2 v[2:3], v[2:3]
.LBB49_2:
	s_andn2_b64 vcc, exec, s[6:7]
	v_mov_b64_e32 v[4:5], s[4:5]
	s_cbranch_vccnz .LBB49_4
; %bb.3:
	v_mov_b64_e32 v[4:5], s[4:5]
	flat_load_dwordx2 v[4:5], v[4:5]
.LBB49_4:
	s_waitcnt vmcnt(0) lgkmcnt(0)
	v_cmp_neq_f64_e32 vcc, 0, v[2:3]
	v_cmp_neq_f64_e64 s[4:5], 1.0, v[4:5]
	s_or_b64 s[4:5], vcc, s[4:5]
	s_and_saveexec_b64 s[6:7], s[4:5]
	s_cbranch_execz .LBB49_23
; %bb.5:
	s_load_dwordx2 s[14:15], s[0:1], 0x0
	v_lshrrev_b32_e32 v1, 4, v0
	v_lshl_or_b32 v6, s2, 3, v1
	s_waitcnt lgkmcnt(0)
	v_cmp_gt_i32_e32 vcc, s14, v6
	s_and_b64 exec, exec, vcc
	s_cbranch_execz .LBB49_23
; %bb.6:
	s_load_dwordx8 s[4:11], s[0:1], 0x10
	v_ashrrev_i32_e32 v7, 31, v6
	s_cmp_lg_u32 s15, 0
	s_waitcnt lgkmcnt(0)
	v_lshl_add_u64 v[8:9], v[6:7], 2, s[4:5]
	global_load_dwordx2 v[8:9], v[8:9], off
	v_and_b32_e32 v7, 15, v0
	s_waitcnt vmcnt(0)
	v_subrev_u32_e32 v0, s12, v8
	v_subrev_u32_e32 v20, s12, v9
	v_add_u32_e32 v14, v0, v7
	v_cmp_lt_i32_e64 s[2:3], v14, v20
	s_cbranch_scc0 .LBB49_12
; %bb.7:
	v_mov_b64_e32 v[10:11], 0
	v_mov_b64_e32 v[0:1], 0
	;; [unrolled: 1-line block ×4, first 2 shown]
	s_and_saveexec_b64 s[4:5], s[2:3]
	s_cbranch_execz .LBB49_11
; %bb.8:
	v_mul_lo_u32 v16, v14, 12
	v_mov_b64_e32 v[10:11], 0
	s_mov_b64 s[14:15], 0
	v_mov_b32_e32 v17, 0
	v_mov_b32_e32 v18, v14
	v_mov_b64_e32 v[0:1], 0
	v_mov_b64_e32 v[8:9], 0
	v_mov_b64_e32 v[12:13], 0
.LBB49_9:                               ; =>This Inner Loop Header: Depth=1
	v_ashrrev_i32_e32 v19, 31, v18
	v_lshl_add_u64 v[22:23], v[18:19], 2, s[6:7]
	global_load_dword v15, v[22:23], off
	v_add_u32_e32 v32, 4, v16
	v_mov_b32_e32 v33, v17
	v_lshl_add_u64 v[30:31], v[16:17], 3, s[8:9]
	v_mov_b32_e32 v47, v17
	v_add_u32_e32 v34, 8, v16
	v_mov_b32_e32 v35, v17
	v_lshl_add_u64 v[52:53], v[32:33], 3, s[8:9]
	global_load_dwordx4 v[22:25], v[30:31], off offset:16
	global_load_dwordx4 v[26:29], v[30:31], off
	v_lshl_add_u64 v[54:55], v[34:35], 3, s[8:9]
	global_load_dwordx4 v[30:33], v[52:53], off offset:16
	global_load_dwordx4 v[34:37], v[52:53], off
	global_load_dwordx4 v[38:41], v[54:55], off offset:16
	global_load_dwordx4 v[42:45], v[54:55], off
	v_mov_b32_e32 v49, v17
	v_mov_b32_e32 v51, v17
	v_add_u32_e32 v18, 16, v18
	v_cmp_ge_i32_e32 vcc, v18, v20
	v_add_u32_e32 v16, 0xc0, v16
	s_or_b64 s[14:15], vcc, s[14:15]
	s_waitcnt vmcnt(6)
	v_subrev_u32_e32 v15, s12, v15
	v_lshl_add_u32 v46, v15, 1, v15
	v_lshl_add_u64 v[52:53], v[46:47], 3, s[10:11]
	v_add_u32_e32 v48, 1, v46
	v_add_u32_e32 v50, 2, v46
	global_load_dwordx2 v[46:47], v[52:53], off
	v_lshl_add_u64 v[48:49], v[48:49], 3, s[10:11]
	v_lshl_add_u64 v[50:51], v[50:51], 3, s[10:11]
	global_load_dwordx2 v[52:53], v[48:49], off
	global_load_dwordx2 v[54:55], v[50:51], off
	s_waitcnt vmcnt(2)
	v_fmac_f64_e32 v[10:11], v[26:27], v[46:47]
	v_fmac_f64_e32 v[12:13], v[28:29], v[46:47]
	v_fmac_f64_e32 v[8:9], v[22:23], v[46:47]
	v_fmac_f64_e32 v[0:1], v[24:25], v[46:47]
	s_waitcnt vmcnt(1)
	v_fmac_f64_e32 v[10:11], v[34:35], v[52:53]
	v_fmac_f64_e32 v[12:13], v[36:37], v[52:53]
	v_fmac_f64_e32 v[8:9], v[30:31], v[52:53]
	v_fmac_f64_e32 v[0:1], v[32:33], v[52:53]
	;; [unrolled: 5-line block ×3, first 2 shown]
	s_andn2_b64 exec, exec, s[14:15]
	s_cbranch_execnz .LBB49_9
; %bb.10:
	s_or_b64 exec, exec, s[14:15]
.LBB49_11:
	s_or_b64 exec, exec, s[4:5]
	s_cbranch_execz .LBB49_13
	s_branch .LBB49_18
.LBB49_12:
                                        ; implicit-def: $vgpr10_vgpr11
                                        ; implicit-def: $vgpr0_vgpr1
                                        ; implicit-def: $vgpr8_vgpr9
                                        ; implicit-def: $vgpr12_vgpr13
.LBB49_13:
	v_mov_b64_e32 v[10:11], 0
	v_mov_b64_e32 v[0:1], 0
	;; [unrolled: 1-line block ×4, first 2 shown]
	s_and_saveexec_b64 s[4:5], s[2:3]
	s_cbranch_execz .LBB49_17
; %bb.14:
	v_mad_u64_u32 v[16:17], s[2:3], v14, 12, 11
	v_mov_b64_e32 v[10:11], 0
	s_mov_b64 s[2:3], 0
	v_mov_b32_e32 v19, 0
	v_mov_b64_e32 v[0:1], 0
	v_mov_b64_e32 v[8:9], 0
	;; [unrolled: 1-line block ×3, first 2 shown]
.LBB49_15:                              ; =>This Inner Loop Header: Depth=1
	v_ashrrev_i32_e32 v15, 31, v14
	v_lshl_add_u64 v[22:23], v[14:15], 2, s[6:7]
	global_load_dword v15, v[22:23], off
	v_add_u32_e32 v18, -11, v16
	v_add_u32_e32 v22, -5, v16
	v_mov_b32_e32 v23, v19
	v_add_u32_e32 v24, -2, v16
	v_mov_b32_e32 v25, v19
	v_lshl_add_u64 v[32:33], v[18:19], 3, s[8:9]
	v_lshl_add_u64 v[34:35], v[22:23], 3, s[8:9]
	v_lshl_add_u64 v[36:37], v[24:25], 3, s[8:9]
	global_load_dwordx4 v[22:25], v[32:33], off offset:16
	global_load_dwordx4 v[26:29], v[32:33], off
	global_load_dwordx2 v[40:41], v[34:35], off
	global_load_dwordx2 v[42:43], v[36:37], off
	v_mov_b32_e32 v31, v19
	v_mov_b32_e32 v17, v19
	v_lshl_add_u64 v[38:39], v[16:17], 3, s[8:9]
	v_add_u32_e32 v14, 16, v14
	v_cmp_ge_i32_e32 vcc, v14, v20
	s_or_b64 s[2:3], vcc, s[2:3]
	s_waitcnt vmcnt(4)
	v_subrev_u32_e32 v15, s12, v15
	v_lshl_add_u32 v30, v15, 1, v15
	v_add_u32_e32 v18, 1, v30
	v_lshl_add_u64 v[34:35], v[18:19], 3, s[10:11]
	v_add_u32_e32 v18, -7, v16
	v_lshl_add_u64 v[36:37], v[18:19], 3, s[8:9]
	v_add_u32_e32 v18, -4, v16
	;; [unrolled: 2-line block ×3, first 2 shown]
	v_lshl_add_u64 v[32:33], v[30:31], 3, s[10:11]
	v_lshl_add_u64 v[46:47], v[18:19], 3, s[8:9]
	v_add_u32_e32 v18, 2, v30
	global_load_dwordx2 v[32:33], v[32:33], off
	s_nop 0
	global_load_dwordx2 v[34:35], v[34:35], off
	s_waitcnt vmcnt(1)
	v_fmac_f64_e32 v[10:11], v[26:27], v[32:33]
	global_load_dwordx2 v[36:37], v[36:37], off
	s_nop 0
	global_load_dwordx2 v[30:31], v[44:45], off
	global_load_dwordx2 v[48:49], v[46:47], off
	v_lshl_add_u64 v[44:45], v[18:19], 3, s[10:11]
	v_add_u32_e32 v18, -6, v16
	v_lshl_add_u64 v[46:47], v[18:19], 3, s[8:9]
	v_add_u32_e32 v18, -3, v16
	global_load_dwordx2 v[44:45], v[44:45], off
	v_lshl_add_u64 v[50:51], v[18:19], 3, s[8:9]
	global_load_dwordx2 v[52:53], v[46:47], off
	global_load_dwordx2 v[54:55], v[50:51], off
	;; [unrolled: 1-line block ×3, first 2 shown]
	v_fmac_f64_e32 v[12:13], v[24:25], v[32:33]
	v_fmac_f64_e32 v[8:9], v[40:41], v[32:33]
	;; [unrolled: 1-line block ×3, first 2 shown]
	s_waitcnt vmcnt(7)
	v_fmac_f64_e32 v[10:11], v[28:29], v[34:35]
	v_add_u32_e32 v16, 0xc0, v16
	s_waitcnt vmcnt(6)
	v_fmac_f64_e32 v[12:13], v[36:37], v[34:35]
	s_waitcnt vmcnt(5)
	v_fmac_f64_e32 v[8:9], v[30:31], v[34:35]
	;; [unrolled: 2-line block ×7, first 2 shown]
	s_andn2_b64 exec, exec, s[2:3]
	s_cbranch_execnz .LBB49_15
; %bb.16:
	s_or_b64 exec, exec, s[2:3]
.LBB49_17:
	s_or_b64 exec, exec, s[4:5]
.LBB49_18:
	v_mov_b32_dpp v16, v12 row_shr:1 row_mask:0xf bank_mask:0xf
	v_mov_b32_dpp v17, v13 row_shr:1 row_mask:0xf bank_mask:0xf
	v_add_f64 v[12:13], v[12:13], v[16:17]
	v_mov_b32_dpp v14, v10 row_shr:1 row_mask:0xf bank_mask:0xf
	v_mov_b32_dpp v15, v11 row_shr:1 row_mask:0xf bank_mask:0xf
	;; [unrolled: 1-line block ×4, first 2 shown]
	v_add_f64 v[12:13], v[12:13], v[16:17]
	v_add_f64 v[10:11], v[10:11], v[14:15]
	v_cmp_eq_u32_e32 vcc, 15, v7
	v_mov_b32_dpp v16, v12 row_shr:4 row_mask:0xf bank_mask:0xe
	v_mov_b32_dpp v17, v13 row_shr:4 row_mask:0xf bank_mask:0xe
	v_add_f64 v[16:17], v[12:13], v[16:17]
	v_mov_b32_dpp v12, v8 row_shr:1 row_mask:0xf bank_mask:0xf
	v_mov_b32_dpp v13, v9 row_shr:1 row_mask:0xf bank_mask:0xf
	v_add_f64 v[8:9], v[8:9], v[12:13]
	v_mov_b32_dpp v14, v10 row_shr:2 row_mask:0xf bank_mask:0xf
	v_mov_b32_dpp v15, v11 row_shr:2 row_mask:0xf bank_mask:0xf
	;; [unrolled: 1-line block ×4, first 2 shown]
	v_add_f64 v[8:9], v[8:9], v[12:13]
	v_add_f64 v[10:11], v[10:11], v[14:15]
	v_mov_b32_dpp v18, v16 row_shr:8 row_mask:0xf bank_mask:0xc
	v_mov_b32_dpp v12, v8 row_shr:4 row_mask:0xf bank_mask:0xe
	;; [unrolled: 1-line block ×3, first 2 shown]
	v_add_f64 v[8:9], v[8:9], v[12:13]
	v_mov_b32_dpp v12, v0 row_shr:1 row_mask:0xf bank_mask:0xf
	v_mov_b32_dpp v13, v1 row_shr:1 row_mask:0xf bank_mask:0xf
	v_add_f64 v[0:1], v[0:1], v[12:13]
	v_mov_b32_dpp v14, v10 row_shr:4 row_mask:0xf bank_mask:0xe
	v_mov_b32_dpp v15, v11 row_shr:4 row_mask:0xf bank_mask:0xe
	;; [unrolled: 1-line block ×4, first 2 shown]
	v_add_f64 v[0:1], v[0:1], v[12:13]
	v_add_f64 v[10:11], v[10:11], v[14:15]
	v_mov_b32_dpp v19, v17 row_shr:8 row_mask:0xf bank_mask:0xc
	v_mov_b32_dpp v12, v0 row_shr:4 row_mask:0xf bank_mask:0xe
	;; [unrolled: 1-line block ×3, first 2 shown]
	v_add_f64 v[22:23], v[0:1], v[12:13]
	v_mov_b32_dpp v14, v10 row_shr:8 row_mask:0xf bank_mask:0xc
	v_mov_b32_dpp v15, v11 row_shr:8 row_mask:0xf bank_mask:0xc
	;; [unrolled: 1-line block ×6, first 2 shown]
	s_and_b64 exec, exec, vcc
	s_cbranch_execz .LBB49_23
; %bb.19:
	s_load_dwordx2 s[0:1], s[0:1], 0x38
	v_add_f64 v[12:13], v[10:11], v[14:15]
	v_add_f64 v[10:11], v[16:17], v[18:19]
	;; [unrolled: 1-line block ×4, first 2 shown]
	v_cmp_eq_f64_e32 vcc, 0, v[4:5]
	s_and_saveexec_b64 s[2:3], vcc
	s_xor_b64 s[2:3], exec, s[2:3]
	s_cbranch_execz .LBB49_21
; %bb.20:
	v_lshlrev_b32_e32 v6, 2, v6
	v_ashrrev_i32_e32 v7, 31, v6
	v_mul_f64 v[4:5], v[2:3], v[12:13]
	s_waitcnt lgkmcnt(0)
	v_lshl_add_u64 v[12:13], v[6:7], 3, s[0:1]
	v_mul_f64 v[6:7], v[2:3], v[10:11]
	v_mul_f64 v[0:1], v[2:3], v[0:1]
	;; [unrolled: 1-line block ×3, first 2 shown]
	global_store_dwordx4 v[12:13], v[4:7], off
	global_store_dwordx4 v[12:13], v[0:3], off offset:16
                                        ; implicit-def: $vgpr6
                                        ; implicit-def: $vgpr2_vgpr3
                                        ; implicit-def: $vgpr12_vgpr13
                                        ; implicit-def: $vgpr4_vgpr5
                                        ; implicit-def: $vgpr10_vgpr11
                                        ; implicit-def: $vgpr0_vgpr1
                                        ; implicit-def: $vgpr8_vgpr9
.LBB49_21:
	s_andn2_saveexec_b64 s[2:3], s[2:3]
	s_cbranch_execz .LBB49_23
; %bb.22:
	v_lshlrev_b32_e32 v6, 2, v6
	v_ashrrev_i32_e32 v7, 31, v6
	s_waitcnt lgkmcnt(0)
	v_lshl_add_u64 v[6:7], v[6:7], 3, s[0:1]
	global_load_dwordx4 v[14:17], v[6:7], off
	global_load_dwordx4 v[18:21], v[6:7], off offset:16
	v_mul_f64 v[22:23], v[2:3], v[12:13]
	v_mul_f64 v[24:25], v[2:3], v[10:11]
	;; [unrolled: 1-line block ×4, first 2 shown]
	s_waitcnt vmcnt(1)
	v_fmac_f64_e32 v[22:23], v[4:5], v[14:15]
	v_fmac_f64_e32 v[24:25], v[4:5], v[16:17]
	s_waitcnt vmcnt(0)
	v_fmac_f64_e32 v[0:1], v[4:5], v[18:19]
	v_fmac_f64_e32 v[2:3], v[4:5], v[20:21]
	global_store_dwordx4 v[6:7], v[22:25], off
	global_store_dwordx4 v[6:7], v[0:3], off offset:16
.LBB49_23:
	s_endpgm
	.section	.rodata,"a",@progbits
	.p2align	6, 0x0
	.amdhsa_kernel _ZN9rocsparseL19gebsrmvn_4xn_kernelILj128ELj3ELj16EdEEvi20rocsparse_direction_NS_24const_host_device_scalarIT2_EEPKiS6_PKS3_S8_S4_PS3_21rocsparse_index_base_b
		.amdhsa_group_segment_fixed_size 0
		.amdhsa_private_segment_fixed_size 0
		.amdhsa_kernarg_size 72
		.amdhsa_user_sgpr_count 2
		.amdhsa_user_sgpr_dispatch_ptr 0
		.amdhsa_user_sgpr_queue_ptr 0
		.amdhsa_user_sgpr_kernarg_segment_ptr 1
		.amdhsa_user_sgpr_dispatch_id 0
		.amdhsa_user_sgpr_kernarg_preload_length 0
		.amdhsa_user_sgpr_kernarg_preload_offset 0
		.amdhsa_user_sgpr_private_segment_size 0
		.amdhsa_uses_dynamic_stack 0
		.amdhsa_enable_private_segment 0
		.amdhsa_system_sgpr_workgroup_id_x 1
		.amdhsa_system_sgpr_workgroup_id_y 0
		.amdhsa_system_sgpr_workgroup_id_z 0
		.amdhsa_system_sgpr_workgroup_info 0
		.amdhsa_system_vgpr_workitem_id 0
		.amdhsa_next_free_vgpr 58
		.amdhsa_next_free_sgpr 16
		.amdhsa_accum_offset 60
		.amdhsa_reserve_vcc 1
		.amdhsa_float_round_mode_32 0
		.amdhsa_float_round_mode_16_64 0
		.amdhsa_float_denorm_mode_32 3
		.amdhsa_float_denorm_mode_16_64 3
		.amdhsa_dx10_clamp 1
		.amdhsa_ieee_mode 1
		.amdhsa_fp16_overflow 0
		.amdhsa_tg_split 0
		.amdhsa_exception_fp_ieee_invalid_op 0
		.amdhsa_exception_fp_denorm_src 0
		.amdhsa_exception_fp_ieee_div_zero 0
		.amdhsa_exception_fp_ieee_overflow 0
		.amdhsa_exception_fp_ieee_underflow 0
		.amdhsa_exception_fp_ieee_inexact 0
		.amdhsa_exception_int_div_zero 0
	.end_amdhsa_kernel
	.section	.text._ZN9rocsparseL19gebsrmvn_4xn_kernelILj128ELj3ELj16EdEEvi20rocsparse_direction_NS_24const_host_device_scalarIT2_EEPKiS6_PKS3_S8_S4_PS3_21rocsparse_index_base_b,"axG",@progbits,_ZN9rocsparseL19gebsrmvn_4xn_kernelILj128ELj3ELj16EdEEvi20rocsparse_direction_NS_24const_host_device_scalarIT2_EEPKiS6_PKS3_S8_S4_PS3_21rocsparse_index_base_b,comdat
.Lfunc_end49:
	.size	_ZN9rocsparseL19gebsrmvn_4xn_kernelILj128ELj3ELj16EdEEvi20rocsparse_direction_NS_24const_host_device_scalarIT2_EEPKiS6_PKS3_S8_S4_PS3_21rocsparse_index_base_b, .Lfunc_end49-_ZN9rocsparseL19gebsrmvn_4xn_kernelILj128ELj3ELj16EdEEvi20rocsparse_direction_NS_24const_host_device_scalarIT2_EEPKiS6_PKS3_S8_S4_PS3_21rocsparse_index_base_b
                                        ; -- End function
	.set _ZN9rocsparseL19gebsrmvn_4xn_kernelILj128ELj3ELj16EdEEvi20rocsparse_direction_NS_24const_host_device_scalarIT2_EEPKiS6_PKS3_S8_S4_PS3_21rocsparse_index_base_b.num_vgpr, 58
	.set _ZN9rocsparseL19gebsrmvn_4xn_kernelILj128ELj3ELj16EdEEvi20rocsparse_direction_NS_24const_host_device_scalarIT2_EEPKiS6_PKS3_S8_S4_PS3_21rocsparse_index_base_b.num_agpr, 0
	.set _ZN9rocsparseL19gebsrmvn_4xn_kernelILj128ELj3ELj16EdEEvi20rocsparse_direction_NS_24const_host_device_scalarIT2_EEPKiS6_PKS3_S8_S4_PS3_21rocsparse_index_base_b.numbered_sgpr, 16
	.set _ZN9rocsparseL19gebsrmvn_4xn_kernelILj128ELj3ELj16EdEEvi20rocsparse_direction_NS_24const_host_device_scalarIT2_EEPKiS6_PKS3_S8_S4_PS3_21rocsparse_index_base_b.num_named_barrier, 0
	.set _ZN9rocsparseL19gebsrmvn_4xn_kernelILj128ELj3ELj16EdEEvi20rocsparse_direction_NS_24const_host_device_scalarIT2_EEPKiS6_PKS3_S8_S4_PS3_21rocsparse_index_base_b.private_seg_size, 0
	.set _ZN9rocsparseL19gebsrmvn_4xn_kernelILj128ELj3ELj16EdEEvi20rocsparse_direction_NS_24const_host_device_scalarIT2_EEPKiS6_PKS3_S8_S4_PS3_21rocsparse_index_base_b.uses_vcc, 1
	.set _ZN9rocsparseL19gebsrmvn_4xn_kernelILj128ELj3ELj16EdEEvi20rocsparse_direction_NS_24const_host_device_scalarIT2_EEPKiS6_PKS3_S8_S4_PS3_21rocsparse_index_base_b.uses_flat_scratch, 0
	.set _ZN9rocsparseL19gebsrmvn_4xn_kernelILj128ELj3ELj16EdEEvi20rocsparse_direction_NS_24const_host_device_scalarIT2_EEPKiS6_PKS3_S8_S4_PS3_21rocsparse_index_base_b.has_dyn_sized_stack, 0
	.set _ZN9rocsparseL19gebsrmvn_4xn_kernelILj128ELj3ELj16EdEEvi20rocsparse_direction_NS_24const_host_device_scalarIT2_EEPKiS6_PKS3_S8_S4_PS3_21rocsparse_index_base_b.has_recursion, 0
	.set _ZN9rocsparseL19gebsrmvn_4xn_kernelILj128ELj3ELj16EdEEvi20rocsparse_direction_NS_24const_host_device_scalarIT2_EEPKiS6_PKS3_S8_S4_PS3_21rocsparse_index_base_b.has_indirect_call, 0
	.section	.AMDGPU.csdata,"",@progbits
; Kernel info:
; codeLenInByte = 1660
; TotalNumSgprs: 22
; NumVgprs: 58
; NumAgprs: 0
; TotalNumVgprs: 58
; ScratchSize: 0
; MemoryBound: 0
; FloatMode: 240
; IeeeMode: 1
; LDSByteSize: 0 bytes/workgroup (compile time only)
; SGPRBlocks: 2
; VGPRBlocks: 7
; NumSGPRsForWavesPerEU: 22
; NumVGPRsForWavesPerEU: 58
; AccumOffset: 60
; Occupancy: 8
; WaveLimiterHint : 1
; COMPUTE_PGM_RSRC2:SCRATCH_EN: 0
; COMPUTE_PGM_RSRC2:USER_SGPR: 2
; COMPUTE_PGM_RSRC2:TRAP_HANDLER: 0
; COMPUTE_PGM_RSRC2:TGID_X_EN: 1
; COMPUTE_PGM_RSRC2:TGID_Y_EN: 0
; COMPUTE_PGM_RSRC2:TGID_Z_EN: 0
; COMPUTE_PGM_RSRC2:TIDIG_COMP_CNT: 0
; COMPUTE_PGM_RSRC3_GFX90A:ACCUM_OFFSET: 14
; COMPUTE_PGM_RSRC3_GFX90A:TG_SPLIT: 0
	.section	.text._ZN9rocsparseL19gebsrmvn_4xn_kernelILj128ELj3ELj32EdEEvi20rocsparse_direction_NS_24const_host_device_scalarIT2_EEPKiS6_PKS3_S8_S4_PS3_21rocsparse_index_base_b,"axG",@progbits,_ZN9rocsparseL19gebsrmvn_4xn_kernelILj128ELj3ELj32EdEEvi20rocsparse_direction_NS_24const_host_device_scalarIT2_EEPKiS6_PKS3_S8_S4_PS3_21rocsparse_index_base_b,comdat
	.globl	_ZN9rocsparseL19gebsrmvn_4xn_kernelILj128ELj3ELj32EdEEvi20rocsparse_direction_NS_24const_host_device_scalarIT2_EEPKiS6_PKS3_S8_S4_PS3_21rocsparse_index_base_b ; -- Begin function _ZN9rocsparseL19gebsrmvn_4xn_kernelILj128ELj3ELj32EdEEvi20rocsparse_direction_NS_24const_host_device_scalarIT2_EEPKiS6_PKS3_S8_S4_PS3_21rocsparse_index_base_b
	.p2align	8
	.type	_ZN9rocsparseL19gebsrmvn_4xn_kernelILj128ELj3ELj32EdEEvi20rocsparse_direction_NS_24const_host_device_scalarIT2_EEPKiS6_PKS3_S8_S4_PS3_21rocsparse_index_base_b,@function
_ZN9rocsparseL19gebsrmvn_4xn_kernelILj128ELj3ELj32EdEEvi20rocsparse_direction_NS_24const_host_device_scalarIT2_EEPKiS6_PKS3_S8_S4_PS3_21rocsparse_index_base_b: ; @_ZN9rocsparseL19gebsrmvn_4xn_kernelILj128ELj3ELj32EdEEvi20rocsparse_direction_NS_24const_host_device_scalarIT2_EEPKiS6_PKS3_S8_S4_PS3_21rocsparse_index_base_b
; %bb.0:
	s_load_dwordx2 s[12:13], s[0:1], 0x40
	s_load_dwordx2 s[8:9], s[0:1], 0x8
	;; [unrolled: 1-line block ×3, first 2 shown]
	s_waitcnt lgkmcnt(0)
	s_bitcmp1_b32 s13, 0
	s_cselect_b64 s[10:11], -1, 0
	s_xor_b64 s[6:7], s[10:11], -1
	s_and_b64 vcc, exec, s[10:11]
	v_mov_b64_e32 v[2:3], s[8:9]
	s_cbranch_vccnz .LBB50_2
; %bb.1:
	v_mov_b64_e32 v[2:3], s[8:9]
	flat_load_dwordx2 v[2:3], v[2:3]
.LBB50_2:
	s_andn2_b64 vcc, exec, s[6:7]
	v_mov_b64_e32 v[4:5], s[4:5]
	s_cbranch_vccnz .LBB50_4
; %bb.3:
	v_mov_b64_e32 v[4:5], s[4:5]
	flat_load_dwordx2 v[4:5], v[4:5]
.LBB50_4:
	s_waitcnt vmcnt(0) lgkmcnt(0)
	v_cmp_neq_f64_e32 vcc, 0, v[2:3]
	v_cmp_neq_f64_e64 s[4:5], 1.0, v[4:5]
	s_or_b64 s[4:5], vcc, s[4:5]
	s_and_saveexec_b64 s[6:7], s[4:5]
	s_cbranch_execz .LBB50_23
; %bb.5:
	s_load_dwordx2 s[14:15], s[0:1], 0x0
	v_lshrrev_b32_e32 v1, 5, v0
	v_lshl_or_b32 v6, s2, 2, v1
	s_waitcnt lgkmcnt(0)
	v_cmp_gt_i32_e32 vcc, s14, v6
	s_and_b64 exec, exec, vcc
	s_cbranch_execz .LBB50_23
; %bb.6:
	s_load_dwordx8 s[4:11], s[0:1], 0x10
	v_ashrrev_i32_e32 v7, 31, v6
	s_cmp_lg_u32 s15, 0
	s_waitcnt lgkmcnt(0)
	v_lshl_add_u64 v[8:9], v[6:7], 2, s[4:5]
	global_load_dwordx2 v[8:9], v[8:9], off
	v_and_b32_e32 v7, 31, v0
	s_waitcnt vmcnt(0)
	v_subrev_u32_e32 v0, s12, v8
	v_subrev_u32_e32 v20, s12, v9
	v_add_u32_e32 v14, v0, v7
	v_cmp_lt_i32_e64 s[2:3], v14, v20
	s_cbranch_scc0 .LBB50_12
; %bb.7:
	v_mov_b64_e32 v[10:11], 0
	v_mov_b64_e32 v[0:1], 0
	;; [unrolled: 1-line block ×4, first 2 shown]
	s_and_saveexec_b64 s[4:5], s[2:3]
	s_cbranch_execz .LBB50_11
; %bb.8:
	v_mul_lo_u32 v16, v14, 12
	v_mov_b64_e32 v[10:11], 0
	s_mov_b64 s[14:15], 0
	v_mov_b32_e32 v17, 0
	v_mov_b32_e32 v18, v14
	v_mov_b64_e32 v[0:1], 0
	v_mov_b64_e32 v[8:9], 0
	;; [unrolled: 1-line block ×3, first 2 shown]
.LBB50_9:                               ; =>This Inner Loop Header: Depth=1
	v_ashrrev_i32_e32 v19, 31, v18
	v_lshl_add_u64 v[22:23], v[18:19], 2, s[6:7]
	global_load_dword v15, v[22:23], off
	v_add_u32_e32 v32, 4, v16
	v_mov_b32_e32 v33, v17
	v_lshl_add_u64 v[30:31], v[16:17], 3, s[8:9]
	v_mov_b32_e32 v47, v17
	v_add_u32_e32 v34, 8, v16
	v_mov_b32_e32 v35, v17
	v_lshl_add_u64 v[52:53], v[32:33], 3, s[8:9]
	global_load_dwordx4 v[22:25], v[30:31], off offset:16
	global_load_dwordx4 v[26:29], v[30:31], off
	v_lshl_add_u64 v[54:55], v[34:35], 3, s[8:9]
	global_load_dwordx4 v[30:33], v[52:53], off offset:16
	global_load_dwordx4 v[34:37], v[52:53], off
	global_load_dwordx4 v[38:41], v[54:55], off offset:16
	global_load_dwordx4 v[42:45], v[54:55], off
	v_mov_b32_e32 v49, v17
	v_mov_b32_e32 v51, v17
	v_add_u32_e32 v18, 32, v18
	v_cmp_ge_i32_e32 vcc, v18, v20
	v_add_u32_e32 v16, 0x180, v16
	s_or_b64 s[14:15], vcc, s[14:15]
	s_waitcnt vmcnt(6)
	v_subrev_u32_e32 v15, s12, v15
	v_lshl_add_u32 v46, v15, 1, v15
	v_lshl_add_u64 v[52:53], v[46:47], 3, s[10:11]
	v_add_u32_e32 v48, 1, v46
	v_add_u32_e32 v50, 2, v46
	global_load_dwordx2 v[46:47], v[52:53], off
	v_lshl_add_u64 v[48:49], v[48:49], 3, s[10:11]
	v_lshl_add_u64 v[50:51], v[50:51], 3, s[10:11]
	global_load_dwordx2 v[52:53], v[48:49], off
	global_load_dwordx2 v[54:55], v[50:51], off
	s_waitcnt vmcnt(2)
	v_fmac_f64_e32 v[10:11], v[26:27], v[46:47]
	v_fmac_f64_e32 v[12:13], v[28:29], v[46:47]
	v_fmac_f64_e32 v[8:9], v[22:23], v[46:47]
	v_fmac_f64_e32 v[0:1], v[24:25], v[46:47]
	s_waitcnt vmcnt(1)
	v_fmac_f64_e32 v[10:11], v[34:35], v[52:53]
	v_fmac_f64_e32 v[12:13], v[36:37], v[52:53]
	v_fmac_f64_e32 v[8:9], v[30:31], v[52:53]
	v_fmac_f64_e32 v[0:1], v[32:33], v[52:53]
	;; [unrolled: 5-line block ×3, first 2 shown]
	s_andn2_b64 exec, exec, s[14:15]
	s_cbranch_execnz .LBB50_9
; %bb.10:
	s_or_b64 exec, exec, s[14:15]
.LBB50_11:
	s_or_b64 exec, exec, s[4:5]
	s_cbranch_execz .LBB50_13
	s_branch .LBB50_18
.LBB50_12:
                                        ; implicit-def: $vgpr10_vgpr11
                                        ; implicit-def: $vgpr0_vgpr1
                                        ; implicit-def: $vgpr8_vgpr9
                                        ; implicit-def: $vgpr12_vgpr13
.LBB50_13:
	v_mov_b64_e32 v[10:11], 0
	v_mov_b64_e32 v[0:1], 0
	;; [unrolled: 1-line block ×4, first 2 shown]
	s_and_saveexec_b64 s[4:5], s[2:3]
	s_cbranch_execz .LBB50_17
; %bb.14:
	v_mad_u64_u32 v[16:17], s[2:3], v14, 12, 11
	v_mov_b64_e32 v[10:11], 0
	s_mov_b64 s[2:3], 0
	v_mov_b32_e32 v19, 0
	v_mov_b64_e32 v[0:1], 0
	v_mov_b64_e32 v[8:9], 0
	;; [unrolled: 1-line block ×3, first 2 shown]
.LBB50_15:                              ; =>This Inner Loop Header: Depth=1
	v_ashrrev_i32_e32 v15, 31, v14
	v_lshl_add_u64 v[22:23], v[14:15], 2, s[6:7]
	global_load_dword v15, v[22:23], off
	v_add_u32_e32 v18, -11, v16
	v_add_u32_e32 v22, -5, v16
	v_mov_b32_e32 v23, v19
	v_add_u32_e32 v24, -2, v16
	v_mov_b32_e32 v25, v19
	v_lshl_add_u64 v[32:33], v[18:19], 3, s[8:9]
	v_lshl_add_u64 v[34:35], v[22:23], 3, s[8:9]
	;; [unrolled: 1-line block ×3, first 2 shown]
	global_load_dwordx4 v[22:25], v[32:33], off offset:16
	global_load_dwordx4 v[26:29], v[32:33], off
	global_load_dwordx2 v[40:41], v[34:35], off
	global_load_dwordx2 v[42:43], v[36:37], off
	v_mov_b32_e32 v31, v19
	v_mov_b32_e32 v17, v19
	v_lshl_add_u64 v[38:39], v[16:17], 3, s[8:9]
	v_add_u32_e32 v14, 32, v14
	v_cmp_ge_i32_e32 vcc, v14, v20
	s_or_b64 s[2:3], vcc, s[2:3]
	s_waitcnt vmcnt(4)
	v_subrev_u32_e32 v15, s12, v15
	v_lshl_add_u32 v30, v15, 1, v15
	v_add_u32_e32 v18, 1, v30
	v_lshl_add_u64 v[34:35], v[18:19], 3, s[10:11]
	v_add_u32_e32 v18, -7, v16
	v_lshl_add_u64 v[36:37], v[18:19], 3, s[8:9]
	v_add_u32_e32 v18, -4, v16
	;; [unrolled: 2-line block ×3, first 2 shown]
	v_lshl_add_u64 v[32:33], v[30:31], 3, s[10:11]
	v_lshl_add_u64 v[46:47], v[18:19], 3, s[8:9]
	v_add_u32_e32 v18, 2, v30
	global_load_dwordx2 v[32:33], v[32:33], off
	s_nop 0
	global_load_dwordx2 v[34:35], v[34:35], off
	s_waitcnt vmcnt(1)
	v_fmac_f64_e32 v[10:11], v[26:27], v[32:33]
	global_load_dwordx2 v[36:37], v[36:37], off
	s_nop 0
	global_load_dwordx2 v[30:31], v[44:45], off
	global_load_dwordx2 v[48:49], v[46:47], off
	v_lshl_add_u64 v[44:45], v[18:19], 3, s[10:11]
	v_add_u32_e32 v18, -6, v16
	v_lshl_add_u64 v[46:47], v[18:19], 3, s[8:9]
	v_add_u32_e32 v18, -3, v16
	global_load_dwordx2 v[44:45], v[44:45], off
	v_lshl_add_u64 v[50:51], v[18:19], 3, s[8:9]
	global_load_dwordx2 v[52:53], v[46:47], off
	global_load_dwordx2 v[54:55], v[50:51], off
	;; [unrolled: 1-line block ×3, first 2 shown]
	v_fmac_f64_e32 v[12:13], v[24:25], v[32:33]
	v_fmac_f64_e32 v[8:9], v[40:41], v[32:33]
	v_fmac_f64_e32 v[0:1], v[42:43], v[32:33]
	s_waitcnt vmcnt(7)
	v_fmac_f64_e32 v[10:11], v[28:29], v[34:35]
	v_add_u32_e32 v16, 0x180, v16
	s_waitcnt vmcnt(6)
	v_fmac_f64_e32 v[12:13], v[36:37], v[34:35]
	s_waitcnt vmcnt(5)
	v_fmac_f64_e32 v[8:9], v[30:31], v[34:35]
	;; [unrolled: 2-line block ×7, first 2 shown]
	s_andn2_b64 exec, exec, s[2:3]
	s_cbranch_execnz .LBB50_15
; %bb.16:
	s_or_b64 exec, exec, s[2:3]
.LBB50_17:
	s_or_b64 exec, exec, s[4:5]
.LBB50_18:
	v_mov_b32_dpp v16, v12 row_shr:1 row_mask:0xf bank_mask:0xf
	v_mov_b32_dpp v17, v13 row_shr:1 row_mask:0xf bank_mask:0xf
	v_add_f64 v[12:13], v[12:13], v[16:17]
	v_mov_b32_dpp v14, v10 row_shr:1 row_mask:0xf bank_mask:0xf
	v_mov_b32_dpp v15, v11 row_shr:1 row_mask:0xf bank_mask:0xf
	;; [unrolled: 1-line block ×4, first 2 shown]
	v_add_f64 v[12:13], v[12:13], v[16:17]
	v_add_f64 v[10:11], v[10:11], v[14:15]
	v_cmp_eq_u32_e32 vcc, 31, v7
	v_mov_b32_dpp v16, v12 row_shr:4 row_mask:0xf bank_mask:0xe
	v_mov_b32_dpp v17, v13 row_shr:4 row_mask:0xf bank_mask:0xe
	v_add_f64 v[12:13], v[12:13], v[16:17]
	v_mov_b32_dpp v14, v10 row_shr:2 row_mask:0xf bank_mask:0xf
	v_mov_b32_dpp v15, v11 row_shr:2 row_mask:0xf bank_mask:0xf
	v_mov_b32_dpp v16, v12 row_shr:8 row_mask:0xf bank_mask:0xc
	v_mov_b32_dpp v17, v13 row_shr:8 row_mask:0xf bank_mask:0xc
	v_add_f64 v[16:17], v[12:13], v[16:17]
	v_mov_b32_dpp v12, v8 row_shr:1 row_mask:0xf bank_mask:0xf
	v_mov_b32_dpp v13, v9 row_shr:1 row_mask:0xf bank_mask:0xf
	v_add_f64 v[8:9], v[8:9], v[12:13]
	v_add_f64 v[10:11], v[10:11], v[14:15]
	v_mov_b32_dpp v18, v16 row_bcast:15 row_mask:0xa bank_mask:0xf
	v_mov_b32_dpp v12, v8 row_shr:2 row_mask:0xf bank_mask:0xf
	v_mov_b32_dpp v13, v9 row_shr:2 row_mask:0xf bank_mask:0xf
	v_add_f64 v[8:9], v[8:9], v[12:13]
	v_mov_b32_dpp v14, v10 row_shr:4 row_mask:0xf bank_mask:0xe
	v_mov_b32_dpp v15, v11 row_shr:4 row_mask:0xf bank_mask:0xe
	;; [unrolled: 1-line block ×4, first 2 shown]
	v_add_f64 v[8:9], v[8:9], v[12:13]
	v_add_f64 v[10:11], v[10:11], v[14:15]
	v_mov_b32_dpp v19, v17 row_bcast:15 row_mask:0xa bank_mask:0xf
	v_mov_b32_dpp v12, v8 row_shr:8 row_mask:0xf bank_mask:0xc
	v_mov_b32_dpp v13, v9 row_shr:8 row_mask:0xf bank_mask:0xc
	v_add_f64 v[8:9], v[8:9], v[12:13]
	v_mov_b32_dpp v12, v0 row_shr:1 row_mask:0xf bank_mask:0xf
	v_mov_b32_dpp v13, v1 row_shr:1 row_mask:0xf bank_mask:0xf
	v_add_f64 v[0:1], v[0:1], v[12:13]
	v_mov_b32_dpp v14, v10 row_shr:8 row_mask:0xf bank_mask:0xc
	v_mov_b32_dpp v15, v11 row_shr:8 row_mask:0xf bank_mask:0xc
	;; [unrolled: 1-line block ×4, first 2 shown]
	v_add_f64 v[0:1], v[0:1], v[12:13]
	v_add_f64 v[10:11], v[10:11], v[14:15]
	v_mov_b32_dpp v20, v8 row_bcast:15 row_mask:0xa bank_mask:0xf
	v_mov_b32_dpp v12, v0 row_shr:4 row_mask:0xf bank_mask:0xe
	v_mov_b32_dpp v13, v1 row_shr:4 row_mask:0xf bank_mask:0xe
	v_add_f64 v[0:1], v[0:1], v[12:13]
	v_mov_b32_dpp v14, v10 row_bcast:15 row_mask:0xa bank_mask:0xf
	v_mov_b32_dpp v15, v11 row_bcast:15 row_mask:0xa bank_mask:0xf
	v_mov_b32_dpp v12, v0 row_shr:8 row_mask:0xf bank_mask:0xc
	v_mov_b32_dpp v13, v1 row_shr:8 row_mask:0xf bank_mask:0xc
	v_add_f64 v[22:23], v[0:1], v[12:13]
	v_mov_b32_dpp v21, v9 row_bcast:15 row_mask:0xa bank_mask:0xf
	s_nop 0
	v_mov_b32_dpp v24, v22 row_bcast:15 row_mask:0xa bank_mask:0xf
	v_mov_b32_dpp v25, v23 row_bcast:15 row_mask:0xa bank_mask:0xf
	s_and_b64 exec, exec, vcc
	s_cbranch_execz .LBB50_23
; %bb.19:
	s_load_dwordx2 s[0:1], s[0:1], 0x38
	v_add_f64 v[12:13], v[10:11], v[14:15]
	v_add_f64 v[10:11], v[16:17], v[18:19]
	;; [unrolled: 1-line block ×4, first 2 shown]
	v_cmp_eq_f64_e32 vcc, 0, v[4:5]
	s_and_saveexec_b64 s[2:3], vcc
	s_xor_b64 s[2:3], exec, s[2:3]
	s_cbranch_execz .LBB50_21
; %bb.20:
	v_lshlrev_b32_e32 v6, 2, v6
	v_ashrrev_i32_e32 v7, 31, v6
	v_mul_f64 v[4:5], v[2:3], v[12:13]
	s_waitcnt lgkmcnt(0)
	v_lshl_add_u64 v[12:13], v[6:7], 3, s[0:1]
	v_mul_f64 v[6:7], v[2:3], v[10:11]
	v_mul_f64 v[0:1], v[2:3], v[0:1]
	;; [unrolled: 1-line block ×3, first 2 shown]
	global_store_dwordx4 v[12:13], v[4:7], off
	global_store_dwordx4 v[12:13], v[0:3], off offset:16
                                        ; implicit-def: $vgpr6
                                        ; implicit-def: $vgpr2_vgpr3
                                        ; implicit-def: $vgpr12_vgpr13
                                        ; implicit-def: $vgpr4_vgpr5
                                        ; implicit-def: $vgpr10_vgpr11
                                        ; implicit-def: $vgpr0_vgpr1
                                        ; implicit-def: $vgpr8_vgpr9
.LBB50_21:
	s_andn2_saveexec_b64 s[2:3], s[2:3]
	s_cbranch_execz .LBB50_23
; %bb.22:
	v_lshlrev_b32_e32 v6, 2, v6
	v_ashrrev_i32_e32 v7, 31, v6
	s_waitcnt lgkmcnt(0)
	v_lshl_add_u64 v[6:7], v[6:7], 3, s[0:1]
	global_load_dwordx4 v[14:17], v[6:7], off
	global_load_dwordx4 v[18:21], v[6:7], off offset:16
	v_mul_f64 v[22:23], v[2:3], v[12:13]
	v_mul_f64 v[24:25], v[2:3], v[10:11]
	;; [unrolled: 1-line block ×4, first 2 shown]
	s_waitcnt vmcnt(1)
	v_fmac_f64_e32 v[22:23], v[4:5], v[14:15]
	v_fmac_f64_e32 v[24:25], v[4:5], v[16:17]
	s_waitcnt vmcnt(0)
	v_fmac_f64_e32 v[0:1], v[4:5], v[18:19]
	v_fmac_f64_e32 v[2:3], v[4:5], v[20:21]
	global_store_dwordx4 v[6:7], v[22:25], off
	global_store_dwordx4 v[6:7], v[0:3], off offset:16
.LBB50_23:
	s_endpgm
	.section	.rodata,"a",@progbits
	.p2align	6, 0x0
	.amdhsa_kernel _ZN9rocsparseL19gebsrmvn_4xn_kernelILj128ELj3ELj32EdEEvi20rocsparse_direction_NS_24const_host_device_scalarIT2_EEPKiS6_PKS3_S8_S4_PS3_21rocsparse_index_base_b
		.amdhsa_group_segment_fixed_size 0
		.amdhsa_private_segment_fixed_size 0
		.amdhsa_kernarg_size 72
		.amdhsa_user_sgpr_count 2
		.amdhsa_user_sgpr_dispatch_ptr 0
		.amdhsa_user_sgpr_queue_ptr 0
		.amdhsa_user_sgpr_kernarg_segment_ptr 1
		.amdhsa_user_sgpr_dispatch_id 0
		.amdhsa_user_sgpr_kernarg_preload_length 0
		.amdhsa_user_sgpr_kernarg_preload_offset 0
		.amdhsa_user_sgpr_private_segment_size 0
		.amdhsa_uses_dynamic_stack 0
		.amdhsa_enable_private_segment 0
		.amdhsa_system_sgpr_workgroup_id_x 1
		.amdhsa_system_sgpr_workgroup_id_y 0
		.amdhsa_system_sgpr_workgroup_id_z 0
		.amdhsa_system_sgpr_workgroup_info 0
		.amdhsa_system_vgpr_workitem_id 0
		.amdhsa_next_free_vgpr 58
		.amdhsa_next_free_sgpr 16
		.amdhsa_accum_offset 60
		.amdhsa_reserve_vcc 1
		.amdhsa_float_round_mode_32 0
		.amdhsa_float_round_mode_16_64 0
		.amdhsa_float_denorm_mode_32 3
		.amdhsa_float_denorm_mode_16_64 3
		.amdhsa_dx10_clamp 1
		.amdhsa_ieee_mode 1
		.amdhsa_fp16_overflow 0
		.amdhsa_tg_split 0
		.amdhsa_exception_fp_ieee_invalid_op 0
		.amdhsa_exception_fp_denorm_src 0
		.amdhsa_exception_fp_ieee_div_zero 0
		.amdhsa_exception_fp_ieee_overflow 0
		.amdhsa_exception_fp_ieee_underflow 0
		.amdhsa_exception_fp_ieee_inexact 0
		.amdhsa_exception_int_div_zero 0
	.end_amdhsa_kernel
	.section	.text._ZN9rocsparseL19gebsrmvn_4xn_kernelILj128ELj3ELj32EdEEvi20rocsparse_direction_NS_24const_host_device_scalarIT2_EEPKiS6_PKS3_S8_S4_PS3_21rocsparse_index_base_b,"axG",@progbits,_ZN9rocsparseL19gebsrmvn_4xn_kernelILj128ELj3ELj32EdEEvi20rocsparse_direction_NS_24const_host_device_scalarIT2_EEPKiS6_PKS3_S8_S4_PS3_21rocsparse_index_base_b,comdat
.Lfunc_end50:
	.size	_ZN9rocsparseL19gebsrmvn_4xn_kernelILj128ELj3ELj32EdEEvi20rocsparse_direction_NS_24const_host_device_scalarIT2_EEPKiS6_PKS3_S8_S4_PS3_21rocsparse_index_base_b, .Lfunc_end50-_ZN9rocsparseL19gebsrmvn_4xn_kernelILj128ELj3ELj32EdEEvi20rocsparse_direction_NS_24const_host_device_scalarIT2_EEPKiS6_PKS3_S8_S4_PS3_21rocsparse_index_base_b
                                        ; -- End function
	.set _ZN9rocsparseL19gebsrmvn_4xn_kernelILj128ELj3ELj32EdEEvi20rocsparse_direction_NS_24const_host_device_scalarIT2_EEPKiS6_PKS3_S8_S4_PS3_21rocsparse_index_base_b.num_vgpr, 58
	.set _ZN9rocsparseL19gebsrmvn_4xn_kernelILj128ELj3ELj32EdEEvi20rocsparse_direction_NS_24const_host_device_scalarIT2_EEPKiS6_PKS3_S8_S4_PS3_21rocsparse_index_base_b.num_agpr, 0
	.set _ZN9rocsparseL19gebsrmvn_4xn_kernelILj128ELj3ELj32EdEEvi20rocsparse_direction_NS_24const_host_device_scalarIT2_EEPKiS6_PKS3_S8_S4_PS3_21rocsparse_index_base_b.numbered_sgpr, 16
	.set _ZN9rocsparseL19gebsrmvn_4xn_kernelILj128ELj3ELj32EdEEvi20rocsparse_direction_NS_24const_host_device_scalarIT2_EEPKiS6_PKS3_S8_S4_PS3_21rocsparse_index_base_b.num_named_barrier, 0
	.set _ZN9rocsparseL19gebsrmvn_4xn_kernelILj128ELj3ELj32EdEEvi20rocsparse_direction_NS_24const_host_device_scalarIT2_EEPKiS6_PKS3_S8_S4_PS3_21rocsparse_index_base_b.private_seg_size, 0
	.set _ZN9rocsparseL19gebsrmvn_4xn_kernelILj128ELj3ELj32EdEEvi20rocsparse_direction_NS_24const_host_device_scalarIT2_EEPKiS6_PKS3_S8_S4_PS3_21rocsparse_index_base_b.uses_vcc, 1
	.set _ZN9rocsparseL19gebsrmvn_4xn_kernelILj128ELj3ELj32EdEEvi20rocsparse_direction_NS_24const_host_device_scalarIT2_EEPKiS6_PKS3_S8_S4_PS3_21rocsparse_index_base_b.uses_flat_scratch, 0
	.set _ZN9rocsparseL19gebsrmvn_4xn_kernelILj128ELj3ELj32EdEEvi20rocsparse_direction_NS_24const_host_device_scalarIT2_EEPKiS6_PKS3_S8_S4_PS3_21rocsparse_index_base_b.has_dyn_sized_stack, 0
	.set _ZN9rocsparseL19gebsrmvn_4xn_kernelILj128ELj3ELj32EdEEvi20rocsparse_direction_NS_24const_host_device_scalarIT2_EEPKiS6_PKS3_S8_S4_PS3_21rocsparse_index_base_b.has_recursion, 0
	.set _ZN9rocsparseL19gebsrmvn_4xn_kernelILj128ELj3ELj32EdEEvi20rocsparse_direction_NS_24const_host_device_scalarIT2_EEPKiS6_PKS3_S8_S4_PS3_21rocsparse_index_base_b.has_indirect_call, 0
	.section	.AMDGPU.csdata,"",@progbits
; Kernel info:
; codeLenInByte = 1760
; TotalNumSgprs: 22
; NumVgprs: 58
; NumAgprs: 0
; TotalNumVgprs: 58
; ScratchSize: 0
; MemoryBound: 0
; FloatMode: 240
; IeeeMode: 1
; LDSByteSize: 0 bytes/workgroup (compile time only)
; SGPRBlocks: 2
; VGPRBlocks: 7
; NumSGPRsForWavesPerEU: 22
; NumVGPRsForWavesPerEU: 58
; AccumOffset: 60
; Occupancy: 8
; WaveLimiterHint : 1
; COMPUTE_PGM_RSRC2:SCRATCH_EN: 0
; COMPUTE_PGM_RSRC2:USER_SGPR: 2
; COMPUTE_PGM_RSRC2:TRAP_HANDLER: 0
; COMPUTE_PGM_RSRC2:TGID_X_EN: 1
; COMPUTE_PGM_RSRC2:TGID_Y_EN: 0
; COMPUTE_PGM_RSRC2:TGID_Z_EN: 0
; COMPUTE_PGM_RSRC2:TIDIG_COMP_CNT: 0
; COMPUTE_PGM_RSRC3_GFX90A:ACCUM_OFFSET: 14
; COMPUTE_PGM_RSRC3_GFX90A:TG_SPLIT: 0
	.section	.text._ZN9rocsparseL19gebsrmvn_4xn_kernelILj128ELj3ELj64EdEEvi20rocsparse_direction_NS_24const_host_device_scalarIT2_EEPKiS6_PKS3_S8_S4_PS3_21rocsparse_index_base_b,"axG",@progbits,_ZN9rocsparseL19gebsrmvn_4xn_kernelILj128ELj3ELj64EdEEvi20rocsparse_direction_NS_24const_host_device_scalarIT2_EEPKiS6_PKS3_S8_S4_PS3_21rocsparse_index_base_b,comdat
	.globl	_ZN9rocsparseL19gebsrmvn_4xn_kernelILj128ELj3ELj64EdEEvi20rocsparse_direction_NS_24const_host_device_scalarIT2_EEPKiS6_PKS3_S8_S4_PS3_21rocsparse_index_base_b ; -- Begin function _ZN9rocsparseL19gebsrmvn_4xn_kernelILj128ELj3ELj64EdEEvi20rocsparse_direction_NS_24const_host_device_scalarIT2_EEPKiS6_PKS3_S8_S4_PS3_21rocsparse_index_base_b
	.p2align	8
	.type	_ZN9rocsparseL19gebsrmvn_4xn_kernelILj128ELj3ELj64EdEEvi20rocsparse_direction_NS_24const_host_device_scalarIT2_EEPKiS6_PKS3_S8_S4_PS3_21rocsparse_index_base_b,@function
_ZN9rocsparseL19gebsrmvn_4xn_kernelILj128ELj3ELj64EdEEvi20rocsparse_direction_NS_24const_host_device_scalarIT2_EEPKiS6_PKS3_S8_S4_PS3_21rocsparse_index_base_b: ; @_ZN9rocsparseL19gebsrmvn_4xn_kernelILj128ELj3ELj64EdEEvi20rocsparse_direction_NS_24const_host_device_scalarIT2_EEPKiS6_PKS3_S8_S4_PS3_21rocsparse_index_base_b
; %bb.0:
	s_load_dwordx2 s[12:13], s[0:1], 0x40
	s_load_dwordx2 s[8:9], s[0:1], 0x8
	;; [unrolled: 1-line block ×3, first 2 shown]
	s_waitcnt lgkmcnt(0)
	s_bitcmp1_b32 s13, 0
	s_cselect_b64 s[10:11], -1, 0
	s_xor_b64 s[6:7], s[10:11], -1
	s_and_b64 vcc, exec, s[10:11]
	v_mov_b64_e32 v[2:3], s[8:9]
	s_cbranch_vccnz .LBB51_2
; %bb.1:
	v_mov_b64_e32 v[2:3], s[8:9]
	flat_load_dwordx2 v[2:3], v[2:3]
.LBB51_2:
	s_andn2_b64 vcc, exec, s[6:7]
	v_mov_b64_e32 v[4:5], s[4:5]
	s_cbranch_vccnz .LBB51_4
; %bb.3:
	v_mov_b64_e32 v[4:5], s[4:5]
	flat_load_dwordx2 v[4:5], v[4:5]
.LBB51_4:
	s_waitcnt vmcnt(0) lgkmcnt(0)
	v_cmp_neq_f64_e32 vcc, 0, v[2:3]
	v_cmp_neq_f64_e64 s[4:5], 1.0, v[4:5]
	s_or_b64 s[4:5], vcc, s[4:5]
	s_and_saveexec_b64 s[6:7], s[4:5]
	s_cbranch_execz .LBB51_23
; %bb.5:
	s_load_dwordx2 s[14:15], s[0:1], 0x0
	v_lshrrev_b32_e32 v1, 6, v0
	v_lshl_or_b32 v6, s2, 1, v1
	s_waitcnt lgkmcnt(0)
	v_cmp_gt_i32_e32 vcc, s14, v6
	s_and_b64 exec, exec, vcc
	s_cbranch_execz .LBB51_23
; %bb.6:
	s_load_dwordx8 s[4:11], s[0:1], 0x10
	v_ashrrev_i32_e32 v7, 31, v6
	s_cmp_lg_u32 s15, 0
	s_waitcnt lgkmcnt(0)
	v_lshl_add_u64 v[8:9], v[6:7], 2, s[4:5]
	global_load_dwordx2 v[8:9], v[8:9], off
	v_and_b32_e32 v7, 63, v0
	s_waitcnt vmcnt(0)
	v_subrev_u32_e32 v0, s12, v8
	v_subrev_u32_e32 v20, s12, v9
	v_add_u32_e32 v14, v0, v7
	v_cmp_lt_i32_e64 s[2:3], v14, v20
	s_cbranch_scc0 .LBB51_12
; %bb.7:
	v_mov_b64_e32 v[10:11], 0
	v_mov_b64_e32 v[0:1], 0
	;; [unrolled: 1-line block ×4, first 2 shown]
	s_and_saveexec_b64 s[4:5], s[2:3]
	s_cbranch_execz .LBB51_11
; %bb.8:
	v_mul_lo_u32 v16, v14, 12
	v_mov_b64_e32 v[10:11], 0
	s_mov_b64 s[14:15], 0
	v_mov_b32_e32 v17, 0
	v_mov_b32_e32 v18, v14
	v_mov_b64_e32 v[0:1], 0
	v_mov_b64_e32 v[8:9], 0
	v_mov_b64_e32 v[12:13], 0
.LBB51_9:                               ; =>This Inner Loop Header: Depth=1
	v_ashrrev_i32_e32 v19, 31, v18
	v_lshl_add_u64 v[22:23], v[18:19], 2, s[6:7]
	global_load_dword v15, v[22:23], off
	v_add_u32_e32 v32, 4, v16
	v_mov_b32_e32 v33, v17
	v_lshl_add_u64 v[30:31], v[16:17], 3, s[8:9]
	v_mov_b32_e32 v47, v17
	v_add_u32_e32 v34, 8, v16
	v_mov_b32_e32 v35, v17
	v_lshl_add_u64 v[52:53], v[32:33], 3, s[8:9]
	global_load_dwordx4 v[22:25], v[30:31], off offset:16
	global_load_dwordx4 v[26:29], v[30:31], off
	v_lshl_add_u64 v[54:55], v[34:35], 3, s[8:9]
	global_load_dwordx4 v[30:33], v[52:53], off offset:16
	global_load_dwordx4 v[34:37], v[52:53], off
	global_load_dwordx4 v[38:41], v[54:55], off offset:16
	global_load_dwordx4 v[42:45], v[54:55], off
	v_mov_b32_e32 v49, v17
	v_mov_b32_e32 v51, v17
	v_add_u32_e32 v18, 64, v18
	v_cmp_ge_i32_e32 vcc, v18, v20
	v_add_u32_e32 v16, 0x300, v16
	s_or_b64 s[14:15], vcc, s[14:15]
	s_waitcnt vmcnt(6)
	v_subrev_u32_e32 v15, s12, v15
	v_lshl_add_u32 v46, v15, 1, v15
	v_lshl_add_u64 v[52:53], v[46:47], 3, s[10:11]
	v_add_u32_e32 v48, 1, v46
	v_add_u32_e32 v50, 2, v46
	global_load_dwordx2 v[46:47], v[52:53], off
	v_lshl_add_u64 v[48:49], v[48:49], 3, s[10:11]
	v_lshl_add_u64 v[50:51], v[50:51], 3, s[10:11]
	global_load_dwordx2 v[52:53], v[48:49], off
	global_load_dwordx2 v[54:55], v[50:51], off
	s_waitcnt vmcnt(2)
	v_fmac_f64_e32 v[10:11], v[26:27], v[46:47]
	v_fmac_f64_e32 v[12:13], v[28:29], v[46:47]
	v_fmac_f64_e32 v[8:9], v[22:23], v[46:47]
	v_fmac_f64_e32 v[0:1], v[24:25], v[46:47]
	s_waitcnt vmcnt(1)
	v_fmac_f64_e32 v[10:11], v[34:35], v[52:53]
	v_fmac_f64_e32 v[12:13], v[36:37], v[52:53]
	v_fmac_f64_e32 v[8:9], v[30:31], v[52:53]
	v_fmac_f64_e32 v[0:1], v[32:33], v[52:53]
	;; [unrolled: 5-line block ×3, first 2 shown]
	s_andn2_b64 exec, exec, s[14:15]
	s_cbranch_execnz .LBB51_9
; %bb.10:
	s_or_b64 exec, exec, s[14:15]
.LBB51_11:
	s_or_b64 exec, exec, s[4:5]
	s_cbranch_execz .LBB51_13
	s_branch .LBB51_18
.LBB51_12:
                                        ; implicit-def: $vgpr10_vgpr11
                                        ; implicit-def: $vgpr0_vgpr1
                                        ; implicit-def: $vgpr8_vgpr9
                                        ; implicit-def: $vgpr12_vgpr13
.LBB51_13:
	v_mov_b64_e32 v[10:11], 0
	v_mov_b64_e32 v[0:1], 0
	;; [unrolled: 1-line block ×4, first 2 shown]
	s_and_saveexec_b64 s[4:5], s[2:3]
	s_cbranch_execz .LBB51_17
; %bb.14:
	v_mad_u64_u32 v[16:17], s[2:3], v14, 12, 11
	v_mov_b64_e32 v[10:11], 0
	s_mov_b64 s[2:3], 0
	v_mov_b32_e32 v19, 0
	v_mov_b64_e32 v[0:1], 0
	v_mov_b64_e32 v[8:9], 0
	;; [unrolled: 1-line block ×3, first 2 shown]
.LBB51_15:                              ; =>This Inner Loop Header: Depth=1
	v_ashrrev_i32_e32 v15, 31, v14
	v_lshl_add_u64 v[22:23], v[14:15], 2, s[6:7]
	global_load_dword v15, v[22:23], off
	v_add_u32_e32 v18, -11, v16
	v_add_u32_e32 v22, -5, v16
	v_mov_b32_e32 v23, v19
	v_add_u32_e32 v24, -2, v16
	v_mov_b32_e32 v25, v19
	v_lshl_add_u64 v[32:33], v[18:19], 3, s[8:9]
	v_lshl_add_u64 v[34:35], v[22:23], 3, s[8:9]
	;; [unrolled: 1-line block ×3, first 2 shown]
	global_load_dwordx4 v[22:25], v[32:33], off offset:16
	global_load_dwordx4 v[26:29], v[32:33], off
	global_load_dwordx2 v[40:41], v[34:35], off
	global_load_dwordx2 v[42:43], v[36:37], off
	v_mov_b32_e32 v31, v19
	v_mov_b32_e32 v17, v19
	v_lshl_add_u64 v[38:39], v[16:17], 3, s[8:9]
	v_add_u32_e32 v14, 64, v14
	v_cmp_ge_i32_e32 vcc, v14, v20
	s_or_b64 s[2:3], vcc, s[2:3]
	s_waitcnt vmcnt(4)
	v_subrev_u32_e32 v15, s12, v15
	v_lshl_add_u32 v30, v15, 1, v15
	v_add_u32_e32 v18, 1, v30
	v_lshl_add_u64 v[34:35], v[18:19], 3, s[10:11]
	v_add_u32_e32 v18, -7, v16
	v_lshl_add_u64 v[36:37], v[18:19], 3, s[8:9]
	v_add_u32_e32 v18, -4, v16
	;; [unrolled: 2-line block ×3, first 2 shown]
	v_lshl_add_u64 v[32:33], v[30:31], 3, s[10:11]
	v_lshl_add_u64 v[46:47], v[18:19], 3, s[8:9]
	v_add_u32_e32 v18, 2, v30
	global_load_dwordx2 v[32:33], v[32:33], off
	s_nop 0
	global_load_dwordx2 v[34:35], v[34:35], off
	s_waitcnt vmcnt(1)
	v_fmac_f64_e32 v[10:11], v[26:27], v[32:33]
	global_load_dwordx2 v[36:37], v[36:37], off
	s_nop 0
	global_load_dwordx2 v[30:31], v[44:45], off
	global_load_dwordx2 v[48:49], v[46:47], off
	v_lshl_add_u64 v[44:45], v[18:19], 3, s[10:11]
	v_add_u32_e32 v18, -6, v16
	v_lshl_add_u64 v[46:47], v[18:19], 3, s[8:9]
	v_add_u32_e32 v18, -3, v16
	global_load_dwordx2 v[44:45], v[44:45], off
	v_lshl_add_u64 v[50:51], v[18:19], 3, s[8:9]
	global_load_dwordx2 v[52:53], v[46:47], off
	global_load_dwordx2 v[54:55], v[50:51], off
	;; [unrolled: 1-line block ×3, first 2 shown]
	v_fmac_f64_e32 v[12:13], v[24:25], v[32:33]
	v_fmac_f64_e32 v[8:9], v[40:41], v[32:33]
	;; [unrolled: 1-line block ×3, first 2 shown]
	s_waitcnt vmcnt(7)
	v_fmac_f64_e32 v[10:11], v[28:29], v[34:35]
	v_add_u32_e32 v16, 0x300, v16
	s_waitcnt vmcnt(6)
	v_fmac_f64_e32 v[12:13], v[36:37], v[34:35]
	s_waitcnt vmcnt(5)
	v_fmac_f64_e32 v[8:9], v[30:31], v[34:35]
	;; [unrolled: 2-line block ×7, first 2 shown]
	s_andn2_b64 exec, exec, s[2:3]
	s_cbranch_execnz .LBB51_15
; %bb.16:
	s_or_b64 exec, exec, s[2:3]
.LBB51_17:
	s_or_b64 exec, exec, s[4:5]
.LBB51_18:
	v_mov_b32_dpp v14, v10 row_shr:1 row_mask:0xf bank_mask:0xf
	v_mov_b32_dpp v15, v11 row_shr:1 row_mask:0xf bank_mask:0xf
	v_mov_b32_dpp v16, v12 row_shr:1 row_mask:0xf bank_mask:0xf
	v_mov_b32_dpp v17, v13 row_shr:1 row_mask:0xf bank_mask:0xf
	v_mov_b32_dpp v18, v8 row_shr:1 row_mask:0xf bank_mask:0xf
	v_mov_b32_dpp v19, v9 row_shr:1 row_mask:0xf bank_mask:0xf
	v_mov_b32_dpp v20, v0 row_shr:1 row_mask:0xf bank_mask:0xf
	v_mov_b32_dpp v21, v1 row_shr:1 row_mask:0xf bank_mask:0xf
	v_add_f64 v[10:11], v[10:11], v[14:15]
	v_add_f64 v[12:13], v[12:13], v[16:17]
	v_add_f64 v[8:9], v[8:9], v[18:19]
	v_add_f64 v[0:1], v[0:1], v[20:21]
	v_mov_b32_dpp v14, v10 row_shr:2 row_mask:0xf bank_mask:0xf
	v_mov_b32_dpp v15, v11 row_shr:2 row_mask:0xf bank_mask:0xf
	v_mov_b32_dpp v16, v12 row_shr:2 row_mask:0xf bank_mask:0xf
	v_mov_b32_dpp v17, v13 row_shr:2 row_mask:0xf bank_mask:0xf
	v_mov_b32_dpp v18, v8 row_shr:2 row_mask:0xf bank_mask:0xf
	v_mov_b32_dpp v19, v9 row_shr:2 row_mask:0xf bank_mask:0xf
	v_mov_b32_dpp v20, v0 row_shr:2 row_mask:0xf bank_mask:0xf
	v_mov_b32_dpp v21, v1 row_shr:2 row_mask:0xf bank_mask:0xf
	v_add_f64 v[10:11], v[10:11], v[14:15]
	v_add_f64 v[12:13], v[12:13], v[16:17]
	v_add_f64 v[8:9], v[8:9], v[18:19]
	v_add_f64 v[0:1], v[0:1], v[20:21]
	;; [unrolled: 12-line block ×4, first 2 shown]
	v_mov_b32_dpp v14, v10 row_bcast:15 row_mask:0xa bank_mask:0xf
	v_mov_b32_dpp v15, v11 row_bcast:15 row_mask:0xa bank_mask:0xf
	;; [unrolled: 1-line block ×8, first 2 shown]
	v_add_f64 v[10:11], v[10:11], v[14:15]
	v_add_f64 v[12:13], v[12:13], v[16:17]
	;; [unrolled: 1-line block ×4, first 2 shown]
	v_mov_b32_dpp v14, v10 row_bcast:31 row_mask:0xc bank_mask:0xf
	v_mov_b32_dpp v15, v11 row_bcast:31 row_mask:0xc bank_mask:0xf
	;; [unrolled: 1-line block ×8, first 2 shown]
	v_cmp_eq_u32_e32 vcc, 63, v7
	s_and_b64 exec, exec, vcc
	s_cbranch_execz .LBB51_23
; %bb.19:
	s_load_dwordx2 s[0:1], s[0:1], 0x38
	v_add_f64 v[14:15], v[10:11], v[14:15]
	v_add_f64 v[10:11], v[12:13], v[16:17]
	;; [unrolled: 1-line block ×4, first 2 shown]
	v_cmp_eq_f64_e32 vcc, 0, v[4:5]
	s_and_saveexec_b64 s[2:3], vcc
	s_xor_b64 s[2:3], exec, s[2:3]
	s_cbranch_execz .LBB51_21
; %bb.20:
	v_lshlrev_b32_e32 v6, 2, v6
	v_ashrrev_i32_e32 v7, 31, v6
	v_mul_f64 v[4:5], v[2:3], v[14:15]
	s_waitcnt lgkmcnt(0)
	v_lshl_add_u64 v[12:13], v[6:7], 3, s[0:1]
	v_mul_f64 v[6:7], v[2:3], v[10:11]
	v_mul_f64 v[0:1], v[2:3], v[0:1]
	;; [unrolled: 1-line block ×3, first 2 shown]
	global_store_dwordx4 v[12:13], v[4:7], off
	global_store_dwordx4 v[12:13], v[0:3], off offset:16
                                        ; implicit-def: $vgpr6
                                        ; implicit-def: $vgpr2_vgpr3
                                        ; implicit-def: $vgpr14_vgpr15
                                        ; implicit-def: $vgpr4_vgpr5
                                        ; implicit-def: $vgpr10_vgpr11
                                        ; implicit-def: $vgpr0_vgpr1
                                        ; implicit-def: $vgpr8_vgpr9
.LBB51_21:
	s_andn2_saveexec_b64 s[2:3], s[2:3]
	s_cbranch_execz .LBB51_23
; %bb.22:
	v_lshlrev_b32_e32 v6, 2, v6
	v_ashrrev_i32_e32 v7, 31, v6
	s_waitcnt lgkmcnt(0)
	v_lshl_add_u64 v[6:7], v[6:7], 3, s[0:1]
	global_load_dwordx4 v[16:19], v[6:7], off
	global_load_dwordx4 v[20:23], v[6:7], off offset:16
	v_mul_f64 v[12:13], v[2:3], v[14:15]
	v_mul_f64 v[14:15], v[2:3], v[10:11]
	v_mul_f64 v[0:1], v[2:3], v[0:1]
	v_mul_f64 v[2:3], v[2:3], v[8:9]
	s_waitcnt vmcnt(1)
	v_fmac_f64_e32 v[12:13], v[4:5], v[16:17]
	v_fmac_f64_e32 v[14:15], v[4:5], v[18:19]
	s_waitcnt vmcnt(0)
	v_fmac_f64_e32 v[0:1], v[4:5], v[20:21]
	v_fmac_f64_e32 v[2:3], v[4:5], v[22:23]
	global_store_dwordx4 v[6:7], v[12:15], off
	global_store_dwordx4 v[6:7], v[0:3], off offset:16
.LBB51_23:
	s_endpgm
	.section	.rodata,"a",@progbits
	.p2align	6, 0x0
	.amdhsa_kernel _ZN9rocsparseL19gebsrmvn_4xn_kernelILj128ELj3ELj64EdEEvi20rocsparse_direction_NS_24const_host_device_scalarIT2_EEPKiS6_PKS3_S8_S4_PS3_21rocsparse_index_base_b
		.amdhsa_group_segment_fixed_size 0
		.amdhsa_private_segment_fixed_size 0
		.amdhsa_kernarg_size 72
		.amdhsa_user_sgpr_count 2
		.amdhsa_user_sgpr_dispatch_ptr 0
		.amdhsa_user_sgpr_queue_ptr 0
		.amdhsa_user_sgpr_kernarg_segment_ptr 1
		.amdhsa_user_sgpr_dispatch_id 0
		.amdhsa_user_sgpr_kernarg_preload_length 0
		.amdhsa_user_sgpr_kernarg_preload_offset 0
		.amdhsa_user_sgpr_private_segment_size 0
		.amdhsa_uses_dynamic_stack 0
		.amdhsa_enable_private_segment 0
		.amdhsa_system_sgpr_workgroup_id_x 1
		.amdhsa_system_sgpr_workgroup_id_y 0
		.amdhsa_system_sgpr_workgroup_id_z 0
		.amdhsa_system_sgpr_workgroup_info 0
		.amdhsa_system_vgpr_workitem_id 0
		.amdhsa_next_free_vgpr 58
		.amdhsa_next_free_sgpr 16
		.amdhsa_accum_offset 60
		.amdhsa_reserve_vcc 1
		.amdhsa_float_round_mode_32 0
		.amdhsa_float_round_mode_16_64 0
		.amdhsa_float_denorm_mode_32 3
		.amdhsa_float_denorm_mode_16_64 3
		.amdhsa_dx10_clamp 1
		.amdhsa_ieee_mode 1
		.amdhsa_fp16_overflow 0
		.amdhsa_tg_split 0
		.amdhsa_exception_fp_ieee_invalid_op 0
		.amdhsa_exception_fp_denorm_src 0
		.amdhsa_exception_fp_ieee_div_zero 0
		.amdhsa_exception_fp_ieee_overflow 0
		.amdhsa_exception_fp_ieee_underflow 0
		.amdhsa_exception_fp_ieee_inexact 0
		.amdhsa_exception_int_div_zero 0
	.end_amdhsa_kernel
	.section	.text._ZN9rocsparseL19gebsrmvn_4xn_kernelILj128ELj3ELj64EdEEvi20rocsparse_direction_NS_24const_host_device_scalarIT2_EEPKiS6_PKS3_S8_S4_PS3_21rocsparse_index_base_b,"axG",@progbits,_ZN9rocsparseL19gebsrmvn_4xn_kernelILj128ELj3ELj64EdEEvi20rocsparse_direction_NS_24const_host_device_scalarIT2_EEPKiS6_PKS3_S8_S4_PS3_21rocsparse_index_base_b,comdat
.Lfunc_end51:
	.size	_ZN9rocsparseL19gebsrmvn_4xn_kernelILj128ELj3ELj64EdEEvi20rocsparse_direction_NS_24const_host_device_scalarIT2_EEPKiS6_PKS3_S8_S4_PS3_21rocsparse_index_base_b, .Lfunc_end51-_ZN9rocsparseL19gebsrmvn_4xn_kernelILj128ELj3ELj64EdEEvi20rocsparse_direction_NS_24const_host_device_scalarIT2_EEPKiS6_PKS3_S8_S4_PS3_21rocsparse_index_base_b
                                        ; -- End function
	.set _ZN9rocsparseL19gebsrmvn_4xn_kernelILj128ELj3ELj64EdEEvi20rocsparse_direction_NS_24const_host_device_scalarIT2_EEPKiS6_PKS3_S8_S4_PS3_21rocsparse_index_base_b.num_vgpr, 58
	.set _ZN9rocsparseL19gebsrmvn_4xn_kernelILj128ELj3ELj64EdEEvi20rocsparse_direction_NS_24const_host_device_scalarIT2_EEPKiS6_PKS3_S8_S4_PS3_21rocsparse_index_base_b.num_agpr, 0
	.set _ZN9rocsparseL19gebsrmvn_4xn_kernelILj128ELj3ELj64EdEEvi20rocsparse_direction_NS_24const_host_device_scalarIT2_EEPKiS6_PKS3_S8_S4_PS3_21rocsparse_index_base_b.numbered_sgpr, 16
	.set _ZN9rocsparseL19gebsrmvn_4xn_kernelILj128ELj3ELj64EdEEvi20rocsparse_direction_NS_24const_host_device_scalarIT2_EEPKiS6_PKS3_S8_S4_PS3_21rocsparse_index_base_b.num_named_barrier, 0
	.set _ZN9rocsparseL19gebsrmvn_4xn_kernelILj128ELj3ELj64EdEEvi20rocsparse_direction_NS_24const_host_device_scalarIT2_EEPKiS6_PKS3_S8_S4_PS3_21rocsparse_index_base_b.private_seg_size, 0
	.set _ZN9rocsparseL19gebsrmvn_4xn_kernelILj128ELj3ELj64EdEEvi20rocsparse_direction_NS_24const_host_device_scalarIT2_EEPKiS6_PKS3_S8_S4_PS3_21rocsparse_index_base_b.uses_vcc, 1
	.set _ZN9rocsparseL19gebsrmvn_4xn_kernelILj128ELj3ELj64EdEEvi20rocsparse_direction_NS_24const_host_device_scalarIT2_EEPKiS6_PKS3_S8_S4_PS3_21rocsparse_index_base_b.uses_flat_scratch, 0
	.set _ZN9rocsparseL19gebsrmvn_4xn_kernelILj128ELj3ELj64EdEEvi20rocsparse_direction_NS_24const_host_device_scalarIT2_EEPKiS6_PKS3_S8_S4_PS3_21rocsparse_index_base_b.has_dyn_sized_stack, 0
	.set _ZN9rocsparseL19gebsrmvn_4xn_kernelILj128ELj3ELj64EdEEvi20rocsparse_direction_NS_24const_host_device_scalarIT2_EEPKiS6_PKS3_S8_S4_PS3_21rocsparse_index_base_b.has_recursion, 0
	.set _ZN9rocsparseL19gebsrmvn_4xn_kernelILj128ELj3ELj64EdEEvi20rocsparse_direction_NS_24const_host_device_scalarIT2_EEPKiS6_PKS3_S8_S4_PS3_21rocsparse_index_base_b.has_indirect_call, 0
	.section	.AMDGPU.csdata,"",@progbits
; Kernel info:
; codeLenInByte = 1852
; TotalNumSgprs: 22
; NumVgprs: 58
; NumAgprs: 0
; TotalNumVgprs: 58
; ScratchSize: 0
; MemoryBound: 0
; FloatMode: 240
; IeeeMode: 1
; LDSByteSize: 0 bytes/workgroup (compile time only)
; SGPRBlocks: 2
; VGPRBlocks: 7
; NumSGPRsForWavesPerEU: 22
; NumVGPRsForWavesPerEU: 58
; AccumOffset: 60
; Occupancy: 8
; WaveLimiterHint : 1
; COMPUTE_PGM_RSRC2:SCRATCH_EN: 0
; COMPUTE_PGM_RSRC2:USER_SGPR: 2
; COMPUTE_PGM_RSRC2:TRAP_HANDLER: 0
; COMPUTE_PGM_RSRC2:TGID_X_EN: 1
; COMPUTE_PGM_RSRC2:TGID_Y_EN: 0
; COMPUTE_PGM_RSRC2:TGID_Z_EN: 0
; COMPUTE_PGM_RSRC2:TIDIG_COMP_CNT: 0
; COMPUTE_PGM_RSRC3_GFX90A:ACCUM_OFFSET: 14
; COMPUTE_PGM_RSRC3_GFX90A:TG_SPLIT: 0
	.section	.text._ZN9rocsparseL19gebsrmvn_4xn_kernelILj128ELj5ELj4EdEEvi20rocsparse_direction_NS_24const_host_device_scalarIT2_EEPKiS6_PKS3_S8_S4_PS3_21rocsparse_index_base_b,"axG",@progbits,_ZN9rocsparseL19gebsrmvn_4xn_kernelILj128ELj5ELj4EdEEvi20rocsparse_direction_NS_24const_host_device_scalarIT2_EEPKiS6_PKS3_S8_S4_PS3_21rocsparse_index_base_b,comdat
	.globl	_ZN9rocsparseL19gebsrmvn_4xn_kernelILj128ELj5ELj4EdEEvi20rocsparse_direction_NS_24const_host_device_scalarIT2_EEPKiS6_PKS3_S8_S4_PS3_21rocsparse_index_base_b ; -- Begin function _ZN9rocsparseL19gebsrmvn_4xn_kernelILj128ELj5ELj4EdEEvi20rocsparse_direction_NS_24const_host_device_scalarIT2_EEPKiS6_PKS3_S8_S4_PS3_21rocsparse_index_base_b
	.p2align	8
	.type	_ZN9rocsparseL19gebsrmvn_4xn_kernelILj128ELj5ELj4EdEEvi20rocsparse_direction_NS_24const_host_device_scalarIT2_EEPKiS6_PKS3_S8_S4_PS3_21rocsparse_index_base_b,@function
_ZN9rocsparseL19gebsrmvn_4xn_kernelILj128ELj5ELj4EdEEvi20rocsparse_direction_NS_24const_host_device_scalarIT2_EEPKiS6_PKS3_S8_S4_PS3_21rocsparse_index_base_b: ; @_ZN9rocsparseL19gebsrmvn_4xn_kernelILj128ELj5ELj4EdEEvi20rocsparse_direction_NS_24const_host_device_scalarIT2_EEPKiS6_PKS3_S8_S4_PS3_21rocsparse_index_base_b
; %bb.0:
	s_load_dwordx2 s[12:13], s[0:1], 0x40
	s_load_dwordx2 s[8:9], s[0:1], 0x8
	;; [unrolled: 1-line block ×3, first 2 shown]
	s_waitcnt lgkmcnt(0)
	s_bitcmp1_b32 s13, 0
	s_cselect_b64 s[10:11], -1, 0
	s_xor_b64 s[6:7], s[10:11], -1
	s_and_b64 vcc, exec, s[10:11]
	v_mov_b64_e32 v[2:3], s[8:9]
	s_cbranch_vccnz .LBB52_2
; %bb.1:
	v_mov_b64_e32 v[2:3], s[8:9]
	flat_load_dwordx2 v[2:3], v[2:3]
.LBB52_2:
	s_andn2_b64 vcc, exec, s[6:7]
	v_mov_b64_e32 v[4:5], s[4:5]
	s_cbranch_vccnz .LBB52_4
; %bb.3:
	v_mov_b64_e32 v[4:5], s[4:5]
	flat_load_dwordx2 v[4:5], v[4:5]
.LBB52_4:
	s_waitcnt vmcnt(0) lgkmcnt(0)
	v_cmp_neq_f64_e32 vcc, 0, v[2:3]
	v_cmp_neq_f64_e64 s[4:5], 1.0, v[4:5]
	s_or_b64 s[4:5], vcc, s[4:5]
	s_and_saveexec_b64 s[6:7], s[4:5]
	s_cbranch_execz .LBB52_23
; %bb.5:
	s_load_dwordx2 s[14:15], s[0:1], 0x0
	v_lshrrev_b32_e32 v1, 2, v0
	v_lshl_or_b32 v6, s2, 5, v1
	s_waitcnt lgkmcnt(0)
	v_cmp_gt_i32_e32 vcc, s14, v6
	s_and_b64 exec, exec, vcc
	s_cbranch_execz .LBB52_23
; %bb.6:
	s_load_dwordx8 s[4:11], s[0:1], 0x10
	v_ashrrev_i32_e32 v7, 31, v6
	s_cmp_lg_u32 s15, 0
	s_waitcnt lgkmcnt(0)
	v_lshl_add_u64 v[8:9], v[6:7], 2, s[4:5]
	global_load_dwordx2 v[8:9], v[8:9], off
	v_and_b32_e32 v7, 3, v0
	s_waitcnt vmcnt(0)
	v_subrev_u32_e32 v0, s12, v8
	v_subrev_u32_e32 v22, s12, v9
	v_add_u32_e32 v12, v0, v7
	v_cmp_lt_i32_e64 s[2:3], v12, v22
	s_cbranch_scc0 .LBB52_12
; %bb.7:
	v_mov_b64_e32 v[8:9], 0
	v_mov_b64_e32 v[0:1], 0
	;; [unrolled: 1-line block ×4, first 2 shown]
	s_and_saveexec_b64 s[4:5], s[2:3]
	s_cbranch_execz .LBB52_11
; %bb.8:
	v_mad_u64_u32 v[16:17], s[14:15], v12, 20, 16
	v_mov_b64_e32 v[8:9], 0
	s_mov_b64 s[14:15], 0
	v_mov_b32_e32 v19, 0
	v_mov_b32_e32 v20, v12
	v_mov_b64_e32 v[0:1], 0
	v_mov_b64_e32 v[10:11], 0
	;; [unrolled: 1-line block ×3, first 2 shown]
.LBB52_9:                               ; =>This Inner Loop Header: Depth=1
	v_ashrrev_i32_e32 v21, 31, v20
	v_add_u32_e32 v18, -16, v16
	v_lshl_add_u64 v[32:33], v[20:21], 2, s[6:7]
	v_lshl_add_u64 v[34:35], v[18:19], 3, s[8:9]
	global_load_dword v13, v[32:33], off
	global_load_dwordx4 v[24:27], v[34:35], off offset:16
	global_load_dwordx4 v[28:31], v[34:35], off
	v_mov_b32_e32 v17, v19
	v_mov_b32_e32 v57, v19
	v_add_u32_e32 v18, -12, v16
	v_lshl_add_u64 v[48:49], v[16:17], 3, s[8:9]
	v_lshl_add_u64 v[50:51], v[18:19], 3, s[8:9]
	global_load_dwordx4 v[32:35], v[48:49], off offset:16
	global_load_dwordx4 v[36:39], v[48:49], off
	global_load_dwordx4 v[40:43], v[50:51], off offset:16
	global_load_dwordx4 v[44:47], v[50:51], off
	v_add_u32_e32 v20, 4, v20
	v_cmp_ge_i32_e32 vcc, v20, v22
	s_or_b64 s[14:15], vcc, s[14:15]
	s_waitcnt vmcnt(6)
	v_subrev_u32_e32 v13, s12, v13
	v_lshl_add_u32 v56, v13, 2, v13
	v_lshl_add_u64 v[48:49], v[56:57], 3, s[10:11]
	global_load_dwordx2 v[58:59], v[48:49], off
	v_add_u32_e32 v18, 1, v56
	v_lshl_add_u64 v[48:49], v[18:19], 3, s[10:11]
	global_load_dwordx2 v[60:61], v[48:49], off
	v_add_u32_e32 v18, -8, v16
	v_lshl_add_u64 v[62:63], v[18:19], 3, s[8:9]
	v_add_u32_e32 v18, 2, v56
	global_load_dwordx4 v[48:51], v[62:63], off offset:16
	global_load_dwordx4 v[52:55], v[62:63], off
	s_waitcnt vmcnt(3)
	v_fmac_f64_e32 v[8:9], v[28:29], v[58:59]
	v_lshl_add_u64 v[28:29], v[18:19], 3, s[10:11]
	v_add_u32_e32 v18, -4, v16
	v_lshl_add_u64 v[64:65], v[18:19], 3, s[8:9]
	v_add_u32_e32 v18, 3, v56
	v_fmac_f64_e32 v[14:15], v[30:31], v[58:59]
	global_load_dwordx2 v[62:63], v[28:29], off
	v_fmac_f64_e32 v[10:11], v[24:25], v[58:59]
	v_fmac_f64_e32 v[0:1], v[26:27], v[58:59]
	v_lshl_add_u64 v[58:59], v[18:19], 3, s[10:11]
	v_add_u32_e32 v18, 4, v56
	global_load_dwordx4 v[24:27], v[64:65], off offset:16
	global_load_dwordx4 v[28:31], v[64:65], off
	global_load_dwordx2 v[56:57], v[58:59], off
	s_waitcnt vmcnt(6)
	v_fmac_f64_e32 v[8:9], v[44:45], v[60:61]
	v_lshl_add_u64 v[44:45], v[18:19], 3, s[10:11]
	global_load_dwordx2 v[44:45], v[44:45], off
	v_fmac_f64_e32 v[14:15], v[46:47], v[60:61]
	v_fmac_f64_e32 v[10:11], v[40:41], v[60:61]
	;; [unrolled: 1-line block ×3, first 2 shown]
	v_add_u32_e32 v16, 0x50, v16
	s_waitcnt vmcnt(4)
	v_fmac_f64_e32 v[8:9], v[52:53], v[62:63]
	v_fmac_f64_e32 v[14:15], v[54:55], v[62:63]
	v_fmac_f64_e32 v[10:11], v[48:49], v[62:63]
	v_fmac_f64_e32 v[0:1], v[50:51], v[62:63]
	s_waitcnt vmcnt(1)
	v_fmac_f64_e32 v[8:9], v[28:29], v[56:57]
	v_fmac_f64_e32 v[14:15], v[30:31], v[56:57]
	v_fmac_f64_e32 v[10:11], v[24:25], v[56:57]
	v_fmac_f64_e32 v[0:1], v[26:27], v[56:57]
	;; [unrolled: 5-line block ×3, first 2 shown]
	s_andn2_b64 exec, exec, s[14:15]
	s_cbranch_execnz .LBB52_9
; %bb.10:
	s_or_b64 exec, exec, s[14:15]
.LBB52_11:
	s_or_b64 exec, exec, s[4:5]
	s_cbranch_execz .LBB52_13
	s_branch .LBB52_18
.LBB52_12:
                                        ; implicit-def: $vgpr8_vgpr9
                                        ; implicit-def: $vgpr0_vgpr1
                                        ; implicit-def: $vgpr10_vgpr11
                                        ; implicit-def: $vgpr14_vgpr15
.LBB52_13:
	v_mov_b64_e32 v[8:9], 0
	v_mov_b64_e32 v[0:1], 0
	;; [unrolled: 1-line block ×4, first 2 shown]
	s_and_saveexec_b64 s[4:5], s[2:3]
	s_cbranch_execz .LBB52_17
; %bb.14:
	v_mad_u64_u32 v[16:17], s[2:3], v12, 20, 19
	v_mov_b64_e32 v[8:9], 0
	s_mov_b64 s[2:3], 0
	v_mov_b32_e32 v19, 0
	v_mov_b64_e32 v[0:1], 0
	v_mov_b64_e32 v[10:11], 0
	;; [unrolled: 1-line block ×3, first 2 shown]
.LBB52_15:                              ; =>This Inner Loop Header: Depth=1
	v_ashrrev_i32_e32 v13, 31, v12
	v_add_u32_e32 v20, -14, v16
	v_add_u32_e32 v24, -9, v16
	;; [unrolled: 1-line block ×3, first 2 shown]
	v_mov_b32_e32 v21, v19
	v_mov_b32_e32 v25, v19
	;; [unrolled: 1-line block ×3, first 2 shown]
	v_lshl_add_u64 v[30:31], v[12:13], 2, s[6:7]
	v_lshl_add_u64 v[20:21], v[20:21], 3, s[8:9]
	;; [unrolled: 1-line block ×4, first 2 shown]
	global_load_dword v13, v[30:31], off
	global_load_dwordx2 v[36:37], v[20:21], off
	global_load_dwordx2 v[38:39], v[24:25], off
	;; [unrolled: 1-line block ×3, first 2 shown]
	v_mov_b32_e32 v29, v19
	v_subrev_u32_e32 v18, 19, v16
	v_lshl_add_u64 v[32:33], v[18:19], 3, s[8:9]
	v_mov_b32_e32 v17, v19
	v_lshl_add_u64 v[34:35], v[16:17], 3, s[8:9]
	v_add_u32_e32 v12, 4, v12
	v_cmp_ge_i32_e32 vcc, v12, v22
	s_or_b64 s[2:3], vcc, s[2:3]
	s_waitcnt vmcnt(3)
	v_subrev_u32_e32 v13, s12, v13
	v_lshl_add_u32 v28, v13, 2, v13
	v_lshl_add_u64 v[24:25], v[28:29], 3, s[10:11]
	global_load_dwordx2 v[66:67], v[24:25], off
	v_add_u32_e32 v18, 1, v28
	global_load_dwordx4 v[24:27], v[32:33], off
	v_lshl_add_u64 v[20:21], v[18:19], 3, s[10:11]
	v_add_u32_e32 v18, -13, v16
	v_lshl_add_u64 v[42:43], v[18:19], 3, s[8:9]
	v_add_u32_e32 v18, -8, v16
	;; [unrolled: 2-line block ×3, first 2 shown]
	v_lshl_add_u64 v[46:47], v[18:19], 3, s[8:9]
	v_add_u32_e32 v18, 2, v28
	v_lshl_add_u64 v[48:49], v[18:19], 3, s[10:11]
	v_add_u32_e32 v18, -12, v16
	v_lshl_add_u64 v[50:51], v[18:19], 3, s[8:9]
	v_add_u32_e32 v18, -7, v16
	;; [unrolled: 2-line block ×3, first 2 shown]
	v_lshl_add_u64 v[54:55], v[18:19], 3, s[8:9]
	v_add_u32_e32 v18, 3, v28
	v_lshl_add_u64 v[56:57], v[18:19], 3, s[10:11]
	v_add_u32_e32 v18, -11, v16
	v_lshl_add_u64 v[58:59], v[18:19], 3, s[8:9]
	v_add_u32_e32 v18, -6, v16
	;; [unrolled: 2-line block ×4, first 2 shown]
	v_lshl_add_u64 v[64:65], v[18:19], 3, s[8:9]
	v_add_u32_e32 v18, 4, v28
	s_waitcnt vmcnt(1)
	v_fmac_f64_e32 v[14:15], v[36:37], v[66:67]
	v_fmac_f64_e32 v[10:11], v[38:39], v[66:67]
	;; [unrolled: 1-line block ×3, first 2 shown]
	global_load_dwordx4 v[28:31], v[32:33], off offset:16
	global_load_dwordx2 v[36:37], v[34:35], off
	global_load_dwordx2 v[38:39], v[20:21], off
	;; [unrolled: 1-line block ×14, first 2 shown]
	v_lshl_add_u64 v[20:21], v[18:19], 3, s[10:11]
	v_add_u32_e32 v18, -10, v16
	s_waitcnt vmcnt(15)
	v_fmac_f64_e32 v[8:9], v[24:25], v[66:67]
	v_lshl_add_u64 v[24:25], v[18:19], 3, s[8:9]
	v_add_u32_e32 v18, -5, v16
	global_load_dwordx2 v[20:21], v[20:21], off
	v_add_u32_e32 v16, 0x50, v16
	s_waitcnt vmcnt(13)
	v_fmac_f64_e32 v[8:9], v[26:27], v[38:39]
	v_lshl_add_u64 v[26:27], v[18:19], 3, s[8:9]
	global_load_dwordx2 v[32:33], v[24:25], off
	global_load_dwordx2 v[34:35], v[26:27], off
	s_waitcnt vmcnt(14)
	v_fmac_f64_e32 v[14:15], v[40:41], v[38:39]
	s_waitcnt vmcnt(13)
	v_fmac_f64_e32 v[10:11], v[68:69], v[38:39]
	;; [unrolled: 2-line block ×12, first 2 shown]
	v_fmac_f64_e32 v[0:1], v[36:37], v[20:21]
	s_waitcnt vmcnt(1)
	v_fmac_f64_e32 v[14:15], v[32:33], v[20:21]
	s_waitcnt vmcnt(0)
	v_fmac_f64_e32 v[10:11], v[34:35], v[20:21]
	s_andn2_b64 exec, exec, s[2:3]
	s_cbranch_execnz .LBB52_15
; %bb.16:
	s_or_b64 exec, exec, s[2:3]
.LBB52_17:
	s_or_b64 exec, exec, s[4:5]
.LBB52_18:
	v_mov_b32_dpp v18, v10 row_shr:1 row_mask:0xf bank_mask:0xf
	v_mov_b32_dpp v19, v11 row_shr:1 row_mask:0xf bank_mask:0xf
	;; [unrolled: 1-line block ×6, first 2 shown]
	v_add_f64 v[18:19], v[10:11], v[18:19]
	v_mov_b32_dpp v10, v0 row_shr:1 row_mask:0xf bank_mask:0xf
	v_mov_b32_dpp v11, v1 row_shr:1 row_mask:0xf bank_mask:0xf
	v_add_f64 v[8:9], v[8:9], v[12:13]
	v_add_f64 v[14:15], v[14:15], v[16:17]
	;; [unrolled: 1-line block ×3, first 2 shown]
	v_mov_b32_dpp v12, v8 row_shr:2 row_mask:0xf bank_mask:0xf
	v_mov_b32_dpp v13, v9 row_shr:2 row_mask:0xf bank_mask:0xf
	;; [unrolled: 1-line block ×8, first 2 shown]
	v_cmp_eq_u32_e32 vcc, 3, v7
	s_and_b64 exec, exec, vcc
	s_cbranch_execz .LBB52_23
; %bb.19:
	s_load_dwordx2 s[0:1], s[0:1], 0x38
	v_add_f64 v[12:13], v[8:9], v[12:13]
	v_add_f64 v[10:11], v[14:15], v[16:17]
	;; [unrolled: 1-line block ×4, first 2 shown]
	v_cmp_eq_f64_e32 vcc, 0, v[4:5]
	s_and_saveexec_b64 s[2:3], vcc
	s_xor_b64 s[2:3], exec, s[2:3]
	s_cbranch_execz .LBB52_21
; %bb.20:
	v_lshlrev_b32_e32 v6, 2, v6
	v_ashrrev_i32_e32 v7, 31, v6
	v_mul_f64 v[4:5], v[2:3], v[12:13]
	s_waitcnt lgkmcnt(0)
	v_lshl_add_u64 v[12:13], v[6:7], 3, s[0:1]
	v_mul_f64 v[6:7], v[2:3], v[10:11]
	v_mul_f64 v[0:1], v[2:3], v[0:1]
	;; [unrolled: 1-line block ×3, first 2 shown]
	global_store_dwordx4 v[12:13], v[4:7], off
	global_store_dwordx4 v[12:13], v[0:3], off offset:16
                                        ; implicit-def: $vgpr6
                                        ; implicit-def: $vgpr2_vgpr3
                                        ; implicit-def: $vgpr12_vgpr13
                                        ; implicit-def: $vgpr4_vgpr5
                                        ; implicit-def: $vgpr10_vgpr11
                                        ; implicit-def: $vgpr0_vgpr1
                                        ; implicit-def: $vgpr8_vgpr9
.LBB52_21:
	s_andn2_saveexec_b64 s[2:3], s[2:3]
	s_cbranch_execz .LBB52_23
; %bb.22:
	v_lshlrev_b32_e32 v6, 2, v6
	v_ashrrev_i32_e32 v7, 31, v6
	s_waitcnt lgkmcnt(0)
	v_lshl_add_u64 v[6:7], v[6:7], 3, s[0:1]
	global_load_dwordx4 v[14:17], v[6:7], off
	global_load_dwordx4 v[18:21], v[6:7], off offset:16
	v_mul_f64 v[22:23], v[2:3], v[12:13]
	v_mul_f64 v[24:25], v[2:3], v[10:11]
	;; [unrolled: 1-line block ×4, first 2 shown]
	s_waitcnt vmcnt(1)
	v_fmac_f64_e32 v[22:23], v[4:5], v[14:15]
	v_fmac_f64_e32 v[24:25], v[4:5], v[16:17]
	s_waitcnt vmcnt(0)
	v_fmac_f64_e32 v[0:1], v[4:5], v[18:19]
	v_fmac_f64_e32 v[2:3], v[4:5], v[20:21]
	global_store_dwordx4 v[6:7], v[22:25], off
	global_store_dwordx4 v[6:7], v[0:3], off offset:16
.LBB52_23:
	s_endpgm
	.section	.rodata,"a",@progbits
	.p2align	6, 0x0
	.amdhsa_kernel _ZN9rocsparseL19gebsrmvn_4xn_kernelILj128ELj5ELj4EdEEvi20rocsparse_direction_NS_24const_host_device_scalarIT2_EEPKiS6_PKS3_S8_S4_PS3_21rocsparse_index_base_b
		.amdhsa_group_segment_fixed_size 0
		.amdhsa_private_segment_fixed_size 0
		.amdhsa_kernarg_size 72
		.amdhsa_user_sgpr_count 2
		.amdhsa_user_sgpr_dispatch_ptr 0
		.amdhsa_user_sgpr_queue_ptr 0
		.amdhsa_user_sgpr_kernarg_segment_ptr 1
		.amdhsa_user_sgpr_dispatch_id 0
		.amdhsa_user_sgpr_kernarg_preload_length 0
		.amdhsa_user_sgpr_kernarg_preload_offset 0
		.amdhsa_user_sgpr_private_segment_size 0
		.amdhsa_uses_dynamic_stack 0
		.amdhsa_enable_private_segment 0
		.amdhsa_system_sgpr_workgroup_id_x 1
		.amdhsa_system_sgpr_workgroup_id_y 0
		.amdhsa_system_sgpr_workgroup_id_z 0
		.amdhsa_system_sgpr_workgroup_info 0
		.amdhsa_system_vgpr_workitem_id 0
		.amdhsa_next_free_vgpr 90
		.amdhsa_next_free_sgpr 16
		.amdhsa_accum_offset 92
		.amdhsa_reserve_vcc 1
		.amdhsa_float_round_mode_32 0
		.amdhsa_float_round_mode_16_64 0
		.amdhsa_float_denorm_mode_32 3
		.amdhsa_float_denorm_mode_16_64 3
		.amdhsa_dx10_clamp 1
		.amdhsa_ieee_mode 1
		.amdhsa_fp16_overflow 0
		.amdhsa_tg_split 0
		.amdhsa_exception_fp_ieee_invalid_op 0
		.amdhsa_exception_fp_denorm_src 0
		.amdhsa_exception_fp_ieee_div_zero 0
		.amdhsa_exception_fp_ieee_overflow 0
		.amdhsa_exception_fp_ieee_underflow 0
		.amdhsa_exception_fp_ieee_inexact 0
		.amdhsa_exception_int_div_zero 0
	.end_amdhsa_kernel
	.section	.text._ZN9rocsparseL19gebsrmvn_4xn_kernelILj128ELj5ELj4EdEEvi20rocsparse_direction_NS_24const_host_device_scalarIT2_EEPKiS6_PKS3_S8_S4_PS3_21rocsparse_index_base_b,"axG",@progbits,_ZN9rocsparseL19gebsrmvn_4xn_kernelILj128ELj5ELj4EdEEvi20rocsparse_direction_NS_24const_host_device_scalarIT2_EEPKiS6_PKS3_S8_S4_PS3_21rocsparse_index_base_b,comdat
.Lfunc_end52:
	.size	_ZN9rocsparseL19gebsrmvn_4xn_kernelILj128ELj5ELj4EdEEvi20rocsparse_direction_NS_24const_host_device_scalarIT2_EEPKiS6_PKS3_S8_S4_PS3_21rocsparse_index_base_b, .Lfunc_end52-_ZN9rocsparseL19gebsrmvn_4xn_kernelILj128ELj5ELj4EdEEvi20rocsparse_direction_NS_24const_host_device_scalarIT2_EEPKiS6_PKS3_S8_S4_PS3_21rocsparse_index_base_b
                                        ; -- End function
	.set _ZN9rocsparseL19gebsrmvn_4xn_kernelILj128ELj5ELj4EdEEvi20rocsparse_direction_NS_24const_host_device_scalarIT2_EEPKiS6_PKS3_S8_S4_PS3_21rocsparse_index_base_b.num_vgpr, 90
	.set _ZN9rocsparseL19gebsrmvn_4xn_kernelILj128ELj5ELj4EdEEvi20rocsparse_direction_NS_24const_host_device_scalarIT2_EEPKiS6_PKS3_S8_S4_PS3_21rocsparse_index_base_b.num_agpr, 0
	.set _ZN9rocsparseL19gebsrmvn_4xn_kernelILj128ELj5ELj4EdEEvi20rocsparse_direction_NS_24const_host_device_scalarIT2_EEPKiS6_PKS3_S8_S4_PS3_21rocsparse_index_base_b.numbered_sgpr, 16
	.set _ZN9rocsparseL19gebsrmvn_4xn_kernelILj128ELj5ELj4EdEEvi20rocsparse_direction_NS_24const_host_device_scalarIT2_EEPKiS6_PKS3_S8_S4_PS3_21rocsparse_index_base_b.num_named_barrier, 0
	.set _ZN9rocsparseL19gebsrmvn_4xn_kernelILj128ELj5ELj4EdEEvi20rocsparse_direction_NS_24const_host_device_scalarIT2_EEPKiS6_PKS3_S8_S4_PS3_21rocsparse_index_base_b.private_seg_size, 0
	.set _ZN9rocsparseL19gebsrmvn_4xn_kernelILj128ELj5ELj4EdEEvi20rocsparse_direction_NS_24const_host_device_scalarIT2_EEPKiS6_PKS3_S8_S4_PS3_21rocsparse_index_base_b.uses_vcc, 1
	.set _ZN9rocsparseL19gebsrmvn_4xn_kernelILj128ELj5ELj4EdEEvi20rocsparse_direction_NS_24const_host_device_scalarIT2_EEPKiS6_PKS3_S8_S4_PS3_21rocsparse_index_base_b.uses_flat_scratch, 0
	.set _ZN9rocsparseL19gebsrmvn_4xn_kernelILj128ELj5ELj4EdEEvi20rocsparse_direction_NS_24const_host_device_scalarIT2_EEPKiS6_PKS3_S8_S4_PS3_21rocsparse_index_base_b.has_dyn_sized_stack, 0
	.set _ZN9rocsparseL19gebsrmvn_4xn_kernelILj128ELj5ELj4EdEEvi20rocsparse_direction_NS_24const_host_device_scalarIT2_EEPKiS6_PKS3_S8_S4_PS3_21rocsparse_index_base_b.has_recursion, 0
	.set _ZN9rocsparseL19gebsrmvn_4xn_kernelILj128ELj5ELj4EdEEvi20rocsparse_direction_NS_24const_host_device_scalarIT2_EEPKiS6_PKS3_S8_S4_PS3_21rocsparse_index_base_b.has_indirect_call, 0
	.section	.AMDGPU.csdata,"",@progbits
; Kernel info:
; codeLenInByte = 1852
; TotalNumSgprs: 22
; NumVgprs: 90
; NumAgprs: 0
; TotalNumVgprs: 90
; ScratchSize: 0
; MemoryBound: 1
; FloatMode: 240
; IeeeMode: 1
; LDSByteSize: 0 bytes/workgroup (compile time only)
; SGPRBlocks: 2
; VGPRBlocks: 11
; NumSGPRsForWavesPerEU: 22
; NumVGPRsForWavesPerEU: 90
; AccumOffset: 92
; Occupancy: 5
; WaveLimiterHint : 1
; COMPUTE_PGM_RSRC2:SCRATCH_EN: 0
; COMPUTE_PGM_RSRC2:USER_SGPR: 2
; COMPUTE_PGM_RSRC2:TRAP_HANDLER: 0
; COMPUTE_PGM_RSRC2:TGID_X_EN: 1
; COMPUTE_PGM_RSRC2:TGID_Y_EN: 0
; COMPUTE_PGM_RSRC2:TGID_Z_EN: 0
; COMPUTE_PGM_RSRC2:TIDIG_COMP_CNT: 0
; COMPUTE_PGM_RSRC3_GFX90A:ACCUM_OFFSET: 22
; COMPUTE_PGM_RSRC3_GFX90A:TG_SPLIT: 0
	.section	.text._ZN9rocsparseL19gebsrmvn_4xn_kernelILj128ELj5ELj8EdEEvi20rocsparse_direction_NS_24const_host_device_scalarIT2_EEPKiS6_PKS3_S8_S4_PS3_21rocsparse_index_base_b,"axG",@progbits,_ZN9rocsparseL19gebsrmvn_4xn_kernelILj128ELj5ELj8EdEEvi20rocsparse_direction_NS_24const_host_device_scalarIT2_EEPKiS6_PKS3_S8_S4_PS3_21rocsparse_index_base_b,comdat
	.globl	_ZN9rocsparseL19gebsrmvn_4xn_kernelILj128ELj5ELj8EdEEvi20rocsparse_direction_NS_24const_host_device_scalarIT2_EEPKiS6_PKS3_S8_S4_PS3_21rocsparse_index_base_b ; -- Begin function _ZN9rocsparseL19gebsrmvn_4xn_kernelILj128ELj5ELj8EdEEvi20rocsparse_direction_NS_24const_host_device_scalarIT2_EEPKiS6_PKS3_S8_S4_PS3_21rocsparse_index_base_b
	.p2align	8
	.type	_ZN9rocsparseL19gebsrmvn_4xn_kernelILj128ELj5ELj8EdEEvi20rocsparse_direction_NS_24const_host_device_scalarIT2_EEPKiS6_PKS3_S8_S4_PS3_21rocsparse_index_base_b,@function
_ZN9rocsparseL19gebsrmvn_4xn_kernelILj128ELj5ELj8EdEEvi20rocsparse_direction_NS_24const_host_device_scalarIT2_EEPKiS6_PKS3_S8_S4_PS3_21rocsparse_index_base_b: ; @_ZN9rocsparseL19gebsrmvn_4xn_kernelILj128ELj5ELj8EdEEvi20rocsparse_direction_NS_24const_host_device_scalarIT2_EEPKiS6_PKS3_S8_S4_PS3_21rocsparse_index_base_b
; %bb.0:
	s_load_dwordx2 s[12:13], s[0:1], 0x40
	s_load_dwordx2 s[8:9], s[0:1], 0x8
	;; [unrolled: 1-line block ×3, first 2 shown]
	s_waitcnt lgkmcnt(0)
	s_bitcmp1_b32 s13, 0
	s_cselect_b64 s[10:11], -1, 0
	s_xor_b64 s[6:7], s[10:11], -1
	s_and_b64 vcc, exec, s[10:11]
	v_mov_b64_e32 v[2:3], s[8:9]
	s_cbranch_vccnz .LBB53_2
; %bb.1:
	v_mov_b64_e32 v[2:3], s[8:9]
	flat_load_dwordx2 v[2:3], v[2:3]
.LBB53_2:
	s_andn2_b64 vcc, exec, s[6:7]
	v_mov_b64_e32 v[4:5], s[4:5]
	s_cbranch_vccnz .LBB53_4
; %bb.3:
	v_mov_b64_e32 v[4:5], s[4:5]
	flat_load_dwordx2 v[4:5], v[4:5]
.LBB53_4:
	s_waitcnt vmcnt(0) lgkmcnt(0)
	v_cmp_neq_f64_e32 vcc, 0, v[2:3]
	v_cmp_neq_f64_e64 s[4:5], 1.0, v[4:5]
	s_or_b64 s[4:5], vcc, s[4:5]
	s_and_saveexec_b64 s[6:7], s[4:5]
	s_cbranch_execz .LBB53_23
; %bb.5:
	s_load_dwordx2 s[14:15], s[0:1], 0x0
	v_lshrrev_b32_e32 v1, 3, v0
	v_lshl_or_b32 v6, s2, 4, v1
	s_waitcnt lgkmcnt(0)
	v_cmp_gt_i32_e32 vcc, s14, v6
	s_and_b64 exec, exec, vcc
	s_cbranch_execz .LBB53_23
; %bb.6:
	s_load_dwordx8 s[4:11], s[0:1], 0x10
	v_ashrrev_i32_e32 v7, 31, v6
	s_cmp_lg_u32 s15, 0
	s_waitcnt lgkmcnt(0)
	v_lshl_add_u64 v[8:9], v[6:7], 2, s[4:5]
	global_load_dwordx2 v[8:9], v[8:9], off
	v_and_b32_e32 v7, 7, v0
	s_waitcnt vmcnt(0)
	v_subrev_u32_e32 v0, s12, v8
	v_subrev_u32_e32 v22, s12, v9
	v_add_u32_e32 v12, v0, v7
	v_cmp_lt_i32_e64 s[2:3], v12, v22
	s_cbranch_scc0 .LBB53_12
; %bb.7:
	v_mov_b64_e32 v[8:9], 0
	v_mov_b64_e32 v[0:1], 0
	;; [unrolled: 1-line block ×4, first 2 shown]
	s_and_saveexec_b64 s[4:5], s[2:3]
	s_cbranch_execz .LBB53_11
; %bb.8:
	v_mad_u64_u32 v[16:17], s[14:15], v12, 20, 16
	v_mov_b64_e32 v[8:9], 0
	s_mov_b64 s[14:15], 0
	v_mov_b32_e32 v19, 0
	v_mov_b32_e32 v20, v12
	v_mov_b64_e32 v[0:1], 0
	v_mov_b64_e32 v[10:11], 0
	;; [unrolled: 1-line block ×3, first 2 shown]
.LBB53_9:                               ; =>This Inner Loop Header: Depth=1
	v_ashrrev_i32_e32 v21, 31, v20
	v_add_u32_e32 v18, -16, v16
	v_lshl_add_u64 v[32:33], v[20:21], 2, s[6:7]
	v_lshl_add_u64 v[34:35], v[18:19], 3, s[8:9]
	global_load_dword v13, v[32:33], off
	global_load_dwordx4 v[24:27], v[34:35], off offset:16
	global_load_dwordx4 v[28:31], v[34:35], off
	v_mov_b32_e32 v17, v19
	v_mov_b32_e32 v57, v19
	v_add_u32_e32 v18, -12, v16
	v_lshl_add_u64 v[48:49], v[16:17], 3, s[8:9]
	v_lshl_add_u64 v[50:51], v[18:19], 3, s[8:9]
	global_load_dwordx4 v[32:35], v[48:49], off offset:16
	global_load_dwordx4 v[36:39], v[48:49], off
	global_load_dwordx4 v[40:43], v[50:51], off offset:16
	global_load_dwordx4 v[44:47], v[50:51], off
	v_add_u32_e32 v20, 8, v20
	v_cmp_ge_i32_e32 vcc, v20, v22
	s_or_b64 s[14:15], vcc, s[14:15]
	s_waitcnt vmcnt(6)
	v_subrev_u32_e32 v13, s12, v13
	v_lshl_add_u32 v56, v13, 2, v13
	v_lshl_add_u64 v[48:49], v[56:57], 3, s[10:11]
	global_load_dwordx2 v[58:59], v[48:49], off
	v_add_u32_e32 v18, 1, v56
	v_lshl_add_u64 v[48:49], v[18:19], 3, s[10:11]
	global_load_dwordx2 v[60:61], v[48:49], off
	v_add_u32_e32 v18, -8, v16
	v_lshl_add_u64 v[62:63], v[18:19], 3, s[8:9]
	v_add_u32_e32 v18, 2, v56
	global_load_dwordx4 v[48:51], v[62:63], off offset:16
	global_load_dwordx4 v[52:55], v[62:63], off
	s_waitcnt vmcnt(3)
	v_fmac_f64_e32 v[8:9], v[28:29], v[58:59]
	v_lshl_add_u64 v[28:29], v[18:19], 3, s[10:11]
	v_add_u32_e32 v18, -4, v16
	v_lshl_add_u64 v[64:65], v[18:19], 3, s[8:9]
	v_add_u32_e32 v18, 3, v56
	v_fmac_f64_e32 v[14:15], v[30:31], v[58:59]
	global_load_dwordx2 v[62:63], v[28:29], off
	v_fmac_f64_e32 v[10:11], v[24:25], v[58:59]
	v_fmac_f64_e32 v[0:1], v[26:27], v[58:59]
	v_lshl_add_u64 v[58:59], v[18:19], 3, s[10:11]
	v_add_u32_e32 v18, 4, v56
	global_load_dwordx4 v[24:27], v[64:65], off offset:16
	global_load_dwordx4 v[28:31], v[64:65], off
	global_load_dwordx2 v[56:57], v[58:59], off
	s_waitcnt vmcnt(6)
	v_fmac_f64_e32 v[8:9], v[44:45], v[60:61]
	v_lshl_add_u64 v[44:45], v[18:19], 3, s[10:11]
	global_load_dwordx2 v[44:45], v[44:45], off
	v_fmac_f64_e32 v[14:15], v[46:47], v[60:61]
	v_fmac_f64_e32 v[10:11], v[40:41], v[60:61]
	;; [unrolled: 1-line block ×3, first 2 shown]
	v_add_u32_e32 v16, 0xa0, v16
	s_waitcnt vmcnt(4)
	v_fmac_f64_e32 v[8:9], v[52:53], v[62:63]
	v_fmac_f64_e32 v[14:15], v[54:55], v[62:63]
	v_fmac_f64_e32 v[10:11], v[48:49], v[62:63]
	v_fmac_f64_e32 v[0:1], v[50:51], v[62:63]
	s_waitcnt vmcnt(1)
	v_fmac_f64_e32 v[8:9], v[28:29], v[56:57]
	v_fmac_f64_e32 v[14:15], v[30:31], v[56:57]
	v_fmac_f64_e32 v[10:11], v[24:25], v[56:57]
	v_fmac_f64_e32 v[0:1], v[26:27], v[56:57]
	;; [unrolled: 5-line block ×3, first 2 shown]
	s_andn2_b64 exec, exec, s[14:15]
	s_cbranch_execnz .LBB53_9
; %bb.10:
	s_or_b64 exec, exec, s[14:15]
.LBB53_11:
	s_or_b64 exec, exec, s[4:5]
	s_cbranch_execz .LBB53_13
	s_branch .LBB53_18
.LBB53_12:
                                        ; implicit-def: $vgpr8_vgpr9
                                        ; implicit-def: $vgpr0_vgpr1
                                        ; implicit-def: $vgpr10_vgpr11
                                        ; implicit-def: $vgpr14_vgpr15
.LBB53_13:
	v_mov_b64_e32 v[8:9], 0
	v_mov_b64_e32 v[0:1], 0
	;; [unrolled: 1-line block ×4, first 2 shown]
	s_and_saveexec_b64 s[4:5], s[2:3]
	s_cbranch_execz .LBB53_17
; %bb.14:
	v_mad_u64_u32 v[16:17], s[2:3], v12, 20, 19
	v_mov_b64_e32 v[8:9], 0
	s_mov_b64 s[2:3], 0
	v_mov_b32_e32 v19, 0
	v_mov_b64_e32 v[0:1], 0
	v_mov_b64_e32 v[10:11], 0
	;; [unrolled: 1-line block ×3, first 2 shown]
.LBB53_15:                              ; =>This Inner Loop Header: Depth=1
	v_ashrrev_i32_e32 v13, 31, v12
	v_add_u32_e32 v20, -14, v16
	v_add_u32_e32 v24, -9, v16
	;; [unrolled: 1-line block ×3, first 2 shown]
	v_mov_b32_e32 v21, v19
	v_mov_b32_e32 v25, v19
	;; [unrolled: 1-line block ×3, first 2 shown]
	v_lshl_add_u64 v[30:31], v[12:13], 2, s[6:7]
	v_lshl_add_u64 v[20:21], v[20:21], 3, s[8:9]
	;; [unrolled: 1-line block ×4, first 2 shown]
	global_load_dword v13, v[30:31], off
	global_load_dwordx2 v[36:37], v[20:21], off
	global_load_dwordx2 v[38:39], v[24:25], off
	;; [unrolled: 1-line block ×3, first 2 shown]
	v_mov_b32_e32 v29, v19
	v_subrev_u32_e32 v18, 19, v16
	v_lshl_add_u64 v[32:33], v[18:19], 3, s[8:9]
	v_mov_b32_e32 v17, v19
	v_lshl_add_u64 v[34:35], v[16:17], 3, s[8:9]
	v_add_u32_e32 v12, 8, v12
	v_cmp_ge_i32_e32 vcc, v12, v22
	s_or_b64 s[2:3], vcc, s[2:3]
	s_waitcnt vmcnt(3)
	v_subrev_u32_e32 v13, s12, v13
	v_lshl_add_u32 v28, v13, 2, v13
	v_lshl_add_u64 v[24:25], v[28:29], 3, s[10:11]
	global_load_dwordx2 v[66:67], v[24:25], off
	v_add_u32_e32 v18, 1, v28
	global_load_dwordx4 v[24:27], v[32:33], off
	v_lshl_add_u64 v[20:21], v[18:19], 3, s[10:11]
	v_add_u32_e32 v18, -13, v16
	v_lshl_add_u64 v[42:43], v[18:19], 3, s[8:9]
	v_add_u32_e32 v18, -8, v16
	;; [unrolled: 2-line block ×3, first 2 shown]
	v_lshl_add_u64 v[46:47], v[18:19], 3, s[8:9]
	v_add_u32_e32 v18, 2, v28
	v_lshl_add_u64 v[48:49], v[18:19], 3, s[10:11]
	v_add_u32_e32 v18, -12, v16
	v_lshl_add_u64 v[50:51], v[18:19], 3, s[8:9]
	v_add_u32_e32 v18, -7, v16
	;; [unrolled: 2-line block ×3, first 2 shown]
	v_lshl_add_u64 v[54:55], v[18:19], 3, s[8:9]
	v_add_u32_e32 v18, 3, v28
	v_lshl_add_u64 v[56:57], v[18:19], 3, s[10:11]
	v_add_u32_e32 v18, -11, v16
	v_lshl_add_u64 v[58:59], v[18:19], 3, s[8:9]
	v_add_u32_e32 v18, -6, v16
	;; [unrolled: 2-line block ×4, first 2 shown]
	v_lshl_add_u64 v[64:65], v[18:19], 3, s[8:9]
	v_add_u32_e32 v18, 4, v28
	s_waitcnt vmcnt(1)
	v_fmac_f64_e32 v[14:15], v[36:37], v[66:67]
	v_fmac_f64_e32 v[10:11], v[38:39], v[66:67]
	;; [unrolled: 1-line block ×3, first 2 shown]
	global_load_dwordx4 v[28:31], v[32:33], off offset:16
	global_load_dwordx2 v[36:37], v[34:35], off
	global_load_dwordx2 v[38:39], v[20:21], off
	;; [unrolled: 1-line block ×14, first 2 shown]
	v_lshl_add_u64 v[20:21], v[18:19], 3, s[10:11]
	v_add_u32_e32 v18, -10, v16
	s_waitcnt vmcnt(15)
	v_fmac_f64_e32 v[8:9], v[24:25], v[66:67]
	v_lshl_add_u64 v[24:25], v[18:19], 3, s[8:9]
	v_add_u32_e32 v18, -5, v16
	global_load_dwordx2 v[20:21], v[20:21], off
	v_add_u32_e32 v16, 0xa0, v16
	s_waitcnt vmcnt(13)
	v_fmac_f64_e32 v[8:9], v[26:27], v[38:39]
	v_lshl_add_u64 v[26:27], v[18:19], 3, s[8:9]
	global_load_dwordx2 v[32:33], v[24:25], off
	global_load_dwordx2 v[34:35], v[26:27], off
	s_waitcnt vmcnt(14)
	v_fmac_f64_e32 v[14:15], v[40:41], v[38:39]
	s_waitcnt vmcnt(13)
	v_fmac_f64_e32 v[10:11], v[68:69], v[38:39]
	;; [unrolled: 2-line block ×12, first 2 shown]
	v_fmac_f64_e32 v[0:1], v[36:37], v[20:21]
	s_waitcnt vmcnt(1)
	v_fmac_f64_e32 v[14:15], v[32:33], v[20:21]
	s_waitcnt vmcnt(0)
	v_fmac_f64_e32 v[10:11], v[34:35], v[20:21]
	s_andn2_b64 exec, exec, s[2:3]
	s_cbranch_execnz .LBB53_15
; %bb.16:
	s_or_b64 exec, exec, s[2:3]
.LBB53_17:
	s_or_b64 exec, exec, s[4:5]
.LBB53_18:
	v_mov_b32_dpp v18, v10 row_shr:1 row_mask:0xf bank_mask:0xf
	v_mov_b32_dpp v19, v11 row_shr:1 row_mask:0xf bank_mask:0xf
	v_add_f64 v[10:11], v[10:11], v[18:19]
	v_mov_b32_dpp v12, v8 row_shr:1 row_mask:0xf bank_mask:0xf
	v_mov_b32_dpp v13, v9 row_shr:1 row_mask:0xf bank_mask:0xf
	;; [unrolled: 1-line block ×6, first 2 shown]
	v_add_f64 v[18:19], v[10:11], v[18:19]
	v_mov_b32_dpp v10, v0 row_shr:1 row_mask:0xf bank_mask:0xf
	v_mov_b32_dpp v11, v1 row_shr:1 row_mask:0xf bank_mask:0xf
	v_add_f64 v[8:9], v[8:9], v[12:13]
	v_add_f64 v[14:15], v[14:15], v[16:17]
	;; [unrolled: 1-line block ×3, first 2 shown]
	v_mov_b32_dpp v12, v8 row_shr:2 row_mask:0xf bank_mask:0xf
	v_mov_b32_dpp v13, v9 row_shr:2 row_mask:0xf bank_mask:0xf
	;; [unrolled: 1-line block ×6, first 2 shown]
	v_add_f64 v[8:9], v[8:9], v[12:13]
	v_add_f64 v[14:15], v[14:15], v[16:17]
	;; [unrolled: 1-line block ×3, first 2 shown]
	v_mov_b32_dpp v12, v8 row_shr:4 row_mask:0xf bank_mask:0xe
	v_mov_b32_dpp v13, v9 row_shr:4 row_mask:0xf bank_mask:0xe
	;; [unrolled: 1-line block ×8, first 2 shown]
	v_cmp_eq_u32_e32 vcc, 7, v7
	s_and_b64 exec, exec, vcc
	s_cbranch_execz .LBB53_23
; %bb.19:
	s_load_dwordx2 s[0:1], s[0:1], 0x38
	v_add_f64 v[12:13], v[8:9], v[12:13]
	v_add_f64 v[10:11], v[14:15], v[16:17]
	;; [unrolled: 1-line block ×4, first 2 shown]
	v_cmp_eq_f64_e32 vcc, 0, v[4:5]
	s_and_saveexec_b64 s[2:3], vcc
	s_xor_b64 s[2:3], exec, s[2:3]
	s_cbranch_execz .LBB53_21
; %bb.20:
	v_lshlrev_b32_e32 v6, 2, v6
	v_ashrrev_i32_e32 v7, 31, v6
	v_mul_f64 v[4:5], v[2:3], v[12:13]
	s_waitcnt lgkmcnt(0)
	v_lshl_add_u64 v[12:13], v[6:7], 3, s[0:1]
	v_mul_f64 v[6:7], v[2:3], v[10:11]
	v_mul_f64 v[0:1], v[2:3], v[0:1]
	;; [unrolled: 1-line block ×3, first 2 shown]
	global_store_dwordx4 v[12:13], v[4:7], off
	global_store_dwordx4 v[12:13], v[0:3], off offset:16
                                        ; implicit-def: $vgpr6
                                        ; implicit-def: $vgpr2_vgpr3
                                        ; implicit-def: $vgpr12_vgpr13
                                        ; implicit-def: $vgpr4_vgpr5
                                        ; implicit-def: $vgpr10_vgpr11
                                        ; implicit-def: $vgpr0_vgpr1
                                        ; implicit-def: $vgpr8_vgpr9
.LBB53_21:
	s_andn2_saveexec_b64 s[2:3], s[2:3]
	s_cbranch_execz .LBB53_23
; %bb.22:
	v_lshlrev_b32_e32 v6, 2, v6
	v_ashrrev_i32_e32 v7, 31, v6
	s_waitcnt lgkmcnt(0)
	v_lshl_add_u64 v[6:7], v[6:7], 3, s[0:1]
	global_load_dwordx4 v[14:17], v[6:7], off
	global_load_dwordx4 v[18:21], v[6:7], off offset:16
	v_mul_f64 v[22:23], v[2:3], v[12:13]
	v_mul_f64 v[24:25], v[2:3], v[10:11]
	;; [unrolled: 1-line block ×4, first 2 shown]
	s_waitcnt vmcnt(1)
	v_fmac_f64_e32 v[22:23], v[4:5], v[14:15]
	v_fmac_f64_e32 v[24:25], v[4:5], v[16:17]
	s_waitcnt vmcnt(0)
	v_fmac_f64_e32 v[0:1], v[4:5], v[18:19]
	v_fmac_f64_e32 v[2:3], v[4:5], v[20:21]
	global_store_dwordx4 v[6:7], v[22:25], off
	global_store_dwordx4 v[6:7], v[0:3], off offset:16
.LBB53_23:
	s_endpgm
	.section	.rodata,"a",@progbits
	.p2align	6, 0x0
	.amdhsa_kernel _ZN9rocsparseL19gebsrmvn_4xn_kernelILj128ELj5ELj8EdEEvi20rocsparse_direction_NS_24const_host_device_scalarIT2_EEPKiS6_PKS3_S8_S4_PS3_21rocsparse_index_base_b
		.amdhsa_group_segment_fixed_size 0
		.amdhsa_private_segment_fixed_size 0
		.amdhsa_kernarg_size 72
		.amdhsa_user_sgpr_count 2
		.amdhsa_user_sgpr_dispatch_ptr 0
		.amdhsa_user_sgpr_queue_ptr 0
		.amdhsa_user_sgpr_kernarg_segment_ptr 1
		.amdhsa_user_sgpr_dispatch_id 0
		.amdhsa_user_sgpr_kernarg_preload_length 0
		.amdhsa_user_sgpr_kernarg_preload_offset 0
		.amdhsa_user_sgpr_private_segment_size 0
		.amdhsa_uses_dynamic_stack 0
		.amdhsa_enable_private_segment 0
		.amdhsa_system_sgpr_workgroup_id_x 1
		.amdhsa_system_sgpr_workgroup_id_y 0
		.amdhsa_system_sgpr_workgroup_id_z 0
		.amdhsa_system_sgpr_workgroup_info 0
		.amdhsa_system_vgpr_workitem_id 0
		.amdhsa_next_free_vgpr 90
		.amdhsa_next_free_sgpr 16
		.amdhsa_accum_offset 92
		.amdhsa_reserve_vcc 1
		.amdhsa_float_round_mode_32 0
		.amdhsa_float_round_mode_16_64 0
		.amdhsa_float_denorm_mode_32 3
		.amdhsa_float_denorm_mode_16_64 3
		.amdhsa_dx10_clamp 1
		.amdhsa_ieee_mode 1
		.amdhsa_fp16_overflow 0
		.amdhsa_tg_split 0
		.amdhsa_exception_fp_ieee_invalid_op 0
		.amdhsa_exception_fp_denorm_src 0
		.amdhsa_exception_fp_ieee_div_zero 0
		.amdhsa_exception_fp_ieee_overflow 0
		.amdhsa_exception_fp_ieee_underflow 0
		.amdhsa_exception_fp_ieee_inexact 0
		.amdhsa_exception_int_div_zero 0
	.end_amdhsa_kernel
	.section	.text._ZN9rocsparseL19gebsrmvn_4xn_kernelILj128ELj5ELj8EdEEvi20rocsparse_direction_NS_24const_host_device_scalarIT2_EEPKiS6_PKS3_S8_S4_PS3_21rocsparse_index_base_b,"axG",@progbits,_ZN9rocsparseL19gebsrmvn_4xn_kernelILj128ELj5ELj8EdEEvi20rocsparse_direction_NS_24const_host_device_scalarIT2_EEPKiS6_PKS3_S8_S4_PS3_21rocsparse_index_base_b,comdat
.Lfunc_end53:
	.size	_ZN9rocsparseL19gebsrmvn_4xn_kernelILj128ELj5ELj8EdEEvi20rocsparse_direction_NS_24const_host_device_scalarIT2_EEPKiS6_PKS3_S8_S4_PS3_21rocsparse_index_base_b, .Lfunc_end53-_ZN9rocsparseL19gebsrmvn_4xn_kernelILj128ELj5ELj8EdEEvi20rocsparse_direction_NS_24const_host_device_scalarIT2_EEPKiS6_PKS3_S8_S4_PS3_21rocsparse_index_base_b
                                        ; -- End function
	.set _ZN9rocsparseL19gebsrmvn_4xn_kernelILj128ELj5ELj8EdEEvi20rocsparse_direction_NS_24const_host_device_scalarIT2_EEPKiS6_PKS3_S8_S4_PS3_21rocsparse_index_base_b.num_vgpr, 90
	.set _ZN9rocsparseL19gebsrmvn_4xn_kernelILj128ELj5ELj8EdEEvi20rocsparse_direction_NS_24const_host_device_scalarIT2_EEPKiS6_PKS3_S8_S4_PS3_21rocsparse_index_base_b.num_agpr, 0
	.set _ZN9rocsparseL19gebsrmvn_4xn_kernelILj128ELj5ELj8EdEEvi20rocsparse_direction_NS_24const_host_device_scalarIT2_EEPKiS6_PKS3_S8_S4_PS3_21rocsparse_index_base_b.numbered_sgpr, 16
	.set _ZN9rocsparseL19gebsrmvn_4xn_kernelILj128ELj5ELj8EdEEvi20rocsparse_direction_NS_24const_host_device_scalarIT2_EEPKiS6_PKS3_S8_S4_PS3_21rocsparse_index_base_b.num_named_barrier, 0
	.set _ZN9rocsparseL19gebsrmvn_4xn_kernelILj128ELj5ELj8EdEEvi20rocsparse_direction_NS_24const_host_device_scalarIT2_EEPKiS6_PKS3_S8_S4_PS3_21rocsparse_index_base_b.private_seg_size, 0
	.set _ZN9rocsparseL19gebsrmvn_4xn_kernelILj128ELj5ELj8EdEEvi20rocsparse_direction_NS_24const_host_device_scalarIT2_EEPKiS6_PKS3_S8_S4_PS3_21rocsparse_index_base_b.uses_vcc, 1
	.set _ZN9rocsparseL19gebsrmvn_4xn_kernelILj128ELj5ELj8EdEEvi20rocsparse_direction_NS_24const_host_device_scalarIT2_EEPKiS6_PKS3_S8_S4_PS3_21rocsparse_index_base_b.uses_flat_scratch, 0
	.set _ZN9rocsparseL19gebsrmvn_4xn_kernelILj128ELj5ELj8EdEEvi20rocsparse_direction_NS_24const_host_device_scalarIT2_EEPKiS6_PKS3_S8_S4_PS3_21rocsparse_index_base_b.has_dyn_sized_stack, 0
	.set _ZN9rocsparseL19gebsrmvn_4xn_kernelILj128ELj5ELj8EdEEvi20rocsparse_direction_NS_24const_host_device_scalarIT2_EEPKiS6_PKS3_S8_S4_PS3_21rocsparse_index_base_b.has_recursion, 0
	.set _ZN9rocsparseL19gebsrmvn_4xn_kernelILj128ELj5ELj8EdEEvi20rocsparse_direction_NS_24const_host_device_scalarIT2_EEPKiS6_PKS3_S8_S4_PS3_21rocsparse_index_base_b.has_indirect_call, 0
	.section	.AMDGPU.csdata,"",@progbits
; Kernel info:
; codeLenInByte = 1948
; TotalNumSgprs: 22
; NumVgprs: 90
; NumAgprs: 0
; TotalNumVgprs: 90
; ScratchSize: 0
; MemoryBound: 1
; FloatMode: 240
; IeeeMode: 1
; LDSByteSize: 0 bytes/workgroup (compile time only)
; SGPRBlocks: 2
; VGPRBlocks: 11
; NumSGPRsForWavesPerEU: 22
; NumVGPRsForWavesPerEU: 90
; AccumOffset: 92
; Occupancy: 5
; WaveLimiterHint : 1
; COMPUTE_PGM_RSRC2:SCRATCH_EN: 0
; COMPUTE_PGM_RSRC2:USER_SGPR: 2
; COMPUTE_PGM_RSRC2:TRAP_HANDLER: 0
; COMPUTE_PGM_RSRC2:TGID_X_EN: 1
; COMPUTE_PGM_RSRC2:TGID_Y_EN: 0
; COMPUTE_PGM_RSRC2:TGID_Z_EN: 0
; COMPUTE_PGM_RSRC2:TIDIG_COMP_CNT: 0
; COMPUTE_PGM_RSRC3_GFX90A:ACCUM_OFFSET: 22
; COMPUTE_PGM_RSRC3_GFX90A:TG_SPLIT: 0
	.section	.text._ZN9rocsparseL19gebsrmvn_4xn_kernelILj128ELj5ELj16EdEEvi20rocsparse_direction_NS_24const_host_device_scalarIT2_EEPKiS6_PKS3_S8_S4_PS3_21rocsparse_index_base_b,"axG",@progbits,_ZN9rocsparseL19gebsrmvn_4xn_kernelILj128ELj5ELj16EdEEvi20rocsparse_direction_NS_24const_host_device_scalarIT2_EEPKiS6_PKS3_S8_S4_PS3_21rocsparse_index_base_b,comdat
	.globl	_ZN9rocsparseL19gebsrmvn_4xn_kernelILj128ELj5ELj16EdEEvi20rocsparse_direction_NS_24const_host_device_scalarIT2_EEPKiS6_PKS3_S8_S4_PS3_21rocsparse_index_base_b ; -- Begin function _ZN9rocsparseL19gebsrmvn_4xn_kernelILj128ELj5ELj16EdEEvi20rocsparse_direction_NS_24const_host_device_scalarIT2_EEPKiS6_PKS3_S8_S4_PS3_21rocsparse_index_base_b
	.p2align	8
	.type	_ZN9rocsparseL19gebsrmvn_4xn_kernelILj128ELj5ELj16EdEEvi20rocsparse_direction_NS_24const_host_device_scalarIT2_EEPKiS6_PKS3_S8_S4_PS3_21rocsparse_index_base_b,@function
_ZN9rocsparseL19gebsrmvn_4xn_kernelILj128ELj5ELj16EdEEvi20rocsparse_direction_NS_24const_host_device_scalarIT2_EEPKiS6_PKS3_S8_S4_PS3_21rocsparse_index_base_b: ; @_ZN9rocsparseL19gebsrmvn_4xn_kernelILj128ELj5ELj16EdEEvi20rocsparse_direction_NS_24const_host_device_scalarIT2_EEPKiS6_PKS3_S8_S4_PS3_21rocsparse_index_base_b
; %bb.0:
	s_load_dwordx2 s[12:13], s[0:1], 0x40
	s_load_dwordx2 s[8:9], s[0:1], 0x8
	;; [unrolled: 1-line block ×3, first 2 shown]
	s_waitcnt lgkmcnt(0)
	s_bitcmp1_b32 s13, 0
	s_cselect_b64 s[10:11], -1, 0
	s_xor_b64 s[6:7], s[10:11], -1
	s_and_b64 vcc, exec, s[10:11]
	v_mov_b64_e32 v[2:3], s[8:9]
	s_cbranch_vccnz .LBB54_2
; %bb.1:
	v_mov_b64_e32 v[2:3], s[8:9]
	flat_load_dwordx2 v[2:3], v[2:3]
.LBB54_2:
	s_andn2_b64 vcc, exec, s[6:7]
	v_mov_b64_e32 v[4:5], s[4:5]
	s_cbranch_vccnz .LBB54_4
; %bb.3:
	v_mov_b64_e32 v[4:5], s[4:5]
	flat_load_dwordx2 v[4:5], v[4:5]
.LBB54_4:
	s_waitcnt vmcnt(0) lgkmcnt(0)
	v_cmp_neq_f64_e32 vcc, 0, v[2:3]
	v_cmp_neq_f64_e64 s[4:5], 1.0, v[4:5]
	s_or_b64 s[4:5], vcc, s[4:5]
	s_and_saveexec_b64 s[6:7], s[4:5]
	s_cbranch_execz .LBB54_23
; %bb.5:
	s_load_dwordx2 s[14:15], s[0:1], 0x0
	v_lshrrev_b32_e32 v1, 4, v0
	v_lshl_or_b32 v6, s2, 3, v1
	s_waitcnt lgkmcnt(0)
	v_cmp_gt_i32_e32 vcc, s14, v6
	s_and_b64 exec, exec, vcc
	s_cbranch_execz .LBB54_23
; %bb.6:
	s_load_dwordx8 s[4:11], s[0:1], 0x10
	v_ashrrev_i32_e32 v7, 31, v6
	s_cmp_lg_u32 s15, 0
	s_waitcnt lgkmcnt(0)
	v_lshl_add_u64 v[8:9], v[6:7], 2, s[4:5]
	global_load_dwordx2 v[8:9], v[8:9], off
	v_and_b32_e32 v7, 15, v0
	s_waitcnt vmcnt(0)
	v_subrev_u32_e32 v0, s12, v8
	v_subrev_u32_e32 v22, s12, v9
	v_add_u32_e32 v14, v0, v7
	v_cmp_lt_i32_e64 s[2:3], v14, v22
	s_cbranch_scc0 .LBB54_12
; %bb.7:
	v_mov_b64_e32 v[10:11], 0
	v_mov_b64_e32 v[0:1], 0
	;; [unrolled: 1-line block ×4, first 2 shown]
	s_and_saveexec_b64 s[4:5], s[2:3]
	s_cbranch_execz .LBB54_11
; %bb.8:
	v_mad_u64_u32 v[16:17], s[14:15], v14, 20, 16
	v_mov_b64_e32 v[10:11], 0
	s_mov_b64 s[14:15], 0
	v_mov_b32_e32 v19, 0
	v_mov_b32_e32 v20, v14
	v_mov_b64_e32 v[0:1], 0
	v_mov_b64_e32 v[8:9], 0
	;; [unrolled: 1-line block ×3, first 2 shown]
.LBB54_9:                               ; =>This Inner Loop Header: Depth=1
	v_ashrrev_i32_e32 v21, 31, v20
	v_add_u32_e32 v18, -16, v16
	v_lshl_add_u64 v[32:33], v[20:21], 2, s[6:7]
	v_lshl_add_u64 v[34:35], v[18:19], 3, s[8:9]
	global_load_dword v15, v[32:33], off
	global_load_dwordx4 v[24:27], v[34:35], off offset:16
	global_load_dwordx4 v[28:31], v[34:35], off
	v_mov_b32_e32 v17, v19
	v_mov_b32_e32 v57, v19
	v_add_u32_e32 v18, -12, v16
	v_lshl_add_u64 v[48:49], v[16:17], 3, s[8:9]
	v_lshl_add_u64 v[50:51], v[18:19], 3, s[8:9]
	global_load_dwordx4 v[32:35], v[48:49], off offset:16
	global_load_dwordx4 v[36:39], v[48:49], off
	global_load_dwordx4 v[40:43], v[50:51], off offset:16
	global_load_dwordx4 v[44:47], v[50:51], off
	v_add_u32_e32 v20, 16, v20
	v_cmp_ge_i32_e32 vcc, v20, v22
	s_or_b64 s[14:15], vcc, s[14:15]
	s_waitcnt vmcnt(6)
	v_subrev_u32_e32 v15, s12, v15
	v_lshl_add_u32 v56, v15, 2, v15
	v_lshl_add_u64 v[48:49], v[56:57], 3, s[10:11]
	global_load_dwordx2 v[58:59], v[48:49], off
	v_add_u32_e32 v18, 1, v56
	v_lshl_add_u64 v[48:49], v[18:19], 3, s[10:11]
	global_load_dwordx2 v[60:61], v[48:49], off
	v_add_u32_e32 v18, -8, v16
	v_lshl_add_u64 v[62:63], v[18:19], 3, s[8:9]
	v_add_u32_e32 v18, 2, v56
	global_load_dwordx4 v[48:51], v[62:63], off offset:16
	global_load_dwordx4 v[52:55], v[62:63], off
	s_waitcnt vmcnt(3)
	v_fmac_f64_e32 v[10:11], v[28:29], v[58:59]
	v_lshl_add_u64 v[28:29], v[18:19], 3, s[10:11]
	v_add_u32_e32 v18, -4, v16
	v_lshl_add_u64 v[64:65], v[18:19], 3, s[8:9]
	v_add_u32_e32 v18, 3, v56
	v_fmac_f64_e32 v[12:13], v[30:31], v[58:59]
	global_load_dwordx2 v[62:63], v[28:29], off
	v_fmac_f64_e32 v[8:9], v[24:25], v[58:59]
	v_fmac_f64_e32 v[0:1], v[26:27], v[58:59]
	v_lshl_add_u64 v[58:59], v[18:19], 3, s[10:11]
	v_add_u32_e32 v18, 4, v56
	global_load_dwordx4 v[24:27], v[64:65], off offset:16
	global_load_dwordx4 v[28:31], v[64:65], off
	global_load_dwordx2 v[56:57], v[58:59], off
	s_waitcnt vmcnt(6)
	v_fmac_f64_e32 v[10:11], v[44:45], v[60:61]
	v_lshl_add_u64 v[44:45], v[18:19], 3, s[10:11]
	global_load_dwordx2 v[44:45], v[44:45], off
	v_fmac_f64_e32 v[12:13], v[46:47], v[60:61]
	v_fmac_f64_e32 v[8:9], v[40:41], v[60:61]
	;; [unrolled: 1-line block ×3, first 2 shown]
	v_add_u32_e32 v16, 0x140, v16
	s_waitcnt vmcnt(4)
	v_fmac_f64_e32 v[10:11], v[52:53], v[62:63]
	v_fmac_f64_e32 v[12:13], v[54:55], v[62:63]
	v_fmac_f64_e32 v[8:9], v[48:49], v[62:63]
	v_fmac_f64_e32 v[0:1], v[50:51], v[62:63]
	s_waitcnt vmcnt(1)
	v_fmac_f64_e32 v[10:11], v[28:29], v[56:57]
	v_fmac_f64_e32 v[12:13], v[30:31], v[56:57]
	v_fmac_f64_e32 v[8:9], v[24:25], v[56:57]
	v_fmac_f64_e32 v[0:1], v[26:27], v[56:57]
	;; [unrolled: 5-line block ×3, first 2 shown]
	s_andn2_b64 exec, exec, s[14:15]
	s_cbranch_execnz .LBB54_9
; %bb.10:
	s_or_b64 exec, exec, s[14:15]
.LBB54_11:
	s_or_b64 exec, exec, s[4:5]
	s_cbranch_execz .LBB54_13
	s_branch .LBB54_18
.LBB54_12:
                                        ; implicit-def: $vgpr10_vgpr11
                                        ; implicit-def: $vgpr0_vgpr1
                                        ; implicit-def: $vgpr8_vgpr9
                                        ; implicit-def: $vgpr12_vgpr13
.LBB54_13:
	v_mov_b64_e32 v[10:11], 0
	v_mov_b64_e32 v[0:1], 0
	;; [unrolled: 1-line block ×4, first 2 shown]
	s_and_saveexec_b64 s[4:5], s[2:3]
	s_cbranch_execz .LBB54_17
; %bb.14:
	v_mad_u64_u32 v[16:17], s[2:3], v14, 20, 19
	v_mov_b64_e32 v[10:11], 0
	s_mov_b64 s[2:3], 0
	v_mov_b32_e32 v19, 0
	v_mov_b64_e32 v[0:1], 0
	v_mov_b64_e32 v[8:9], 0
	;; [unrolled: 1-line block ×3, first 2 shown]
.LBB54_15:                              ; =>This Inner Loop Header: Depth=1
	v_ashrrev_i32_e32 v15, 31, v14
	v_add_u32_e32 v20, -14, v16
	v_add_u32_e32 v24, -9, v16
	v_add_u32_e32 v26, -4, v16
	v_mov_b32_e32 v21, v19
	v_mov_b32_e32 v25, v19
	;; [unrolled: 1-line block ×3, first 2 shown]
	v_lshl_add_u64 v[30:31], v[14:15], 2, s[6:7]
	v_lshl_add_u64 v[20:21], v[20:21], 3, s[8:9]
	;; [unrolled: 1-line block ×4, first 2 shown]
	global_load_dword v15, v[30:31], off
	global_load_dwordx2 v[36:37], v[20:21], off
	global_load_dwordx2 v[38:39], v[24:25], off
	;; [unrolled: 1-line block ×3, first 2 shown]
	v_mov_b32_e32 v29, v19
	v_subrev_u32_e32 v18, 19, v16
	v_lshl_add_u64 v[32:33], v[18:19], 3, s[8:9]
	v_mov_b32_e32 v17, v19
	v_lshl_add_u64 v[34:35], v[16:17], 3, s[8:9]
	v_add_u32_e32 v14, 16, v14
	v_cmp_ge_i32_e32 vcc, v14, v22
	s_or_b64 s[2:3], vcc, s[2:3]
	s_waitcnt vmcnt(3)
	v_subrev_u32_e32 v15, s12, v15
	v_lshl_add_u32 v28, v15, 2, v15
	v_lshl_add_u64 v[24:25], v[28:29], 3, s[10:11]
	global_load_dwordx2 v[66:67], v[24:25], off
	v_add_u32_e32 v18, 1, v28
	global_load_dwordx4 v[24:27], v[32:33], off
	v_lshl_add_u64 v[20:21], v[18:19], 3, s[10:11]
	v_add_u32_e32 v18, -13, v16
	v_lshl_add_u64 v[42:43], v[18:19], 3, s[8:9]
	v_add_u32_e32 v18, -8, v16
	;; [unrolled: 2-line block ×3, first 2 shown]
	v_lshl_add_u64 v[46:47], v[18:19], 3, s[8:9]
	v_add_u32_e32 v18, 2, v28
	v_lshl_add_u64 v[48:49], v[18:19], 3, s[10:11]
	v_add_u32_e32 v18, -12, v16
	v_lshl_add_u64 v[50:51], v[18:19], 3, s[8:9]
	v_add_u32_e32 v18, -7, v16
	;; [unrolled: 2-line block ×3, first 2 shown]
	v_lshl_add_u64 v[54:55], v[18:19], 3, s[8:9]
	v_add_u32_e32 v18, 3, v28
	v_lshl_add_u64 v[56:57], v[18:19], 3, s[10:11]
	v_add_u32_e32 v18, -11, v16
	v_lshl_add_u64 v[58:59], v[18:19], 3, s[8:9]
	v_add_u32_e32 v18, -6, v16
	;; [unrolled: 2-line block ×4, first 2 shown]
	v_lshl_add_u64 v[64:65], v[18:19], 3, s[8:9]
	v_add_u32_e32 v18, 4, v28
	s_waitcnt vmcnt(1)
	v_fmac_f64_e32 v[12:13], v[36:37], v[66:67]
	v_fmac_f64_e32 v[8:9], v[38:39], v[66:67]
	;; [unrolled: 1-line block ×3, first 2 shown]
	global_load_dwordx4 v[28:31], v[32:33], off offset:16
	global_load_dwordx2 v[36:37], v[34:35], off
	global_load_dwordx2 v[38:39], v[20:21], off
	;; [unrolled: 1-line block ×14, first 2 shown]
	v_lshl_add_u64 v[20:21], v[18:19], 3, s[10:11]
	v_add_u32_e32 v18, -10, v16
	s_waitcnt vmcnt(15)
	v_fmac_f64_e32 v[10:11], v[24:25], v[66:67]
	v_lshl_add_u64 v[24:25], v[18:19], 3, s[8:9]
	v_add_u32_e32 v18, -5, v16
	global_load_dwordx2 v[20:21], v[20:21], off
	v_add_u32_e32 v16, 0x140, v16
	s_waitcnt vmcnt(13)
	v_fmac_f64_e32 v[10:11], v[26:27], v[38:39]
	v_lshl_add_u64 v[26:27], v[18:19], 3, s[8:9]
	global_load_dwordx2 v[32:33], v[24:25], off
	global_load_dwordx2 v[34:35], v[26:27], off
	s_waitcnt vmcnt(14)
	v_fmac_f64_e32 v[12:13], v[40:41], v[38:39]
	s_waitcnt vmcnt(13)
	v_fmac_f64_e32 v[8:9], v[68:69], v[38:39]
	;; [unrolled: 2-line block ×12, first 2 shown]
	v_fmac_f64_e32 v[0:1], v[36:37], v[20:21]
	s_waitcnt vmcnt(1)
	v_fmac_f64_e32 v[12:13], v[32:33], v[20:21]
	s_waitcnt vmcnt(0)
	v_fmac_f64_e32 v[8:9], v[34:35], v[20:21]
	s_andn2_b64 exec, exec, s[2:3]
	s_cbranch_execnz .LBB54_15
; %bb.16:
	s_or_b64 exec, exec, s[2:3]
.LBB54_17:
	s_or_b64 exec, exec, s[4:5]
.LBB54_18:
	v_mov_b32_dpp v16, v12 row_shr:1 row_mask:0xf bank_mask:0xf
	v_mov_b32_dpp v17, v13 row_shr:1 row_mask:0xf bank_mask:0xf
	v_add_f64 v[12:13], v[12:13], v[16:17]
	v_mov_b32_dpp v14, v10 row_shr:1 row_mask:0xf bank_mask:0xf
	v_mov_b32_dpp v15, v11 row_shr:1 row_mask:0xf bank_mask:0xf
	;; [unrolled: 1-line block ×4, first 2 shown]
	v_add_f64 v[12:13], v[12:13], v[16:17]
	v_add_f64 v[10:11], v[10:11], v[14:15]
	v_cmp_eq_u32_e32 vcc, 15, v7
	v_mov_b32_dpp v16, v12 row_shr:4 row_mask:0xf bank_mask:0xe
	v_mov_b32_dpp v17, v13 row_shr:4 row_mask:0xf bank_mask:0xe
	v_add_f64 v[16:17], v[12:13], v[16:17]
	v_mov_b32_dpp v12, v8 row_shr:1 row_mask:0xf bank_mask:0xf
	v_mov_b32_dpp v13, v9 row_shr:1 row_mask:0xf bank_mask:0xf
	v_add_f64 v[8:9], v[8:9], v[12:13]
	v_mov_b32_dpp v14, v10 row_shr:2 row_mask:0xf bank_mask:0xf
	v_mov_b32_dpp v15, v11 row_shr:2 row_mask:0xf bank_mask:0xf
	;; [unrolled: 1-line block ×4, first 2 shown]
	v_add_f64 v[8:9], v[8:9], v[12:13]
	v_add_f64 v[10:11], v[10:11], v[14:15]
	v_mov_b32_dpp v18, v16 row_shr:8 row_mask:0xf bank_mask:0xc
	v_mov_b32_dpp v12, v8 row_shr:4 row_mask:0xf bank_mask:0xe
	;; [unrolled: 1-line block ×3, first 2 shown]
	v_add_f64 v[8:9], v[8:9], v[12:13]
	v_mov_b32_dpp v12, v0 row_shr:1 row_mask:0xf bank_mask:0xf
	v_mov_b32_dpp v13, v1 row_shr:1 row_mask:0xf bank_mask:0xf
	v_add_f64 v[0:1], v[0:1], v[12:13]
	v_mov_b32_dpp v14, v10 row_shr:4 row_mask:0xf bank_mask:0xe
	v_mov_b32_dpp v15, v11 row_shr:4 row_mask:0xf bank_mask:0xe
	;; [unrolled: 1-line block ×4, first 2 shown]
	v_add_f64 v[0:1], v[0:1], v[12:13]
	v_add_f64 v[10:11], v[10:11], v[14:15]
	v_mov_b32_dpp v19, v17 row_shr:8 row_mask:0xf bank_mask:0xc
	v_mov_b32_dpp v12, v0 row_shr:4 row_mask:0xf bank_mask:0xe
	;; [unrolled: 1-line block ×3, first 2 shown]
	v_add_f64 v[22:23], v[0:1], v[12:13]
	v_mov_b32_dpp v14, v10 row_shr:8 row_mask:0xf bank_mask:0xc
	v_mov_b32_dpp v15, v11 row_shr:8 row_mask:0xf bank_mask:0xc
	;; [unrolled: 1-line block ×6, first 2 shown]
	s_and_b64 exec, exec, vcc
	s_cbranch_execz .LBB54_23
; %bb.19:
	s_load_dwordx2 s[0:1], s[0:1], 0x38
	v_add_f64 v[12:13], v[10:11], v[14:15]
	v_add_f64 v[10:11], v[16:17], v[18:19]
	;; [unrolled: 1-line block ×4, first 2 shown]
	v_cmp_eq_f64_e32 vcc, 0, v[4:5]
	s_and_saveexec_b64 s[2:3], vcc
	s_xor_b64 s[2:3], exec, s[2:3]
	s_cbranch_execz .LBB54_21
; %bb.20:
	v_lshlrev_b32_e32 v6, 2, v6
	v_ashrrev_i32_e32 v7, 31, v6
	v_mul_f64 v[4:5], v[2:3], v[12:13]
	s_waitcnt lgkmcnt(0)
	v_lshl_add_u64 v[12:13], v[6:7], 3, s[0:1]
	v_mul_f64 v[6:7], v[2:3], v[10:11]
	v_mul_f64 v[0:1], v[2:3], v[0:1]
	;; [unrolled: 1-line block ×3, first 2 shown]
	global_store_dwordx4 v[12:13], v[4:7], off
	global_store_dwordx4 v[12:13], v[0:3], off offset:16
                                        ; implicit-def: $vgpr6
                                        ; implicit-def: $vgpr2_vgpr3
                                        ; implicit-def: $vgpr12_vgpr13
                                        ; implicit-def: $vgpr4_vgpr5
                                        ; implicit-def: $vgpr10_vgpr11
                                        ; implicit-def: $vgpr0_vgpr1
                                        ; implicit-def: $vgpr8_vgpr9
.LBB54_21:
	s_andn2_saveexec_b64 s[2:3], s[2:3]
	s_cbranch_execz .LBB54_23
; %bb.22:
	v_lshlrev_b32_e32 v6, 2, v6
	v_ashrrev_i32_e32 v7, 31, v6
	s_waitcnt lgkmcnt(0)
	v_lshl_add_u64 v[6:7], v[6:7], 3, s[0:1]
	global_load_dwordx4 v[14:17], v[6:7], off
	global_load_dwordx4 v[18:21], v[6:7], off offset:16
	v_mul_f64 v[22:23], v[2:3], v[12:13]
	v_mul_f64 v[24:25], v[2:3], v[10:11]
	;; [unrolled: 1-line block ×4, first 2 shown]
	s_waitcnt vmcnt(1)
	v_fmac_f64_e32 v[22:23], v[4:5], v[14:15]
	v_fmac_f64_e32 v[24:25], v[4:5], v[16:17]
	s_waitcnt vmcnt(0)
	v_fmac_f64_e32 v[0:1], v[4:5], v[18:19]
	v_fmac_f64_e32 v[2:3], v[4:5], v[20:21]
	global_store_dwordx4 v[6:7], v[22:25], off
	global_store_dwordx4 v[6:7], v[0:3], off offset:16
.LBB54_23:
	s_endpgm
	.section	.rodata,"a",@progbits
	.p2align	6, 0x0
	.amdhsa_kernel _ZN9rocsparseL19gebsrmvn_4xn_kernelILj128ELj5ELj16EdEEvi20rocsparse_direction_NS_24const_host_device_scalarIT2_EEPKiS6_PKS3_S8_S4_PS3_21rocsparse_index_base_b
		.amdhsa_group_segment_fixed_size 0
		.amdhsa_private_segment_fixed_size 0
		.amdhsa_kernarg_size 72
		.amdhsa_user_sgpr_count 2
		.amdhsa_user_sgpr_dispatch_ptr 0
		.amdhsa_user_sgpr_queue_ptr 0
		.amdhsa_user_sgpr_kernarg_segment_ptr 1
		.amdhsa_user_sgpr_dispatch_id 0
		.amdhsa_user_sgpr_kernarg_preload_length 0
		.amdhsa_user_sgpr_kernarg_preload_offset 0
		.amdhsa_user_sgpr_private_segment_size 0
		.amdhsa_uses_dynamic_stack 0
		.amdhsa_enable_private_segment 0
		.amdhsa_system_sgpr_workgroup_id_x 1
		.amdhsa_system_sgpr_workgroup_id_y 0
		.amdhsa_system_sgpr_workgroup_id_z 0
		.amdhsa_system_sgpr_workgroup_info 0
		.amdhsa_system_vgpr_workitem_id 0
		.amdhsa_next_free_vgpr 90
		.amdhsa_next_free_sgpr 16
		.amdhsa_accum_offset 92
		.amdhsa_reserve_vcc 1
		.amdhsa_float_round_mode_32 0
		.amdhsa_float_round_mode_16_64 0
		.amdhsa_float_denorm_mode_32 3
		.amdhsa_float_denorm_mode_16_64 3
		.amdhsa_dx10_clamp 1
		.amdhsa_ieee_mode 1
		.amdhsa_fp16_overflow 0
		.amdhsa_tg_split 0
		.amdhsa_exception_fp_ieee_invalid_op 0
		.amdhsa_exception_fp_denorm_src 0
		.amdhsa_exception_fp_ieee_div_zero 0
		.amdhsa_exception_fp_ieee_overflow 0
		.amdhsa_exception_fp_ieee_underflow 0
		.amdhsa_exception_fp_ieee_inexact 0
		.amdhsa_exception_int_div_zero 0
	.end_amdhsa_kernel
	.section	.text._ZN9rocsparseL19gebsrmvn_4xn_kernelILj128ELj5ELj16EdEEvi20rocsparse_direction_NS_24const_host_device_scalarIT2_EEPKiS6_PKS3_S8_S4_PS3_21rocsparse_index_base_b,"axG",@progbits,_ZN9rocsparseL19gebsrmvn_4xn_kernelILj128ELj5ELj16EdEEvi20rocsparse_direction_NS_24const_host_device_scalarIT2_EEPKiS6_PKS3_S8_S4_PS3_21rocsparse_index_base_b,comdat
.Lfunc_end54:
	.size	_ZN9rocsparseL19gebsrmvn_4xn_kernelILj128ELj5ELj16EdEEvi20rocsparse_direction_NS_24const_host_device_scalarIT2_EEPKiS6_PKS3_S8_S4_PS3_21rocsparse_index_base_b, .Lfunc_end54-_ZN9rocsparseL19gebsrmvn_4xn_kernelILj128ELj5ELj16EdEEvi20rocsparse_direction_NS_24const_host_device_scalarIT2_EEPKiS6_PKS3_S8_S4_PS3_21rocsparse_index_base_b
                                        ; -- End function
	.set _ZN9rocsparseL19gebsrmvn_4xn_kernelILj128ELj5ELj16EdEEvi20rocsparse_direction_NS_24const_host_device_scalarIT2_EEPKiS6_PKS3_S8_S4_PS3_21rocsparse_index_base_b.num_vgpr, 90
	.set _ZN9rocsparseL19gebsrmvn_4xn_kernelILj128ELj5ELj16EdEEvi20rocsparse_direction_NS_24const_host_device_scalarIT2_EEPKiS6_PKS3_S8_S4_PS3_21rocsparse_index_base_b.num_agpr, 0
	.set _ZN9rocsparseL19gebsrmvn_4xn_kernelILj128ELj5ELj16EdEEvi20rocsparse_direction_NS_24const_host_device_scalarIT2_EEPKiS6_PKS3_S8_S4_PS3_21rocsparse_index_base_b.numbered_sgpr, 16
	.set _ZN9rocsparseL19gebsrmvn_4xn_kernelILj128ELj5ELj16EdEEvi20rocsparse_direction_NS_24const_host_device_scalarIT2_EEPKiS6_PKS3_S8_S4_PS3_21rocsparse_index_base_b.num_named_barrier, 0
	.set _ZN9rocsparseL19gebsrmvn_4xn_kernelILj128ELj5ELj16EdEEvi20rocsparse_direction_NS_24const_host_device_scalarIT2_EEPKiS6_PKS3_S8_S4_PS3_21rocsparse_index_base_b.private_seg_size, 0
	.set _ZN9rocsparseL19gebsrmvn_4xn_kernelILj128ELj5ELj16EdEEvi20rocsparse_direction_NS_24const_host_device_scalarIT2_EEPKiS6_PKS3_S8_S4_PS3_21rocsparse_index_base_b.uses_vcc, 1
	.set _ZN9rocsparseL19gebsrmvn_4xn_kernelILj128ELj5ELj16EdEEvi20rocsparse_direction_NS_24const_host_device_scalarIT2_EEPKiS6_PKS3_S8_S4_PS3_21rocsparse_index_base_b.uses_flat_scratch, 0
	.set _ZN9rocsparseL19gebsrmvn_4xn_kernelILj128ELj5ELj16EdEEvi20rocsparse_direction_NS_24const_host_device_scalarIT2_EEPKiS6_PKS3_S8_S4_PS3_21rocsparse_index_base_b.has_dyn_sized_stack, 0
	.set _ZN9rocsparseL19gebsrmvn_4xn_kernelILj128ELj5ELj16EdEEvi20rocsparse_direction_NS_24const_host_device_scalarIT2_EEPKiS6_PKS3_S8_S4_PS3_21rocsparse_index_base_b.has_recursion, 0
	.set _ZN9rocsparseL19gebsrmvn_4xn_kernelILj128ELj5ELj16EdEEvi20rocsparse_direction_NS_24const_host_device_scalarIT2_EEPKiS6_PKS3_S8_S4_PS3_21rocsparse_index_base_b.has_indirect_call, 0
	.section	.AMDGPU.csdata,"",@progbits
; Kernel info:
; codeLenInByte = 2044
; TotalNumSgprs: 22
; NumVgprs: 90
; NumAgprs: 0
; TotalNumVgprs: 90
; ScratchSize: 0
; MemoryBound: 1
; FloatMode: 240
; IeeeMode: 1
; LDSByteSize: 0 bytes/workgroup (compile time only)
; SGPRBlocks: 2
; VGPRBlocks: 11
; NumSGPRsForWavesPerEU: 22
; NumVGPRsForWavesPerEU: 90
; AccumOffset: 92
; Occupancy: 5
; WaveLimiterHint : 1
; COMPUTE_PGM_RSRC2:SCRATCH_EN: 0
; COMPUTE_PGM_RSRC2:USER_SGPR: 2
; COMPUTE_PGM_RSRC2:TRAP_HANDLER: 0
; COMPUTE_PGM_RSRC2:TGID_X_EN: 1
; COMPUTE_PGM_RSRC2:TGID_Y_EN: 0
; COMPUTE_PGM_RSRC2:TGID_Z_EN: 0
; COMPUTE_PGM_RSRC2:TIDIG_COMP_CNT: 0
; COMPUTE_PGM_RSRC3_GFX90A:ACCUM_OFFSET: 22
; COMPUTE_PGM_RSRC3_GFX90A:TG_SPLIT: 0
	.section	.text._ZN9rocsparseL19gebsrmvn_4xn_kernelILj128ELj5ELj32EdEEvi20rocsparse_direction_NS_24const_host_device_scalarIT2_EEPKiS6_PKS3_S8_S4_PS3_21rocsparse_index_base_b,"axG",@progbits,_ZN9rocsparseL19gebsrmvn_4xn_kernelILj128ELj5ELj32EdEEvi20rocsparse_direction_NS_24const_host_device_scalarIT2_EEPKiS6_PKS3_S8_S4_PS3_21rocsparse_index_base_b,comdat
	.globl	_ZN9rocsparseL19gebsrmvn_4xn_kernelILj128ELj5ELj32EdEEvi20rocsparse_direction_NS_24const_host_device_scalarIT2_EEPKiS6_PKS3_S8_S4_PS3_21rocsparse_index_base_b ; -- Begin function _ZN9rocsparseL19gebsrmvn_4xn_kernelILj128ELj5ELj32EdEEvi20rocsparse_direction_NS_24const_host_device_scalarIT2_EEPKiS6_PKS3_S8_S4_PS3_21rocsparse_index_base_b
	.p2align	8
	.type	_ZN9rocsparseL19gebsrmvn_4xn_kernelILj128ELj5ELj32EdEEvi20rocsparse_direction_NS_24const_host_device_scalarIT2_EEPKiS6_PKS3_S8_S4_PS3_21rocsparse_index_base_b,@function
_ZN9rocsparseL19gebsrmvn_4xn_kernelILj128ELj5ELj32EdEEvi20rocsparse_direction_NS_24const_host_device_scalarIT2_EEPKiS6_PKS3_S8_S4_PS3_21rocsparse_index_base_b: ; @_ZN9rocsparseL19gebsrmvn_4xn_kernelILj128ELj5ELj32EdEEvi20rocsparse_direction_NS_24const_host_device_scalarIT2_EEPKiS6_PKS3_S8_S4_PS3_21rocsparse_index_base_b
; %bb.0:
	s_load_dwordx2 s[12:13], s[0:1], 0x40
	s_load_dwordx2 s[8:9], s[0:1], 0x8
	;; [unrolled: 1-line block ×3, first 2 shown]
	s_waitcnt lgkmcnt(0)
	s_bitcmp1_b32 s13, 0
	s_cselect_b64 s[10:11], -1, 0
	s_xor_b64 s[6:7], s[10:11], -1
	s_and_b64 vcc, exec, s[10:11]
	v_mov_b64_e32 v[2:3], s[8:9]
	s_cbranch_vccnz .LBB55_2
; %bb.1:
	v_mov_b64_e32 v[2:3], s[8:9]
	flat_load_dwordx2 v[2:3], v[2:3]
.LBB55_2:
	s_andn2_b64 vcc, exec, s[6:7]
	v_mov_b64_e32 v[4:5], s[4:5]
	s_cbranch_vccnz .LBB55_4
; %bb.3:
	v_mov_b64_e32 v[4:5], s[4:5]
	flat_load_dwordx2 v[4:5], v[4:5]
.LBB55_4:
	s_waitcnt vmcnt(0) lgkmcnt(0)
	v_cmp_neq_f64_e32 vcc, 0, v[2:3]
	v_cmp_neq_f64_e64 s[4:5], 1.0, v[4:5]
	s_or_b64 s[4:5], vcc, s[4:5]
	s_and_saveexec_b64 s[6:7], s[4:5]
	s_cbranch_execz .LBB55_23
; %bb.5:
	s_load_dwordx2 s[14:15], s[0:1], 0x0
	v_lshrrev_b32_e32 v1, 5, v0
	v_lshl_or_b32 v6, s2, 2, v1
	s_waitcnt lgkmcnt(0)
	v_cmp_gt_i32_e32 vcc, s14, v6
	s_and_b64 exec, exec, vcc
	s_cbranch_execz .LBB55_23
; %bb.6:
	s_load_dwordx8 s[4:11], s[0:1], 0x10
	v_ashrrev_i32_e32 v7, 31, v6
	s_cmp_lg_u32 s15, 0
	s_waitcnt lgkmcnt(0)
	v_lshl_add_u64 v[8:9], v[6:7], 2, s[4:5]
	global_load_dwordx2 v[8:9], v[8:9], off
	v_and_b32_e32 v7, 31, v0
	s_waitcnt vmcnt(0)
	v_subrev_u32_e32 v0, s12, v8
	v_subrev_u32_e32 v22, s12, v9
	v_add_u32_e32 v14, v0, v7
	v_cmp_lt_i32_e64 s[2:3], v14, v22
	s_cbranch_scc0 .LBB55_12
; %bb.7:
	v_mov_b64_e32 v[10:11], 0
	v_mov_b64_e32 v[0:1], 0
	;; [unrolled: 1-line block ×4, first 2 shown]
	s_and_saveexec_b64 s[4:5], s[2:3]
	s_cbranch_execz .LBB55_11
; %bb.8:
	v_mad_u64_u32 v[16:17], s[14:15], v14, 20, 16
	v_mov_b64_e32 v[10:11], 0
	s_mov_b64 s[14:15], 0
	v_mov_b32_e32 v19, 0
	v_mov_b32_e32 v20, v14
	v_mov_b64_e32 v[0:1], 0
	v_mov_b64_e32 v[8:9], 0
	;; [unrolled: 1-line block ×3, first 2 shown]
.LBB55_9:                               ; =>This Inner Loop Header: Depth=1
	v_ashrrev_i32_e32 v21, 31, v20
	v_add_u32_e32 v18, -16, v16
	v_lshl_add_u64 v[32:33], v[20:21], 2, s[6:7]
	v_lshl_add_u64 v[34:35], v[18:19], 3, s[8:9]
	global_load_dword v15, v[32:33], off
	global_load_dwordx4 v[24:27], v[34:35], off offset:16
	global_load_dwordx4 v[28:31], v[34:35], off
	v_mov_b32_e32 v17, v19
	v_mov_b32_e32 v57, v19
	v_add_u32_e32 v18, -12, v16
	v_lshl_add_u64 v[48:49], v[16:17], 3, s[8:9]
	v_lshl_add_u64 v[50:51], v[18:19], 3, s[8:9]
	global_load_dwordx4 v[32:35], v[48:49], off offset:16
	global_load_dwordx4 v[36:39], v[48:49], off
	global_load_dwordx4 v[40:43], v[50:51], off offset:16
	global_load_dwordx4 v[44:47], v[50:51], off
	v_add_u32_e32 v20, 32, v20
	v_cmp_ge_i32_e32 vcc, v20, v22
	s_or_b64 s[14:15], vcc, s[14:15]
	s_waitcnt vmcnt(6)
	v_subrev_u32_e32 v15, s12, v15
	v_lshl_add_u32 v56, v15, 2, v15
	v_lshl_add_u64 v[48:49], v[56:57], 3, s[10:11]
	global_load_dwordx2 v[58:59], v[48:49], off
	v_add_u32_e32 v18, 1, v56
	v_lshl_add_u64 v[48:49], v[18:19], 3, s[10:11]
	global_load_dwordx2 v[60:61], v[48:49], off
	v_add_u32_e32 v18, -8, v16
	v_lshl_add_u64 v[62:63], v[18:19], 3, s[8:9]
	v_add_u32_e32 v18, 2, v56
	global_load_dwordx4 v[48:51], v[62:63], off offset:16
	global_load_dwordx4 v[52:55], v[62:63], off
	s_waitcnt vmcnt(3)
	v_fmac_f64_e32 v[10:11], v[28:29], v[58:59]
	v_lshl_add_u64 v[28:29], v[18:19], 3, s[10:11]
	v_add_u32_e32 v18, -4, v16
	v_lshl_add_u64 v[64:65], v[18:19], 3, s[8:9]
	v_add_u32_e32 v18, 3, v56
	v_fmac_f64_e32 v[12:13], v[30:31], v[58:59]
	global_load_dwordx2 v[62:63], v[28:29], off
	v_fmac_f64_e32 v[8:9], v[24:25], v[58:59]
	v_fmac_f64_e32 v[0:1], v[26:27], v[58:59]
	v_lshl_add_u64 v[58:59], v[18:19], 3, s[10:11]
	v_add_u32_e32 v18, 4, v56
	global_load_dwordx4 v[24:27], v[64:65], off offset:16
	global_load_dwordx4 v[28:31], v[64:65], off
	global_load_dwordx2 v[56:57], v[58:59], off
	s_waitcnt vmcnt(6)
	v_fmac_f64_e32 v[10:11], v[44:45], v[60:61]
	v_lshl_add_u64 v[44:45], v[18:19], 3, s[10:11]
	global_load_dwordx2 v[44:45], v[44:45], off
	v_fmac_f64_e32 v[12:13], v[46:47], v[60:61]
	v_fmac_f64_e32 v[8:9], v[40:41], v[60:61]
	;; [unrolled: 1-line block ×3, first 2 shown]
	v_add_u32_e32 v16, 0x280, v16
	s_waitcnt vmcnt(4)
	v_fmac_f64_e32 v[10:11], v[52:53], v[62:63]
	v_fmac_f64_e32 v[12:13], v[54:55], v[62:63]
	v_fmac_f64_e32 v[8:9], v[48:49], v[62:63]
	v_fmac_f64_e32 v[0:1], v[50:51], v[62:63]
	s_waitcnt vmcnt(1)
	v_fmac_f64_e32 v[10:11], v[28:29], v[56:57]
	v_fmac_f64_e32 v[12:13], v[30:31], v[56:57]
	v_fmac_f64_e32 v[8:9], v[24:25], v[56:57]
	v_fmac_f64_e32 v[0:1], v[26:27], v[56:57]
	;; [unrolled: 5-line block ×3, first 2 shown]
	s_andn2_b64 exec, exec, s[14:15]
	s_cbranch_execnz .LBB55_9
; %bb.10:
	s_or_b64 exec, exec, s[14:15]
.LBB55_11:
	s_or_b64 exec, exec, s[4:5]
	s_cbranch_execz .LBB55_13
	s_branch .LBB55_18
.LBB55_12:
                                        ; implicit-def: $vgpr10_vgpr11
                                        ; implicit-def: $vgpr0_vgpr1
                                        ; implicit-def: $vgpr8_vgpr9
                                        ; implicit-def: $vgpr12_vgpr13
.LBB55_13:
	v_mov_b64_e32 v[10:11], 0
	v_mov_b64_e32 v[0:1], 0
	;; [unrolled: 1-line block ×4, first 2 shown]
	s_and_saveexec_b64 s[4:5], s[2:3]
	s_cbranch_execz .LBB55_17
; %bb.14:
	v_mad_u64_u32 v[16:17], s[2:3], v14, 20, 19
	v_mov_b64_e32 v[10:11], 0
	s_mov_b64 s[2:3], 0
	v_mov_b32_e32 v19, 0
	v_mov_b64_e32 v[0:1], 0
	v_mov_b64_e32 v[8:9], 0
	;; [unrolled: 1-line block ×3, first 2 shown]
.LBB55_15:                              ; =>This Inner Loop Header: Depth=1
	v_ashrrev_i32_e32 v15, 31, v14
	v_add_u32_e32 v20, -14, v16
	v_add_u32_e32 v24, -9, v16
	;; [unrolled: 1-line block ×3, first 2 shown]
	v_mov_b32_e32 v21, v19
	v_mov_b32_e32 v25, v19
	v_mov_b32_e32 v27, v19
	v_lshl_add_u64 v[30:31], v[14:15], 2, s[6:7]
	v_lshl_add_u64 v[20:21], v[20:21], 3, s[8:9]
	;; [unrolled: 1-line block ×4, first 2 shown]
	global_load_dword v15, v[30:31], off
	global_load_dwordx2 v[36:37], v[20:21], off
	global_load_dwordx2 v[38:39], v[24:25], off
	global_load_dwordx2 v[40:41], v[26:27], off
	v_mov_b32_e32 v29, v19
	v_subrev_u32_e32 v18, 19, v16
	v_lshl_add_u64 v[32:33], v[18:19], 3, s[8:9]
	v_mov_b32_e32 v17, v19
	v_lshl_add_u64 v[34:35], v[16:17], 3, s[8:9]
	v_add_u32_e32 v14, 32, v14
	v_cmp_ge_i32_e32 vcc, v14, v22
	s_or_b64 s[2:3], vcc, s[2:3]
	s_waitcnt vmcnt(3)
	v_subrev_u32_e32 v15, s12, v15
	v_lshl_add_u32 v28, v15, 2, v15
	v_lshl_add_u64 v[24:25], v[28:29], 3, s[10:11]
	global_load_dwordx2 v[66:67], v[24:25], off
	v_add_u32_e32 v18, 1, v28
	global_load_dwordx4 v[24:27], v[32:33], off
	v_lshl_add_u64 v[20:21], v[18:19], 3, s[10:11]
	v_add_u32_e32 v18, -13, v16
	v_lshl_add_u64 v[42:43], v[18:19], 3, s[8:9]
	v_add_u32_e32 v18, -8, v16
	;; [unrolled: 2-line block ×3, first 2 shown]
	v_lshl_add_u64 v[46:47], v[18:19], 3, s[8:9]
	v_add_u32_e32 v18, 2, v28
	v_lshl_add_u64 v[48:49], v[18:19], 3, s[10:11]
	v_add_u32_e32 v18, -12, v16
	v_lshl_add_u64 v[50:51], v[18:19], 3, s[8:9]
	v_add_u32_e32 v18, -7, v16
	v_lshl_add_u64 v[52:53], v[18:19], 3, s[8:9]
	v_add_u32_e32 v18, -2, v16
	v_lshl_add_u64 v[54:55], v[18:19], 3, s[8:9]
	v_add_u32_e32 v18, 3, v28
	v_lshl_add_u64 v[56:57], v[18:19], 3, s[10:11]
	v_add_u32_e32 v18, -11, v16
	v_lshl_add_u64 v[58:59], v[18:19], 3, s[8:9]
	v_add_u32_e32 v18, -6, v16
	;; [unrolled: 2-line block ×4, first 2 shown]
	v_lshl_add_u64 v[64:65], v[18:19], 3, s[8:9]
	v_add_u32_e32 v18, 4, v28
	s_waitcnt vmcnt(1)
	v_fmac_f64_e32 v[12:13], v[36:37], v[66:67]
	v_fmac_f64_e32 v[8:9], v[38:39], v[66:67]
	;; [unrolled: 1-line block ×3, first 2 shown]
	global_load_dwordx4 v[28:31], v[32:33], off offset:16
	global_load_dwordx2 v[36:37], v[34:35], off
	global_load_dwordx2 v[38:39], v[20:21], off
	;; [unrolled: 1-line block ×14, first 2 shown]
	v_lshl_add_u64 v[20:21], v[18:19], 3, s[10:11]
	v_add_u32_e32 v18, -10, v16
	s_waitcnt vmcnt(15)
	v_fmac_f64_e32 v[10:11], v[24:25], v[66:67]
	v_lshl_add_u64 v[24:25], v[18:19], 3, s[8:9]
	v_add_u32_e32 v18, -5, v16
	global_load_dwordx2 v[20:21], v[20:21], off
	v_add_u32_e32 v16, 0x280, v16
	s_waitcnt vmcnt(13)
	v_fmac_f64_e32 v[10:11], v[26:27], v[38:39]
	v_lshl_add_u64 v[26:27], v[18:19], 3, s[8:9]
	global_load_dwordx2 v[32:33], v[24:25], off
	global_load_dwordx2 v[34:35], v[26:27], off
	s_waitcnt vmcnt(14)
	v_fmac_f64_e32 v[12:13], v[40:41], v[38:39]
	s_waitcnt vmcnt(13)
	v_fmac_f64_e32 v[8:9], v[68:69], v[38:39]
	;; [unrolled: 2-line block ×12, first 2 shown]
	v_fmac_f64_e32 v[0:1], v[36:37], v[20:21]
	s_waitcnt vmcnt(1)
	v_fmac_f64_e32 v[12:13], v[32:33], v[20:21]
	s_waitcnt vmcnt(0)
	v_fmac_f64_e32 v[8:9], v[34:35], v[20:21]
	s_andn2_b64 exec, exec, s[2:3]
	s_cbranch_execnz .LBB55_15
; %bb.16:
	s_or_b64 exec, exec, s[2:3]
.LBB55_17:
	s_or_b64 exec, exec, s[4:5]
.LBB55_18:
	v_mov_b32_dpp v16, v12 row_shr:1 row_mask:0xf bank_mask:0xf
	v_mov_b32_dpp v17, v13 row_shr:1 row_mask:0xf bank_mask:0xf
	v_add_f64 v[12:13], v[12:13], v[16:17]
	v_mov_b32_dpp v14, v10 row_shr:1 row_mask:0xf bank_mask:0xf
	v_mov_b32_dpp v15, v11 row_shr:1 row_mask:0xf bank_mask:0xf
	;; [unrolled: 1-line block ×4, first 2 shown]
	v_add_f64 v[12:13], v[12:13], v[16:17]
	v_add_f64 v[10:11], v[10:11], v[14:15]
	v_cmp_eq_u32_e32 vcc, 31, v7
	v_mov_b32_dpp v16, v12 row_shr:4 row_mask:0xf bank_mask:0xe
	v_mov_b32_dpp v17, v13 row_shr:4 row_mask:0xf bank_mask:0xe
	v_add_f64 v[12:13], v[12:13], v[16:17]
	v_mov_b32_dpp v14, v10 row_shr:2 row_mask:0xf bank_mask:0xf
	v_mov_b32_dpp v15, v11 row_shr:2 row_mask:0xf bank_mask:0xf
	v_mov_b32_dpp v16, v12 row_shr:8 row_mask:0xf bank_mask:0xc
	v_mov_b32_dpp v17, v13 row_shr:8 row_mask:0xf bank_mask:0xc
	v_add_f64 v[16:17], v[12:13], v[16:17]
	v_mov_b32_dpp v12, v8 row_shr:1 row_mask:0xf bank_mask:0xf
	v_mov_b32_dpp v13, v9 row_shr:1 row_mask:0xf bank_mask:0xf
	v_add_f64 v[8:9], v[8:9], v[12:13]
	v_add_f64 v[10:11], v[10:11], v[14:15]
	v_mov_b32_dpp v18, v16 row_bcast:15 row_mask:0xa bank_mask:0xf
	v_mov_b32_dpp v12, v8 row_shr:2 row_mask:0xf bank_mask:0xf
	v_mov_b32_dpp v13, v9 row_shr:2 row_mask:0xf bank_mask:0xf
	v_add_f64 v[8:9], v[8:9], v[12:13]
	v_mov_b32_dpp v14, v10 row_shr:4 row_mask:0xf bank_mask:0xe
	v_mov_b32_dpp v15, v11 row_shr:4 row_mask:0xf bank_mask:0xe
	;; [unrolled: 1-line block ×4, first 2 shown]
	v_add_f64 v[8:9], v[8:9], v[12:13]
	v_add_f64 v[10:11], v[10:11], v[14:15]
	v_mov_b32_dpp v19, v17 row_bcast:15 row_mask:0xa bank_mask:0xf
	v_mov_b32_dpp v12, v8 row_shr:8 row_mask:0xf bank_mask:0xc
	v_mov_b32_dpp v13, v9 row_shr:8 row_mask:0xf bank_mask:0xc
	v_add_f64 v[8:9], v[8:9], v[12:13]
	v_mov_b32_dpp v12, v0 row_shr:1 row_mask:0xf bank_mask:0xf
	v_mov_b32_dpp v13, v1 row_shr:1 row_mask:0xf bank_mask:0xf
	v_add_f64 v[0:1], v[0:1], v[12:13]
	v_mov_b32_dpp v14, v10 row_shr:8 row_mask:0xf bank_mask:0xc
	v_mov_b32_dpp v15, v11 row_shr:8 row_mask:0xf bank_mask:0xc
	v_mov_b32_dpp v12, v0 row_shr:2 row_mask:0xf bank_mask:0xf
	v_mov_b32_dpp v13, v1 row_shr:2 row_mask:0xf bank_mask:0xf
	v_add_f64 v[0:1], v[0:1], v[12:13]
	v_add_f64 v[10:11], v[10:11], v[14:15]
	v_mov_b32_dpp v20, v8 row_bcast:15 row_mask:0xa bank_mask:0xf
	v_mov_b32_dpp v12, v0 row_shr:4 row_mask:0xf bank_mask:0xe
	v_mov_b32_dpp v13, v1 row_shr:4 row_mask:0xf bank_mask:0xe
	v_add_f64 v[0:1], v[0:1], v[12:13]
	v_mov_b32_dpp v14, v10 row_bcast:15 row_mask:0xa bank_mask:0xf
	v_mov_b32_dpp v15, v11 row_bcast:15 row_mask:0xa bank_mask:0xf
	v_mov_b32_dpp v12, v0 row_shr:8 row_mask:0xf bank_mask:0xc
	v_mov_b32_dpp v13, v1 row_shr:8 row_mask:0xf bank_mask:0xc
	v_add_f64 v[22:23], v[0:1], v[12:13]
	v_mov_b32_dpp v21, v9 row_bcast:15 row_mask:0xa bank_mask:0xf
	s_nop 0
	v_mov_b32_dpp v24, v22 row_bcast:15 row_mask:0xa bank_mask:0xf
	v_mov_b32_dpp v25, v23 row_bcast:15 row_mask:0xa bank_mask:0xf
	s_and_b64 exec, exec, vcc
	s_cbranch_execz .LBB55_23
; %bb.19:
	s_load_dwordx2 s[0:1], s[0:1], 0x38
	v_add_f64 v[12:13], v[10:11], v[14:15]
	v_add_f64 v[10:11], v[16:17], v[18:19]
	;; [unrolled: 1-line block ×4, first 2 shown]
	v_cmp_eq_f64_e32 vcc, 0, v[4:5]
	s_and_saveexec_b64 s[2:3], vcc
	s_xor_b64 s[2:3], exec, s[2:3]
	s_cbranch_execz .LBB55_21
; %bb.20:
	v_lshlrev_b32_e32 v6, 2, v6
	v_ashrrev_i32_e32 v7, 31, v6
	v_mul_f64 v[4:5], v[2:3], v[12:13]
	s_waitcnt lgkmcnt(0)
	v_lshl_add_u64 v[12:13], v[6:7], 3, s[0:1]
	v_mul_f64 v[6:7], v[2:3], v[10:11]
	v_mul_f64 v[0:1], v[2:3], v[0:1]
	;; [unrolled: 1-line block ×3, first 2 shown]
	global_store_dwordx4 v[12:13], v[4:7], off
	global_store_dwordx4 v[12:13], v[0:3], off offset:16
                                        ; implicit-def: $vgpr6
                                        ; implicit-def: $vgpr2_vgpr3
                                        ; implicit-def: $vgpr12_vgpr13
                                        ; implicit-def: $vgpr4_vgpr5
                                        ; implicit-def: $vgpr10_vgpr11
                                        ; implicit-def: $vgpr0_vgpr1
                                        ; implicit-def: $vgpr8_vgpr9
.LBB55_21:
	s_andn2_saveexec_b64 s[2:3], s[2:3]
	s_cbranch_execz .LBB55_23
; %bb.22:
	v_lshlrev_b32_e32 v6, 2, v6
	v_ashrrev_i32_e32 v7, 31, v6
	s_waitcnt lgkmcnt(0)
	v_lshl_add_u64 v[6:7], v[6:7], 3, s[0:1]
	global_load_dwordx4 v[14:17], v[6:7], off
	global_load_dwordx4 v[18:21], v[6:7], off offset:16
	v_mul_f64 v[22:23], v[2:3], v[12:13]
	v_mul_f64 v[24:25], v[2:3], v[10:11]
	;; [unrolled: 1-line block ×4, first 2 shown]
	s_waitcnt vmcnt(1)
	v_fmac_f64_e32 v[22:23], v[4:5], v[14:15]
	v_fmac_f64_e32 v[24:25], v[4:5], v[16:17]
	s_waitcnt vmcnt(0)
	v_fmac_f64_e32 v[0:1], v[4:5], v[18:19]
	v_fmac_f64_e32 v[2:3], v[4:5], v[20:21]
	global_store_dwordx4 v[6:7], v[22:25], off
	global_store_dwordx4 v[6:7], v[0:3], off offset:16
.LBB55_23:
	s_endpgm
	.section	.rodata,"a",@progbits
	.p2align	6, 0x0
	.amdhsa_kernel _ZN9rocsparseL19gebsrmvn_4xn_kernelILj128ELj5ELj32EdEEvi20rocsparse_direction_NS_24const_host_device_scalarIT2_EEPKiS6_PKS3_S8_S4_PS3_21rocsparse_index_base_b
		.amdhsa_group_segment_fixed_size 0
		.amdhsa_private_segment_fixed_size 0
		.amdhsa_kernarg_size 72
		.amdhsa_user_sgpr_count 2
		.amdhsa_user_sgpr_dispatch_ptr 0
		.amdhsa_user_sgpr_queue_ptr 0
		.amdhsa_user_sgpr_kernarg_segment_ptr 1
		.amdhsa_user_sgpr_dispatch_id 0
		.amdhsa_user_sgpr_kernarg_preload_length 0
		.amdhsa_user_sgpr_kernarg_preload_offset 0
		.amdhsa_user_sgpr_private_segment_size 0
		.amdhsa_uses_dynamic_stack 0
		.amdhsa_enable_private_segment 0
		.amdhsa_system_sgpr_workgroup_id_x 1
		.amdhsa_system_sgpr_workgroup_id_y 0
		.amdhsa_system_sgpr_workgroup_id_z 0
		.amdhsa_system_sgpr_workgroup_info 0
		.amdhsa_system_vgpr_workitem_id 0
		.amdhsa_next_free_vgpr 90
		.amdhsa_next_free_sgpr 16
		.amdhsa_accum_offset 92
		.amdhsa_reserve_vcc 1
		.amdhsa_float_round_mode_32 0
		.amdhsa_float_round_mode_16_64 0
		.amdhsa_float_denorm_mode_32 3
		.amdhsa_float_denorm_mode_16_64 3
		.amdhsa_dx10_clamp 1
		.amdhsa_ieee_mode 1
		.amdhsa_fp16_overflow 0
		.amdhsa_tg_split 0
		.amdhsa_exception_fp_ieee_invalid_op 0
		.amdhsa_exception_fp_denorm_src 0
		.amdhsa_exception_fp_ieee_div_zero 0
		.amdhsa_exception_fp_ieee_overflow 0
		.amdhsa_exception_fp_ieee_underflow 0
		.amdhsa_exception_fp_ieee_inexact 0
		.amdhsa_exception_int_div_zero 0
	.end_amdhsa_kernel
	.section	.text._ZN9rocsparseL19gebsrmvn_4xn_kernelILj128ELj5ELj32EdEEvi20rocsparse_direction_NS_24const_host_device_scalarIT2_EEPKiS6_PKS3_S8_S4_PS3_21rocsparse_index_base_b,"axG",@progbits,_ZN9rocsparseL19gebsrmvn_4xn_kernelILj128ELj5ELj32EdEEvi20rocsparse_direction_NS_24const_host_device_scalarIT2_EEPKiS6_PKS3_S8_S4_PS3_21rocsparse_index_base_b,comdat
.Lfunc_end55:
	.size	_ZN9rocsparseL19gebsrmvn_4xn_kernelILj128ELj5ELj32EdEEvi20rocsparse_direction_NS_24const_host_device_scalarIT2_EEPKiS6_PKS3_S8_S4_PS3_21rocsparse_index_base_b, .Lfunc_end55-_ZN9rocsparseL19gebsrmvn_4xn_kernelILj128ELj5ELj32EdEEvi20rocsparse_direction_NS_24const_host_device_scalarIT2_EEPKiS6_PKS3_S8_S4_PS3_21rocsparse_index_base_b
                                        ; -- End function
	.set _ZN9rocsparseL19gebsrmvn_4xn_kernelILj128ELj5ELj32EdEEvi20rocsparse_direction_NS_24const_host_device_scalarIT2_EEPKiS6_PKS3_S8_S4_PS3_21rocsparse_index_base_b.num_vgpr, 90
	.set _ZN9rocsparseL19gebsrmvn_4xn_kernelILj128ELj5ELj32EdEEvi20rocsparse_direction_NS_24const_host_device_scalarIT2_EEPKiS6_PKS3_S8_S4_PS3_21rocsparse_index_base_b.num_agpr, 0
	.set _ZN9rocsparseL19gebsrmvn_4xn_kernelILj128ELj5ELj32EdEEvi20rocsparse_direction_NS_24const_host_device_scalarIT2_EEPKiS6_PKS3_S8_S4_PS3_21rocsparse_index_base_b.numbered_sgpr, 16
	.set _ZN9rocsparseL19gebsrmvn_4xn_kernelILj128ELj5ELj32EdEEvi20rocsparse_direction_NS_24const_host_device_scalarIT2_EEPKiS6_PKS3_S8_S4_PS3_21rocsparse_index_base_b.num_named_barrier, 0
	.set _ZN9rocsparseL19gebsrmvn_4xn_kernelILj128ELj5ELj32EdEEvi20rocsparse_direction_NS_24const_host_device_scalarIT2_EEPKiS6_PKS3_S8_S4_PS3_21rocsparse_index_base_b.private_seg_size, 0
	.set _ZN9rocsparseL19gebsrmvn_4xn_kernelILj128ELj5ELj32EdEEvi20rocsparse_direction_NS_24const_host_device_scalarIT2_EEPKiS6_PKS3_S8_S4_PS3_21rocsparse_index_base_b.uses_vcc, 1
	.set _ZN9rocsparseL19gebsrmvn_4xn_kernelILj128ELj5ELj32EdEEvi20rocsparse_direction_NS_24const_host_device_scalarIT2_EEPKiS6_PKS3_S8_S4_PS3_21rocsparse_index_base_b.uses_flat_scratch, 0
	.set _ZN9rocsparseL19gebsrmvn_4xn_kernelILj128ELj5ELj32EdEEvi20rocsparse_direction_NS_24const_host_device_scalarIT2_EEPKiS6_PKS3_S8_S4_PS3_21rocsparse_index_base_b.has_dyn_sized_stack, 0
	.set _ZN9rocsparseL19gebsrmvn_4xn_kernelILj128ELj5ELj32EdEEvi20rocsparse_direction_NS_24const_host_device_scalarIT2_EEPKiS6_PKS3_S8_S4_PS3_21rocsparse_index_base_b.has_recursion, 0
	.set _ZN9rocsparseL19gebsrmvn_4xn_kernelILj128ELj5ELj32EdEEvi20rocsparse_direction_NS_24const_host_device_scalarIT2_EEPKiS6_PKS3_S8_S4_PS3_21rocsparse_index_base_b.has_indirect_call, 0
	.section	.AMDGPU.csdata,"",@progbits
; Kernel info:
; codeLenInByte = 2144
; TotalNumSgprs: 22
; NumVgprs: 90
; NumAgprs: 0
; TotalNumVgprs: 90
; ScratchSize: 0
; MemoryBound: 1
; FloatMode: 240
; IeeeMode: 1
; LDSByteSize: 0 bytes/workgroup (compile time only)
; SGPRBlocks: 2
; VGPRBlocks: 11
; NumSGPRsForWavesPerEU: 22
; NumVGPRsForWavesPerEU: 90
; AccumOffset: 92
; Occupancy: 5
; WaveLimiterHint : 1
; COMPUTE_PGM_RSRC2:SCRATCH_EN: 0
; COMPUTE_PGM_RSRC2:USER_SGPR: 2
; COMPUTE_PGM_RSRC2:TRAP_HANDLER: 0
; COMPUTE_PGM_RSRC2:TGID_X_EN: 1
; COMPUTE_PGM_RSRC2:TGID_Y_EN: 0
; COMPUTE_PGM_RSRC2:TGID_Z_EN: 0
; COMPUTE_PGM_RSRC2:TIDIG_COMP_CNT: 0
; COMPUTE_PGM_RSRC3_GFX90A:ACCUM_OFFSET: 22
; COMPUTE_PGM_RSRC3_GFX90A:TG_SPLIT: 0
	.section	.text._ZN9rocsparseL19gebsrmvn_4xn_kernelILj128ELj5ELj64EdEEvi20rocsparse_direction_NS_24const_host_device_scalarIT2_EEPKiS6_PKS3_S8_S4_PS3_21rocsparse_index_base_b,"axG",@progbits,_ZN9rocsparseL19gebsrmvn_4xn_kernelILj128ELj5ELj64EdEEvi20rocsparse_direction_NS_24const_host_device_scalarIT2_EEPKiS6_PKS3_S8_S4_PS3_21rocsparse_index_base_b,comdat
	.globl	_ZN9rocsparseL19gebsrmvn_4xn_kernelILj128ELj5ELj64EdEEvi20rocsparse_direction_NS_24const_host_device_scalarIT2_EEPKiS6_PKS3_S8_S4_PS3_21rocsparse_index_base_b ; -- Begin function _ZN9rocsparseL19gebsrmvn_4xn_kernelILj128ELj5ELj64EdEEvi20rocsparse_direction_NS_24const_host_device_scalarIT2_EEPKiS6_PKS3_S8_S4_PS3_21rocsparse_index_base_b
	.p2align	8
	.type	_ZN9rocsparseL19gebsrmvn_4xn_kernelILj128ELj5ELj64EdEEvi20rocsparse_direction_NS_24const_host_device_scalarIT2_EEPKiS6_PKS3_S8_S4_PS3_21rocsparse_index_base_b,@function
_ZN9rocsparseL19gebsrmvn_4xn_kernelILj128ELj5ELj64EdEEvi20rocsparse_direction_NS_24const_host_device_scalarIT2_EEPKiS6_PKS3_S8_S4_PS3_21rocsparse_index_base_b: ; @_ZN9rocsparseL19gebsrmvn_4xn_kernelILj128ELj5ELj64EdEEvi20rocsparse_direction_NS_24const_host_device_scalarIT2_EEPKiS6_PKS3_S8_S4_PS3_21rocsparse_index_base_b
; %bb.0:
	s_load_dwordx2 s[12:13], s[0:1], 0x40
	s_load_dwordx2 s[8:9], s[0:1], 0x8
	;; [unrolled: 1-line block ×3, first 2 shown]
	s_waitcnt lgkmcnt(0)
	s_bitcmp1_b32 s13, 0
	s_cselect_b64 s[10:11], -1, 0
	s_xor_b64 s[6:7], s[10:11], -1
	s_and_b64 vcc, exec, s[10:11]
	v_mov_b64_e32 v[2:3], s[8:9]
	s_cbranch_vccnz .LBB56_2
; %bb.1:
	v_mov_b64_e32 v[2:3], s[8:9]
	flat_load_dwordx2 v[2:3], v[2:3]
.LBB56_2:
	s_andn2_b64 vcc, exec, s[6:7]
	v_mov_b64_e32 v[4:5], s[4:5]
	s_cbranch_vccnz .LBB56_4
; %bb.3:
	v_mov_b64_e32 v[4:5], s[4:5]
	flat_load_dwordx2 v[4:5], v[4:5]
.LBB56_4:
	s_waitcnt vmcnt(0) lgkmcnt(0)
	v_cmp_neq_f64_e32 vcc, 0, v[2:3]
	v_cmp_neq_f64_e64 s[4:5], 1.0, v[4:5]
	s_or_b64 s[4:5], vcc, s[4:5]
	s_and_saveexec_b64 s[6:7], s[4:5]
	s_cbranch_execz .LBB56_23
; %bb.5:
	s_load_dwordx2 s[14:15], s[0:1], 0x0
	v_lshrrev_b32_e32 v1, 6, v0
	v_lshl_or_b32 v6, s2, 1, v1
	s_waitcnt lgkmcnt(0)
	v_cmp_gt_i32_e32 vcc, s14, v6
	s_and_b64 exec, exec, vcc
	s_cbranch_execz .LBB56_23
; %bb.6:
	s_load_dwordx8 s[4:11], s[0:1], 0x10
	v_ashrrev_i32_e32 v7, 31, v6
	s_cmp_lg_u32 s15, 0
	s_waitcnt lgkmcnt(0)
	v_lshl_add_u64 v[8:9], v[6:7], 2, s[4:5]
	global_load_dwordx2 v[8:9], v[8:9], off
	v_and_b32_e32 v7, 63, v0
	s_waitcnt vmcnt(0)
	v_subrev_u32_e32 v0, s12, v8
	v_subrev_u32_e32 v22, s12, v9
	v_add_u32_e32 v14, v0, v7
	v_cmp_lt_i32_e64 s[2:3], v14, v22
	s_cbranch_scc0 .LBB56_12
; %bb.7:
	v_mov_b64_e32 v[10:11], 0
	v_mov_b64_e32 v[0:1], 0
	v_mov_b64_e32 v[8:9], 0
	v_mov_b64_e32 v[12:13], 0
	s_and_saveexec_b64 s[4:5], s[2:3]
	s_cbranch_execz .LBB56_11
; %bb.8:
	v_mad_u64_u32 v[16:17], s[14:15], v14, 20, 16
	v_mov_b64_e32 v[10:11], 0
	s_mov_b64 s[14:15], 0
	v_mov_b32_e32 v19, 0
	v_mov_b32_e32 v20, v14
	v_mov_b64_e32 v[0:1], 0
	v_mov_b64_e32 v[8:9], 0
	;; [unrolled: 1-line block ×3, first 2 shown]
.LBB56_9:                               ; =>This Inner Loop Header: Depth=1
	v_ashrrev_i32_e32 v21, 31, v20
	v_add_u32_e32 v18, -16, v16
	v_lshl_add_u64 v[32:33], v[20:21], 2, s[6:7]
	v_lshl_add_u64 v[34:35], v[18:19], 3, s[8:9]
	global_load_dword v15, v[32:33], off
	global_load_dwordx4 v[24:27], v[34:35], off offset:16
	global_load_dwordx4 v[28:31], v[34:35], off
	v_mov_b32_e32 v17, v19
	v_mov_b32_e32 v57, v19
	v_add_u32_e32 v18, -12, v16
	v_lshl_add_u64 v[48:49], v[16:17], 3, s[8:9]
	v_lshl_add_u64 v[50:51], v[18:19], 3, s[8:9]
	global_load_dwordx4 v[32:35], v[48:49], off offset:16
	global_load_dwordx4 v[36:39], v[48:49], off
	global_load_dwordx4 v[40:43], v[50:51], off offset:16
	global_load_dwordx4 v[44:47], v[50:51], off
	v_add_u32_e32 v20, 64, v20
	v_cmp_ge_i32_e32 vcc, v20, v22
	s_or_b64 s[14:15], vcc, s[14:15]
	s_waitcnt vmcnt(6)
	v_subrev_u32_e32 v15, s12, v15
	v_lshl_add_u32 v56, v15, 2, v15
	v_lshl_add_u64 v[48:49], v[56:57], 3, s[10:11]
	global_load_dwordx2 v[58:59], v[48:49], off
	v_add_u32_e32 v18, 1, v56
	v_lshl_add_u64 v[48:49], v[18:19], 3, s[10:11]
	global_load_dwordx2 v[60:61], v[48:49], off
	v_add_u32_e32 v18, -8, v16
	v_lshl_add_u64 v[62:63], v[18:19], 3, s[8:9]
	v_add_u32_e32 v18, 2, v56
	global_load_dwordx4 v[48:51], v[62:63], off offset:16
	global_load_dwordx4 v[52:55], v[62:63], off
	s_waitcnt vmcnt(3)
	v_fmac_f64_e32 v[10:11], v[28:29], v[58:59]
	v_lshl_add_u64 v[28:29], v[18:19], 3, s[10:11]
	v_add_u32_e32 v18, -4, v16
	v_lshl_add_u64 v[64:65], v[18:19], 3, s[8:9]
	v_add_u32_e32 v18, 3, v56
	v_fmac_f64_e32 v[12:13], v[30:31], v[58:59]
	global_load_dwordx2 v[62:63], v[28:29], off
	v_fmac_f64_e32 v[8:9], v[24:25], v[58:59]
	v_fmac_f64_e32 v[0:1], v[26:27], v[58:59]
	v_lshl_add_u64 v[58:59], v[18:19], 3, s[10:11]
	v_add_u32_e32 v18, 4, v56
	global_load_dwordx4 v[24:27], v[64:65], off offset:16
	global_load_dwordx4 v[28:31], v[64:65], off
	global_load_dwordx2 v[56:57], v[58:59], off
	s_waitcnt vmcnt(6)
	v_fmac_f64_e32 v[10:11], v[44:45], v[60:61]
	v_lshl_add_u64 v[44:45], v[18:19], 3, s[10:11]
	global_load_dwordx2 v[44:45], v[44:45], off
	v_fmac_f64_e32 v[12:13], v[46:47], v[60:61]
	v_fmac_f64_e32 v[8:9], v[40:41], v[60:61]
	;; [unrolled: 1-line block ×3, first 2 shown]
	v_add_u32_e32 v16, 0x500, v16
	s_waitcnt vmcnt(4)
	v_fmac_f64_e32 v[10:11], v[52:53], v[62:63]
	v_fmac_f64_e32 v[12:13], v[54:55], v[62:63]
	v_fmac_f64_e32 v[8:9], v[48:49], v[62:63]
	v_fmac_f64_e32 v[0:1], v[50:51], v[62:63]
	s_waitcnt vmcnt(1)
	v_fmac_f64_e32 v[10:11], v[28:29], v[56:57]
	v_fmac_f64_e32 v[12:13], v[30:31], v[56:57]
	v_fmac_f64_e32 v[8:9], v[24:25], v[56:57]
	v_fmac_f64_e32 v[0:1], v[26:27], v[56:57]
	;; [unrolled: 5-line block ×3, first 2 shown]
	s_andn2_b64 exec, exec, s[14:15]
	s_cbranch_execnz .LBB56_9
; %bb.10:
	s_or_b64 exec, exec, s[14:15]
.LBB56_11:
	s_or_b64 exec, exec, s[4:5]
	s_cbranch_execz .LBB56_13
	s_branch .LBB56_18
.LBB56_12:
                                        ; implicit-def: $vgpr10_vgpr11
                                        ; implicit-def: $vgpr0_vgpr1
                                        ; implicit-def: $vgpr8_vgpr9
                                        ; implicit-def: $vgpr12_vgpr13
.LBB56_13:
	v_mov_b64_e32 v[10:11], 0
	v_mov_b64_e32 v[0:1], 0
	;; [unrolled: 1-line block ×4, first 2 shown]
	s_and_saveexec_b64 s[4:5], s[2:3]
	s_cbranch_execz .LBB56_17
; %bb.14:
	v_mad_u64_u32 v[16:17], s[2:3], v14, 20, 19
	v_mov_b64_e32 v[10:11], 0
	s_mov_b64 s[2:3], 0
	v_mov_b32_e32 v19, 0
	v_mov_b64_e32 v[0:1], 0
	v_mov_b64_e32 v[8:9], 0
	;; [unrolled: 1-line block ×3, first 2 shown]
.LBB56_15:                              ; =>This Inner Loop Header: Depth=1
	v_ashrrev_i32_e32 v15, 31, v14
	v_add_u32_e32 v20, -14, v16
	v_add_u32_e32 v24, -9, v16
	;; [unrolled: 1-line block ×3, first 2 shown]
	v_mov_b32_e32 v21, v19
	v_mov_b32_e32 v25, v19
	;; [unrolled: 1-line block ×3, first 2 shown]
	v_lshl_add_u64 v[30:31], v[14:15], 2, s[6:7]
	v_lshl_add_u64 v[20:21], v[20:21], 3, s[8:9]
	;; [unrolled: 1-line block ×4, first 2 shown]
	global_load_dword v15, v[30:31], off
	global_load_dwordx2 v[36:37], v[20:21], off
	global_load_dwordx2 v[38:39], v[24:25], off
	;; [unrolled: 1-line block ×3, first 2 shown]
	v_mov_b32_e32 v29, v19
	v_subrev_u32_e32 v18, 19, v16
	v_lshl_add_u64 v[32:33], v[18:19], 3, s[8:9]
	v_mov_b32_e32 v17, v19
	v_lshl_add_u64 v[34:35], v[16:17], 3, s[8:9]
	v_add_u32_e32 v14, 64, v14
	v_cmp_ge_i32_e32 vcc, v14, v22
	s_or_b64 s[2:3], vcc, s[2:3]
	s_waitcnt vmcnt(3)
	v_subrev_u32_e32 v15, s12, v15
	v_lshl_add_u32 v28, v15, 2, v15
	v_lshl_add_u64 v[24:25], v[28:29], 3, s[10:11]
	global_load_dwordx2 v[66:67], v[24:25], off
	v_add_u32_e32 v18, 1, v28
	global_load_dwordx4 v[24:27], v[32:33], off
	v_lshl_add_u64 v[20:21], v[18:19], 3, s[10:11]
	v_add_u32_e32 v18, -13, v16
	v_lshl_add_u64 v[42:43], v[18:19], 3, s[8:9]
	v_add_u32_e32 v18, -8, v16
	v_lshl_add_u64 v[44:45], v[18:19], 3, s[8:9]
	v_add_u32_e32 v18, -3, v16
	v_lshl_add_u64 v[46:47], v[18:19], 3, s[8:9]
	v_add_u32_e32 v18, 2, v28
	v_lshl_add_u64 v[48:49], v[18:19], 3, s[10:11]
	v_add_u32_e32 v18, -12, v16
	v_lshl_add_u64 v[50:51], v[18:19], 3, s[8:9]
	v_add_u32_e32 v18, -7, v16
	;; [unrolled: 2-line block ×3, first 2 shown]
	v_lshl_add_u64 v[54:55], v[18:19], 3, s[8:9]
	v_add_u32_e32 v18, 3, v28
	v_lshl_add_u64 v[56:57], v[18:19], 3, s[10:11]
	v_add_u32_e32 v18, -11, v16
	v_lshl_add_u64 v[58:59], v[18:19], 3, s[8:9]
	v_add_u32_e32 v18, -6, v16
	;; [unrolled: 2-line block ×4, first 2 shown]
	v_lshl_add_u64 v[64:65], v[18:19], 3, s[8:9]
	v_add_u32_e32 v18, 4, v28
	s_waitcnt vmcnt(1)
	v_fmac_f64_e32 v[12:13], v[36:37], v[66:67]
	v_fmac_f64_e32 v[8:9], v[38:39], v[66:67]
	;; [unrolled: 1-line block ×3, first 2 shown]
	global_load_dwordx4 v[28:31], v[32:33], off offset:16
	global_load_dwordx2 v[36:37], v[34:35], off
	global_load_dwordx2 v[38:39], v[20:21], off
	;; [unrolled: 1-line block ×14, first 2 shown]
	v_lshl_add_u64 v[20:21], v[18:19], 3, s[10:11]
	v_add_u32_e32 v18, -10, v16
	s_waitcnt vmcnt(15)
	v_fmac_f64_e32 v[10:11], v[24:25], v[66:67]
	v_lshl_add_u64 v[24:25], v[18:19], 3, s[8:9]
	v_add_u32_e32 v18, -5, v16
	global_load_dwordx2 v[20:21], v[20:21], off
	v_add_u32_e32 v16, 0x500, v16
	s_waitcnt vmcnt(13)
	v_fmac_f64_e32 v[10:11], v[26:27], v[38:39]
	v_lshl_add_u64 v[26:27], v[18:19], 3, s[8:9]
	global_load_dwordx2 v[32:33], v[24:25], off
	global_load_dwordx2 v[34:35], v[26:27], off
	s_waitcnt vmcnt(14)
	v_fmac_f64_e32 v[12:13], v[40:41], v[38:39]
	s_waitcnt vmcnt(13)
	v_fmac_f64_e32 v[8:9], v[68:69], v[38:39]
	;; [unrolled: 2-line block ×12, first 2 shown]
	v_fmac_f64_e32 v[0:1], v[36:37], v[20:21]
	s_waitcnt vmcnt(1)
	v_fmac_f64_e32 v[12:13], v[32:33], v[20:21]
	s_waitcnt vmcnt(0)
	v_fmac_f64_e32 v[8:9], v[34:35], v[20:21]
	s_andn2_b64 exec, exec, s[2:3]
	s_cbranch_execnz .LBB56_15
; %bb.16:
	s_or_b64 exec, exec, s[2:3]
.LBB56_17:
	s_or_b64 exec, exec, s[4:5]
.LBB56_18:
	v_mov_b32_dpp v14, v10 row_shr:1 row_mask:0xf bank_mask:0xf
	v_mov_b32_dpp v15, v11 row_shr:1 row_mask:0xf bank_mask:0xf
	v_mov_b32_dpp v16, v12 row_shr:1 row_mask:0xf bank_mask:0xf
	v_mov_b32_dpp v17, v13 row_shr:1 row_mask:0xf bank_mask:0xf
	v_mov_b32_dpp v18, v8 row_shr:1 row_mask:0xf bank_mask:0xf
	v_mov_b32_dpp v19, v9 row_shr:1 row_mask:0xf bank_mask:0xf
	v_mov_b32_dpp v20, v0 row_shr:1 row_mask:0xf bank_mask:0xf
	v_mov_b32_dpp v21, v1 row_shr:1 row_mask:0xf bank_mask:0xf
	v_add_f64 v[10:11], v[10:11], v[14:15]
	v_add_f64 v[12:13], v[12:13], v[16:17]
	v_add_f64 v[8:9], v[8:9], v[18:19]
	v_add_f64 v[0:1], v[0:1], v[20:21]
	v_mov_b32_dpp v14, v10 row_shr:2 row_mask:0xf bank_mask:0xf
	v_mov_b32_dpp v15, v11 row_shr:2 row_mask:0xf bank_mask:0xf
	v_mov_b32_dpp v16, v12 row_shr:2 row_mask:0xf bank_mask:0xf
	v_mov_b32_dpp v17, v13 row_shr:2 row_mask:0xf bank_mask:0xf
	v_mov_b32_dpp v18, v8 row_shr:2 row_mask:0xf bank_mask:0xf
	v_mov_b32_dpp v19, v9 row_shr:2 row_mask:0xf bank_mask:0xf
	v_mov_b32_dpp v20, v0 row_shr:2 row_mask:0xf bank_mask:0xf
	v_mov_b32_dpp v21, v1 row_shr:2 row_mask:0xf bank_mask:0xf
	v_add_f64 v[10:11], v[10:11], v[14:15]
	v_add_f64 v[12:13], v[12:13], v[16:17]
	v_add_f64 v[8:9], v[8:9], v[18:19]
	v_add_f64 v[0:1], v[0:1], v[20:21]
	;; [unrolled: 12-line block ×4, first 2 shown]
	v_mov_b32_dpp v14, v10 row_bcast:15 row_mask:0xa bank_mask:0xf
	v_mov_b32_dpp v15, v11 row_bcast:15 row_mask:0xa bank_mask:0xf
	;; [unrolled: 1-line block ×8, first 2 shown]
	v_add_f64 v[10:11], v[10:11], v[14:15]
	v_add_f64 v[12:13], v[12:13], v[16:17]
	;; [unrolled: 1-line block ×4, first 2 shown]
	v_mov_b32_dpp v14, v10 row_bcast:31 row_mask:0xc bank_mask:0xf
	v_mov_b32_dpp v15, v11 row_bcast:31 row_mask:0xc bank_mask:0xf
	;; [unrolled: 1-line block ×8, first 2 shown]
	v_cmp_eq_u32_e32 vcc, 63, v7
	s_and_b64 exec, exec, vcc
	s_cbranch_execz .LBB56_23
; %bb.19:
	s_load_dwordx2 s[0:1], s[0:1], 0x38
	v_add_f64 v[14:15], v[10:11], v[14:15]
	v_add_f64 v[10:11], v[12:13], v[16:17]
	;; [unrolled: 1-line block ×4, first 2 shown]
	v_cmp_eq_f64_e32 vcc, 0, v[4:5]
	s_and_saveexec_b64 s[2:3], vcc
	s_xor_b64 s[2:3], exec, s[2:3]
	s_cbranch_execz .LBB56_21
; %bb.20:
	v_lshlrev_b32_e32 v6, 2, v6
	v_ashrrev_i32_e32 v7, 31, v6
	v_mul_f64 v[4:5], v[2:3], v[14:15]
	s_waitcnt lgkmcnt(0)
	v_lshl_add_u64 v[12:13], v[6:7], 3, s[0:1]
	v_mul_f64 v[6:7], v[2:3], v[10:11]
	v_mul_f64 v[0:1], v[2:3], v[0:1]
	;; [unrolled: 1-line block ×3, first 2 shown]
	global_store_dwordx4 v[12:13], v[4:7], off
	global_store_dwordx4 v[12:13], v[0:3], off offset:16
                                        ; implicit-def: $vgpr6
                                        ; implicit-def: $vgpr2_vgpr3
                                        ; implicit-def: $vgpr14_vgpr15
                                        ; implicit-def: $vgpr4_vgpr5
                                        ; implicit-def: $vgpr10_vgpr11
                                        ; implicit-def: $vgpr0_vgpr1
                                        ; implicit-def: $vgpr8_vgpr9
.LBB56_21:
	s_andn2_saveexec_b64 s[2:3], s[2:3]
	s_cbranch_execz .LBB56_23
; %bb.22:
	v_lshlrev_b32_e32 v6, 2, v6
	v_ashrrev_i32_e32 v7, 31, v6
	s_waitcnt lgkmcnt(0)
	v_lshl_add_u64 v[6:7], v[6:7], 3, s[0:1]
	global_load_dwordx4 v[16:19], v[6:7], off
	global_load_dwordx4 v[20:23], v[6:7], off offset:16
	v_mul_f64 v[12:13], v[2:3], v[14:15]
	v_mul_f64 v[14:15], v[2:3], v[10:11]
	;; [unrolled: 1-line block ×4, first 2 shown]
	s_waitcnt vmcnt(1)
	v_fmac_f64_e32 v[12:13], v[4:5], v[16:17]
	v_fmac_f64_e32 v[14:15], v[4:5], v[18:19]
	s_waitcnt vmcnt(0)
	v_fmac_f64_e32 v[0:1], v[4:5], v[20:21]
	v_fmac_f64_e32 v[2:3], v[4:5], v[22:23]
	global_store_dwordx4 v[6:7], v[12:15], off
	global_store_dwordx4 v[6:7], v[0:3], off offset:16
.LBB56_23:
	s_endpgm
	.section	.rodata,"a",@progbits
	.p2align	6, 0x0
	.amdhsa_kernel _ZN9rocsparseL19gebsrmvn_4xn_kernelILj128ELj5ELj64EdEEvi20rocsparse_direction_NS_24const_host_device_scalarIT2_EEPKiS6_PKS3_S8_S4_PS3_21rocsparse_index_base_b
		.amdhsa_group_segment_fixed_size 0
		.amdhsa_private_segment_fixed_size 0
		.amdhsa_kernarg_size 72
		.amdhsa_user_sgpr_count 2
		.amdhsa_user_sgpr_dispatch_ptr 0
		.amdhsa_user_sgpr_queue_ptr 0
		.amdhsa_user_sgpr_kernarg_segment_ptr 1
		.amdhsa_user_sgpr_dispatch_id 0
		.amdhsa_user_sgpr_kernarg_preload_length 0
		.amdhsa_user_sgpr_kernarg_preload_offset 0
		.amdhsa_user_sgpr_private_segment_size 0
		.amdhsa_uses_dynamic_stack 0
		.amdhsa_enable_private_segment 0
		.amdhsa_system_sgpr_workgroup_id_x 1
		.amdhsa_system_sgpr_workgroup_id_y 0
		.amdhsa_system_sgpr_workgroup_id_z 0
		.amdhsa_system_sgpr_workgroup_info 0
		.amdhsa_system_vgpr_workitem_id 0
		.amdhsa_next_free_vgpr 90
		.amdhsa_next_free_sgpr 16
		.amdhsa_accum_offset 92
		.amdhsa_reserve_vcc 1
		.amdhsa_float_round_mode_32 0
		.amdhsa_float_round_mode_16_64 0
		.amdhsa_float_denorm_mode_32 3
		.amdhsa_float_denorm_mode_16_64 3
		.amdhsa_dx10_clamp 1
		.amdhsa_ieee_mode 1
		.amdhsa_fp16_overflow 0
		.amdhsa_tg_split 0
		.amdhsa_exception_fp_ieee_invalid_op 0
		.amdhsa_exception_fp_denorm_src 0
		.amdhsa_exception_fp_ieee_div_zero 0
		.amdhsa_exception_fp_ieee_overflow 0
		.amdhsa_exception_fp_ieee_underflow 0
		.amdhsa_exception_fp_ieee_inexact 0
		.amdhsa_exception_int_div_zero 0
	.end_amdhsa_kernel
	.section	.text._ZN9rocsparseL19gebsrmvn_4xn_kernelILj128ELj5ELj64EdEEvi20rocsparse_direction_NS_24const_host_device_scalarIT2_EEPKiS6_PKS3_S8_S4_PS3_21rocsparse_index_base_b,"axG",@progbits,_ZN9rocsparseL19gebsrmvn_4xn_kernelILj128ELj5ELj64EdEEvi20rocsparse_direction_NS_24const_host_device_scalarIT2_EEPKiS6_PKS3_S8_S4_PS3_21rocsparse_index_base_b,comdat
.Lfunc_end56:
	.size	_ZN9rocsparseL19gebsrmvn_4xn_kernelILj128ELj5ELj64EdEEvi20rocsparse_direction_NS_24const_host_device_scalarIT2_EEPKiS6_PKS3_S8_S4_PS3_21rocsparse_index_base_b, .Lfunc_end56-_ZN9rocsparseL19gebsrmvn_4xn_kernelILj128ELj5ELj64EdEEvi20rocsparse_direction_NS_24const_host_device_scalarIT2_EEPKiS6_PKS3_S8_S4_PS3_21rocsparse_index_base_b
                                        ; -- End function
	.set _ZN9rocsparseL19gebsrmvn_4xn_kernelILj128ELj5ELj64EdEEvi20rocsparse_direction_NS_24const_host_device_scalarIT2_EEPKiS6_PKS3_S8_S4_PS3_21rocsparse_index_base_b.num_vgpr, 90
	.set _ZN9rocsparseL19gebsrmvn_4xn_kernelILj128ELj5ELj64EdEEvi20rocsparse_direction_NS_24const_host_device_scalarIT2_EEPKiS6_PKS3_S8_S4_PS3_21rocsparse_index_base_b.num_agpr, 0
	.set _ZN9rocsparseL19gebsrmvn_4xn_kernelILj128ELj5ELj64EdEEvi20rocsparse_direction_NS_24const_host_device_scalarIT2_EEPKiS6_PKS3_S8_S4_PS3_21rocsparse_index_base_b.numbered_sgpr, 16
	.set _ZN9rocsparseL19gebsrmvn_4xn_kernelILj128ELj5ELj64EdEEvi20rocsparse_direction_NS_24const_host_device_scalarIT2_EEPKiS6_PKS3_S8_S4_PS3_21rocsparse_index_base_b.num_named_barrier, 0
	.set _ZN9rocsparseL19gebsrmvn_4xn_kernelILj128ELj5ELj64EdEEvi20rocsparse_direction_NS_24const_host_device_scalarIT2_EEPKiS6_PKS3_S8_S4_PS3_21rocsparse_index_base_b.private_seg_size, 0
	.set _ZN9rocsparseL19gebsrmvn_4xn_kernelILj128ELj5ELj64EdEEvi20rocsparse_direction_NS_24const_host_device_scalarIT2_EEPKiS6_PKS3_S8_S4_PS3_21rocsparse_index_base_b.uses_vcc, 1
	.set _ZN9rocsparseL19gebsrmvn_4xn_kernelILj128ELj5ELj64EdEEvi20rocsparse_direction_NS_24const_host_device_scalarIT2_EEPKiS6_PKS3_S8_S4_PS3_21rocsparse_index_base_b.uses_flat_scratch, 0
	.set _ZN9rocsparseL19gebsrmvn_4xn_kernelILj128ELj5ELj64EdEEvi20rocsparse_direction_NS_24const_host_device_scalarIT2_EEPKiS6_PKS3_S8_S4_PS3_21rocsparse_index_base_b.has_dyn_sized_stack, 0
	.set _ZN9rocsparseL19gebsrmvn_4xn_kernelILj128ELj5ELj64EdEEvi20rocsparse_direction_NS_24const_host_device_scalarIT2_EEPKiS6_PKS3_S8_S4_PS3_21rocsparse_index_base_b.has_recursion, 0
	.set _ZN9rocsparseL19gebsrmvn_4xn_kernelILj128ELj5ELj64EdEEvi20rocsparse_direction_NS_24const_host_device_scalarIT2_EEPKiS6_PKS3_S8_S4_PS3_21rocsparse_index_base_b.has_indirect_call, 0
	.section	.AMDGPU.csdata,"",@progbits
; Kernel info:
; codeLenInByte = 2236
; TotalNumSgprs: 22
; NumVgprs: 90
; NumAgprs: 0
; TotalNumVgprs: 90
; ScratchSize: 0
; MemoryBound: 1
; FloatMode: 240
; IeeeMode: 1
; LDSByteSize: 0 bytes/workgroup (compile time only)
; SGPRBlocks: 2
; VGPRBlocks: 11
; NumSGPRsForWavesPerEU: 22
; NumVGPRsForWavesPerEU: 90
; AccumOffset: 92
; Occupancy: 5
; WaveLimiterHint : 1
; COMPUTE_PGM_RSRC2:SCRATCH_EN: 0
; COMPUTE_PGM_RSRC2:USER_SGPR: 2
; COMPUTE_PGM_RSRC2:TRAP_HANDLER: 0
; COMPUTE_PGM_RSRC2:TGID_X_EN: 1
; COMPUTE_PGM_RSRC2:TGID_Y_EN: 0
; COMPUTE_PGM_RSRC2:TGID_Z_EN: 0
; COMPUTE_PGM_RSRC2:TIDIG_COMP_CNT: 0
; COMPUTE_PGM_RSRC3_GFX90A:ACCUM_OFFSET: 22
; COMPUTE_PGM_RSRC3_GFX90A:TG_SPLIT: 0
	.section	.text._ZN9rocsparseL19gebsrmvn_4xn_kernelILj128ELj6ELj4EdEEvi20rocsparse_direction_NS_24const_host_device_scalarIT2_EEPKiS6_PKS3_S8_S4_PS3_21rocsparse_index_base_b,"axG",@progbits,_ZN9rocsparseL19gebsrmvn_4xn_kernelILj128ELj6ELj4EdEEvi20rocsparse_direction_NS_24const_host_device_scalarIT2_EEPKiS6_PKS3_S8_S4_PS3_21rocsparse_index_base_b,comdat
	.globl	_ZN9rocsparseL19gebsrmvn_4xn_kernelILj128ELj6ELj4EdEEvi20rocsparse_direction_NS_24const_host_device_scalarIT2_EEPKiS6_PKS3_S8_S4_PS3_21rocsparse_index_base_b ; -- Begin function _ZN9rocsparseL19gebsrmvn_4xn_kernelILj128ELj6ELj4EdEEvi20rocsparse_direction_NS_24const_host_device_scalarIT2_EEPKiS6_PKS3_S8_S4_PS3_21rocsparse_index_base_b
	.p2align	8
	.type	_ZN9rocsparseL19gebsrmvn_4xn_kernelILj128ELj6ELj4EdEEvi20rocsparse_direction_NS_24const_host_device_scalarIT2_EEPKiS6_PKS3_S8_S4_PS3_21rocsparse_index_base_b,@function
_ZN9rocsparseL19gebsrmvn_4xn_kernelILj128ELj6ELj4EdEEvi20rocsparse_direction_NS_24const_host_device_scalarIT2_EEPKiS6_PKS3_S8_S4_PS3_21rocsparse_index_base_b: ; @_ZN9rocsparseL19gebsrmvn_4xn_kernelILj128ELj6ELj4EdEEvi20rocsparse_direction_NS_24const_host_device_scalarIT2_EEPKiS6_PKS3_S8_S4_PS3_21rocsparse_index_base_b
; %bb.0:
	s_load_dwordx2 s[12:13], s[0:1], 0x40
	s_load_dwordx2 s[8:9], s[0:1], 0x8
	;; [unrolled: 1-line block ×3, first 2 shown]
	s_waitcnt lgkmcnt(0)
	s_bitcmp1_b32 s13, 0
	s_cselect_b64 s[10:11], -1, 0
	s_xor_b64 s[6:7], s[10:11], -1
	s_and_b64 vcc, exec, s[10:11]
	v_mov_b64_e32 v[2:3], s[8:9]
	s_cbranch_vccnz .LBB57_2
; %bb.1:
	v_mov_b64_e32 v[2:3], s[8:9]
	flat_load_dwordx2 v[2:3], v[2:3]
.LBB57_2:
	s_andn2_b64 vcc, exec, s[6:7]
	v_mov_b64_e32 v[4:5], s[4:5]
	s_cbranch_vccnz .LBB57_4
; %bb.3:
	v_mov_b64_e32 v[4:5], s[4:5]
	flat_load_dwordx2 v[4:5], v[4:5]
.LBB57_4:
	s_waitcnt vmcnt(0) lgkmcnt(0)
	v_cmp_neq_f64_e32 vcc, 0, v[2:3]
	v_cmp_neq_f64_e64 s[4:5], 1.0, v[4:5]
	s_or_b64 s[4:5], vcc, s[4:5]
	s_and_saveexec_b64 s[6:7], s[4:5]
	s_cbranch_execz .LBB57_23
; %bb.5:
	s_load_dwordx2 s[14:15], s[0:1], 0x0
	v_lshrrev_b32_e32 v1, 2, v0
	v_lshl_or_b32 v6, s2, 5, v1
	s_waitcnt lgkmcnt(0)
	v_cmp_gt_i32_e32 vcc, s14, v6
	s_and_b64 exec, exec, vcc
	s_cbranch_execz .LBB57_23
; %bb.6:
	s_load_dwordx8 s[4:11], s[0:1], 0x10
	v_ashrrev_i32_e32 v7, 31, v6
	s_cmp_lg_u32 s15, 0
	s_waitcnt lgkmcnt(0)
	v_lshl_add_u64 v[8:9], v[6:7], 2, s[4:5]
	global_load_dwordx2 v[8:9], v[8:9], off
	v_and_b32_e32 v7, 3, v0
	s_waitcnt vmcnt(0)
	v_subrev_u32_e32 v0, s12, v8
	v_subrev_u32_e32 v22, s12, v9
	v_add_u32_e32 v12, v0, v7
	v_cmp_lt_i32_e64 s[2:3], v12, v22
	s_cbranch_scc0 .LBB57_12
; %bb.7:
	v_mov_b64_e32 v[8:9], 0
	v_mov_b64_e32 v[0:1], 0
	v_mov_b64_e32 v[10:11], 0
	v_mov_b64_e32 v[14:15], 0
	s_and_saveexec_b64 s[4:5], s[2:3]
	s_cbranch_execz .LBB57_11
; %bb.8:
	v_mad_u64_u32 v[16:17], s[14:15], v12, 24, 20
	v_mov_b64_e32 v[8:9], 0
	s_mov_b64 s[14:15], 0
	v_mov_b32_e32 v19, 0
	v_mov_b32_e32 v20, v12
	v_mov_b64_e32 v[0:1], 0
	v_mov_b64_e32 v[10:11], 0
	;; [unrolled: 1-line block ×3, first 2 shown]
.LBB57_9:                               ; =>This Inner Loop Header: Depth=1
	v_ashrrev_i32_e32 v21, 31, v20
	v_subrev_u32_e32 v18, 20, v16
	v_lshl_add_u64 v[40:41], v[20:21], 2, s[6:7]
	v_lshl_add_u64 v[42:43], v[18:19], 3, s[8:9]
	global_load_dword v13, v[40:41], off
	global_load_dwordx4 v[24:27], v[42:43], off offset:48
	global_load_dwordx4 v[28:31], v[42:43], off offset:32
	;; [unrolled: 1-line block ×3, first 2 shown]
	global_load_dwordx4 v[36:39], v[42:43], off
	v_mov_b32_e32 v17, v19
	v_add_u32_e32 v18, -12, v16
	v_mov_b32_e32 v57, v19
	v_lshl_add_u64 v[60:61], v[16:17], 3, s[8:9]
	v_lshl_add_u64 v[52:53], v[18:19], 3, s[8:9]
	global_load_dwordx4 v[40:43], v[60:61], off
	global_load_dwordx4 v[44:47], v[52:53], off offset:16
	global_load_dwordx4 v[48:51], v[52:53], off
	v_add_u32_e32 v20, 4, v20
	v_cmp_ge_i32_e32 vcc, v20, v22
	s_or_b64 s[14:15], vcc, s[14:15]
	s_waitcnt vmcnt(7)
	v_subrev_u32_e32 v13, s12, v13
	v_mul_lo_u32 v56, v13, 6
	v_lshl_add_u64 v[52:53], v[56:57], 3, s[10:11]
	global_load_dwordx4 v[52:55], v[52:53], off
	v_add_u32_e32 v18, 2, v56
	v_lshl_add_u64 v[58:59], v[18:19], 3, s[10:11]
	v_add_u32_e32 v18, -8, v16
	s_waitcnt vmcnt(0)
	v_fmac_f64_e32 v[8:9], v[36:37], v[52:53]
	v_fmac_f64_e32 v[14:15], v[38:39], v[52:53]
	global_load_dwordx4 v[36:39], v[58:59], off
	v_lshl_add_u64 v[58:59], v[18:19], 3, s[8:9]
	v_add_u32_e32 v18, -4, v16
	v_fmac_f64_e32 v[10:11], v[32:33], v[52:53]
	v_fmac_f64_e32 v[0:1], v[34:35], v[52:53]
	global_load_dwordx4 v[32:35], v[58:59], off offset:16
	v_fmac_f64_e32 v[8:9], v[28:29], v[54:55]
	v_fmac_f64_e32 v[14:15], v[30:31], v[54:55]
	global_load_dwordx4 v[28:31], v[58:59], off
	v_lshl_add_u64 v[58:59], v[18:19], 3, s[8:9]
	v_add_u32_e32 v18, 4, v56
	v_lshl_add_u64 v[56:57], v[18:19], 3, s[10:11]
	v_fmac_f64_e32 v[10:11], v[24:25], v[54:55]
	v_fmac_f64_e32 v[0:1], v[26:27], v[54:55]
	global_load_dwordx4 v[24:27], v[58:59], off offset:16
	global_load_dwordx4 v[52:55], v[58:59], off
	v_add_u32_e32 v16, 0x60, v16
	global_load_dwordx4 v[56:59], v[56:57], off
	s_waitcnt vmcnt(5)
	v_fmac_f64_e32 v[8:9], v[48:49], v[36:37]
	v_fmac_f64_e32 v[14:15], v[50:51], v[36:37]
	global_load_dwordx4 v[48:51], v[60:61], off offset:16
	v_fmac_f64_e32 v[10:11], v[44:45], v[36:37]
	v_fmac_f64_e32 v[0:1], v[46:47], v[36:37]
	s_waitcnt vmcnt(5)
	v_fmac_f64_e32 v[10:11], v[32:33], v[38:39]
	v_fmac_f64_e32 v[0:1], v[34:35], v[38:39]
	s_waitcnt vmcnt(4)
	;; [unrolled: 3-line block ×3, first 2 shown]
	v_fmac_f64_e32 v[8:9], v[52:53], v[56:57]
	v_fmac_f64_e32 v[14:15], v[54:55], v[56:57]
	;; [unrolled: 1-line block ×6, first 2 shown]
	s_waitcnt vmcnt(0)
	v_fmac_f64_e32 v[10:11], v[48:49], v[58:59]
	v_fmac_f64_e32 v[0:1], v[50:51], v[58:59]
	s_andn2_b64 exec, exec, s[14:15]
	s_cbranch_execnz .LBB57_9
; %bb.10:
	s_or_b64 exec, exec, s[14:15]
.LBB57_11:
	s_or_b64 exec, exec, s[4:5]
	s_cbranch_execz .LBB57_13
	s_branch .LBB57_18
.LBB57_12:
                                        ; implicit-def: $vgpr8_vgpr9
                                        ; implicit-def: $vgpr0_vgpr1
                                        ; implicit-def: $vgpr10_vgpr11
                                        ; implicit-def: $vgpr14_vgpr15
.LBB57_13:
	v_mov_b64_e32 v[8:9], 0
	v_mov_b64_e32 v[0:1], 0
	;; [unrolled: 1-line block ×4, first 2 shown]
	s_and_saveexec_b64 s[4:5], s[2:3]
	s_cbranch_execz .LBB57_17
; %bb.14:
	v_mad_u64_u32 v[16:17], s[2:3], v12, 24, 23
	v_mov_b64_e32 v[8:9], 0
	s_mov_b64 s[2:3], 0
	v_mov_b32_e32 v19, 0
	v_mov_b64_e32 v[0:1], 0
	v_mov_b64_e32 v[10:11], 0
	;; [unrolled: 1-line block ×3, first 2 shown]
.LBB57_15:                              ; =>This Inner Loop Header: Depth=1
	v_ashrrev_i32_e32 v13, 31, v12
	v_subrev_u32_e32 v18, 23, v16
	v_add_u32_e32 v20, -11, v16
	v_add_u32_e32 v24, -5, v16
	v_mov_b32_e32 v21, v19
	v_mov_b32_e32 v25, v19
	v_lshl_add_u64 v[40:41], v[12:13], 2, s[6:7]
	v_lshl_add_u64 v[42:43], v[18:19], 3, s[8:9]
	;; [unrolled: 1-line block ×4, first 2 shown]
	global_load_dword v13, v[40:41], off
	global_load_dwordx4 v[24:27], v[42:43], off offset:48
	global_load_dwordx4 v[28:31], v[42:43], off offset:32
	;; [unrolled: 1-line block ×3, first 2 shown]
	global_load_dwordx4 v[36:39], v[42:43], off
	global_load_dwordx2 v[50:51], v[20:21], off
	global_load_dwordx2 v[52:53], v[46:47], off
	v_mov_b32_e32 v17, v19
	v_add_u32_e32 v18, -10, v16
	v_mov_b32_e32 v45, v19
	v_lshl_add_u64 v[48:49], v[16:17], 3, s[8:9]
	v_lshl_add_u64 v[20:21], v[18:19], 3, s[8:9]
	v_add_u32_e32 v18, -4, v16
	global_load_dwordx2 v[46:47], v[48:49], off
	v_lshl_add_u64 v[40:41], v[18:19], 3, s[8:9]
	global_load_dwordx2 v[48:49], v[20:21], off
	global_load_dwordx2 v[54:55], v[40:41], off
	v_add_u32_e32 v12, 4, v12
	v_cmp_ge_i32_e32 vcc, v12, v22
	s_or_b64 s[2:3], vcc, s[2:3]
	s_waitcnt vmcnt(9)
	v_subrev_u32_e32 v13, s12, v13
	v_mul_lo_u32 v44, v13, 6
	v_lshl_add_u64 v[20:21], v[44:45], 3, s[10:11]
	global_load_dwordx4 v[40:43], v[20:21], off
	v_add_u32_e32 v18, 2, v44
	v_lshl_add_u64 v[20:21], v[18:19], 3, s[10:11]
	v_add_u32_e32 v18, -15, v16
	v_lshl_add_u64 v[56:57], v[18:19], 3, s[8:9]
	v_add_u32_e32 v18, -9, v16
	v_lshl_add_u64 v[58:59], v[18:19], 3, s[8:9]
	v_add_u32_e32 v18, -3, v16
	s_waitcnt vmcnt(0)
	v_fmac_f64_e32 v[8:9], v[36:37], v[40:41]
	v_lshl_add_u64 v[36:37], v[18:19], 3, s[8:9]
	v_add_u32_e32 v18, -14, v16
	v_fmac_f64_e32 v[8:9], v[38:39], v[42:43]
	v_lshl_add_u64 v[38:39], v[18:19], 3, s[8:9]
	v_add_u32_e32 v18, -8, v16
	v_lshl_add_u64 v[60:61], v[18:19], 3, s[8:9]
	v_add_u32_e32 v18, -2, v16
	v_fmac_f64_e32 v[14:15], v[24:25], v[40:41]
	v_lshl_add_u64 v[62:63], v[18:19], 3, s[8:9]
	v_add_u32_e32 v18, 4, v44
	v_fmac_f64_e32 v[14:15], v[26:27], v[42:43]
	global_load_dwordx4 v[24:27], v[20:21], off
	global_load_dwordx2 v[44:45], v[56:57], off
	global_load_dwordx2 v[64:65], v[58:59], off
	;; [unrolled: 1-line block ×6, first 2 shown]
	v_lshl_add_u64 v[20:21], v[18:19], 3, s[10:11]
	v_add_u32_e32 v18, -13, v16
	global_load_dwordx4 v[36:39], v[20:21], off
	v_lshl_add_u64 v[20:21], v[18:19], 3, s[8:9]
	v_add_u32_e32 v18, -7, v16
	v_fmac_f64_e32 v[10:11], v[50:51], v[40:41]
	v_fmac_f64_e32 v[0:1], v[52:53], v[40:41]
	v_lshl_add_u64 v[40:41], v[18:19], 3, s[8:9]
	v_add_u32_e32 v18, -1, v16
	v_fmac_f64_e32 v[10:11], v[48:49], v[42:43]
	v_fmac_f64_e32 v[0:1], v[54:55], v[42:43]
	global_load_dwordx2 v[42:43], v[20:21], off
	global_load_dwordx2 v[48:49], v[40:41], off
	v_lshl_add_u64 v[20:21], v[18:19], 3, s[8:9]
	v_add_u32_e32 v18, -12, v16
	v_lshl_add_u64 v[40:41], v[18:19], 3, s[8:9]
	v_add_u32_e32 v18, -6, v16
	global_load_dwordx2 v[50:51], v[20:21], off
	global_load_dwordx2 v[52:53], v[40:41], off
	v_lshl_add_u64 v[20:21], v[18:19], 3, s[8:9]
	global_load_dwordx2 v[20:21], v[20:21], off
	v_add_u32_e32 v16, 0x60, v16
	s_waitcnt vmcnt(12)
	v_fmac_f64_e32 v[8:9], v[32:33], v[24:25]
	s_waitcnt vmcnt(11)
	v_fmac_f64_e32 v[14:15], v[44:45], v[24:25]
	s_waitcnt vmcnt(10)
	v_fmac_f64_e32 v[10:11], v[64:65], v[24:25]
	s_waitcnt vmcnt(9)
	v_fmac_f64_e32 v[0:1], v[66:67], v[24:25]
	v_fmac_f64_e32 v[8:9], v[34:35], v[26:27]
	s_waitcnt vmcnt(8)
	v_fmac_f64_e32 v[14:15], v[68:69], v[26:27]
	s_waitcnt vmcnt(7)
	v_fmac_f64_e32 v[10:11], v[70:71], v[26:27]
	s_waitcnt vmcnt(6)
	v_fmac_f64_e32 v[0:1], v[72:73], v[26:27]
	s_waitcnt vmcnt(5)
	v_fmac_f64_e32 v[8:9], v[28:29], v[36:37]
	v_fmac_f64_e32 v[8:9], v[30:31], v[38:39]
	;; [unrolled: 9-line block ×3, first 2 shown]
	s_waitcnt vmcnt(0)
	v_fmac_f64_e32 v[10:11], v[20:21], v[38:39]
	s_andn2_b64 exec, exec, s[2:3]
	s_cbranch_execnz .LBB57_15
; %bb.16:
	s_or_b64 exec, exec, s[2:3]
.LBB57_17:
	s_or_b64 exec, exec, s[4:5]
.LBB57_18:
	v_mov_b32_dpp v18, v10 row_shr:1 row_mask:0xf bank_mask:0xf
	v_mov_b32_dpp v19, v11 row_shr:1 row_mask:0xf bank_mask:0xf
	;; [unrolled: 1-line block ×6, first 2 shown]
	v_add_f64 v[18:19], v[10:11], v[18:19]
	v_mov_b32_dpp v10, v0 row_shr:1 row_mask:0xf bank_mask:0xf
	v_mov_b32_dpp v11, v1 row_shr:1 row_mask:0xf bank_mask:0xf
	v_add_f64 v[8:9], v[8:9], v[12:13]
	v_add_f64 v[14:15], v[14:15], v[16:17]
	;; [unrolled: 1-line block ×3, first 2 shown]
	v_mov_b32_dpp v12, v8 row_shr:2 row_mask:0xf bank_mask:0xf
	v_mov_b32_dpp v13, v9 row_shr:2 row_mask:0xf bank_mask:0xf
	;; [unrolled: 1-line block ×8, first 2 shown]
	v_cmp_eq_u32_e32 vcc, 3, v7
	s_and_b64 exec, exec, vcc
	s_cbranch_execz .LBB57_23
; %bb.19:
	s_load_dwordx2 s[0:1], s[0:1], 0x38
	v_add_f64 v[12:13], v[8:9], v[12:13]
	v_add_f64 v[10:11], v[14:15], v[16:17]
	;; [unrolled: 1-line block ×4, first 2 shown]
	v_cmp_eq_f64_e32 vcc, 0, v[4:5]
	s_and_saveexec_b64 s[2:3], vcc
	s_xor_b64 s[2:3], exec, s[2:3]
	s_cbranch_execz .LBB57_21
; %bb.20:
	v_lshlrev_b32_e32 v6, 2, v6
	v_ashrrev_i32_e32 v7, 31, v6
	v_mul_f64 v[4:5], v[2:3], v[12:13]
	s_waitcnt lgkmcnt(0)
	v_lshl_add_u64 v[12:13], v[6:7], 3, s[0:1]
	v_mul_f64 v[6:7], v[2:3], v[10:11]
	v_mul_f64 v[0:1], v[2:3], v[0:1]
	;; [unrolled: 1-line block ×3, first 2 shown]
	global_store_dwordx4 v[12:13], v[4:7], off
	global_store_dwordx4 v[12:13], v[0:3], off offset:16
                                        ; implicit-def: $vgpr6
                                        ; implicit-def: $vgpr2_vgpr3
                                        ; implicit-def: $vgpr12_vgpr13
                                        ; implicit-def: $vgpr4_vgpr5
                                        ; implicit-def: $vgpr10_vgpr11
                                        ; implicit-def: $vgpr0_vgpr1
                                        ; implicit-def: $vgpr8_vgpr9
.LBB57_21:
	s_andn2_saveexec_b64 s[2:3], s[2:3]
	s_cbranch_execz .LBB57_23
; %bb.22:
	v_lshlrev_b32_e32 v6, 2, v6
	v_ashrrev_i32_e32 v7, 31, v6
	s_waitcnt lgkmcnt(0)
	v_lshl_add_u64 v[6:7], v[6:7], 3, s[0:1]
	global_load_dwordx4 v[14:17], v[6:7], off
	global_load_dwordx4 v[18:21], v[6:7], off offset:16
	v_mul_f64 v[22:23], v[2:3], v[12:13]
	v_mul_f64 v[24:25], v[2:3], v[10:11]
	;; [unrolled: 1-line block ×4, first 2 shown]
	s_waitcnt vmcnt(1)
	v_fmac_f64_e32 v[22:23], v[4:5], v[14:15]
	v_fmac_f64_e32 v[24:25], v[4:5], v[16:17]
	s_waitcnt vmcnt(0)
	v_fmac_f64_e32 v[0:1], v[4:5], v[18:19]
	v_fmac_f64_e32 v[2:3], v[4:5], v[20:21]
	global_store_dwordx4 v[6:7], v[22:25], off
	global_store_dwordx4 v[6:7], v[0:3], off offset:16
.LBB57_23:
	s_endpgm
	.section	.rodata,"a",@progbits
	.p2align	6, 0x0
	.amdhsa_kernel _ZN9rocsparseL19gebsrmvn_4xn_kernelILj128ELj6ELj4EdEEvi20rocsparse_direction_NS_24const_host_device_scalarIT2_EEPKiS6_PKS3_S8_S4_PS3_21rocsparse_index_base_b
		.amdhsa_group_segment_fixed_size 0
		.amdhsa_private_segment_fixed_size 0
		.amdhsa_kernarg_size 72
		.amdhsa_user_sgpr_count 2
		.amdhsa_user_sgpr_dispatch_ptr 0
		.amdhsa_user_sgpr_queue_ptr 0
		.amdhsa_user_sgpr_kernarg_segment_ptr 1
		.amdhsa_user_sgpr_dispatch_id 0
		.amdhsa_user_sgpr_kernarg_preload_length 0
		.amdhsa_user_sgpr_kernarg_preload_offset 0
		.amdhsa_user_sgpr_private_segment_size 0
		.amdhsa_uses_dynamic_stack 0
		.amdhsa_enable_private_segment 0
		.amdhsa_system_sgpr_workgroup_id_x 1
		.amdhsa_system_sgpr_workgroup_id_y 0
		.amdhsa_system_sgpr_workgroup_id_z 0
		.amdhsa_system_sgpr_workgroup_info 0
		.amdhsa_system_vgpr_workitem_id 0
		.amdhsa_next_free_vgpr 74
		.amdhsa_next_free_sgpr 16
		.amdhsa_accum_offset 76
		.amdhsa_reserve_vcc 1
		.amdhsa_float_round_mode_32 0
		.amdhsa_float_round_mode_16_64 0
		.amdhsa_float_denorm_mode_32 3
		.amdhsa_float_denorm_mode_16_64 3
		.amdhsa_dx10_clamp 1
		.amdhsa_ieee_mode 1
		.amdhsa_fp16_overflow 0
		.amdhsa_tg_split 0
		.amdhsa_exception_fp_ieee_invalid_op 0
		.amdhsa_exception_fp_denorm_src 0
		.amdhsa_exception_fp_ieee_div_zero 0
		.amdhsa_exception_fp_ieee_overflow 0
		.amdhsa_exception_fp_ieee_underflow 0
		.amdhsa_exception_fp_ieee_inexact 0
		.amdhsa_exception_int_div_zero 0
	.end_amdhsa_kernel
	.section	.text._ZN9rocsparseL19gebsrmvn_4xn_kernelILj128ELj6ELj4EdEEvi20rocsparse_direction_NS_24const_host_device_scalarIT2_EEPKiS6_PKS3_S8_S4_PS3_21rocsparse_index_base_b,"axG",@progbits,_ZN9rocsparseL19gebsrmvn_4xn_kernelILj128ELj6ELj4EdEEvi20rocsparse_direction_NS_24const_host_device_scalarIT2_EEPKiS6_PKS3_S8_S4_PS3_21rocsparse_index_base_b,comdat
.Lfunc_end57:
	.size	_ZN9rocsparseL19gebsrmvn_4xn_kernelILj128ELj6ELj4EdEEvi20rocsparse_direction_NS_24const_host_device_scalarIT2_EEPKiS6_PKS3_S8_S4_PS3_21rocsparse_index_base_b, .Lfunc_end57-_ZN9rocsparseL19gebsrmvn_4xn_kernelILj128ELj6ELj4EdEEvi20rocsparse_direction_NS_24const_host_device_scalarIT2_EEPKiS6_PKS3_S8_S4_PS3_21rocsparse_index_base_b
                                        ; -- End function
	.set _ZN9rocsparseL19gebsrmvn_4xn_kernelILj128ELj6ELj4EdEEvi20rocsparse_direction_NS_24const_host_device_scalarIT2_EEPKiS6_PKS3_S8_S4_PS3_21rocsparse_index_base_b.num_vgpr, 74
	.set _ZN9rocsparseL19gebsrmvn_4xn_kernelILj128ELj6ELj4EdEEvi20rocsparse_direction_NS_24const_host_device_scalarIT2_EEPKiS6_PKS3_S8_S4_PS3_21rocsparse_index_base_b.num_agpr, 0
	.set _ZN9rocsparseL19gebsrmvn_4xn_kernelILj128ELj6ELj4EdEEvi20rocsparse_direction_NS_24const_host_device_scalarIT2_EEPKiS6_PKS3_S8_S4_PS3_21rocsparse_index_base_b.numbered_sgpr, 16
	.set _ZN9rocsparseL19gebsrmvn_4xn_kernelILj128ELj6ELj4EdEEvi20rocsparse_direction_NS_24const_host_device_scalarIT2_EEPKiS6_PKS3_S8_S4_PS3_21rocsparse_index_base_b.num_named_barrier, 0
	.set _ZN9rocsparseL19gebsrmvn_4xn_kernelILj128ELj6ELj4EdEEvi20rocsparse_direction_NS_24const_host_device_scalarIT2_EEPKiS6_PKS3_S8_S4_PS3_21rocsparse_index_base_b.private_seg_size, 0
	.set _ZN9rocsparseL19gebsrmvn_4xn_kernelILj128ELj6ELj4EdEEvi20rocsparse_direction_NS_24const_host_device_scalarIT2_EEPKiS6_PKS3_S8_S4_PS3_21rocsparse_index_base_b.uses_vcc, 1
	.set _ZN9rocsparseL19gebsrmvn_4xn_kernelILj128ELj6ELj4EdEEvi20rocsparse_direction_NS_24const_host_device_scalarIT2_EEPKiS6_PKS3_S8_S4_PS3_21rocsparse_index_base_b.uses_flat_scratch, 0
	.set _ZN9rocsparseL19gebsrmvn_4xn_kernelILj128ELj6ELj4EdEEvi20rocsparse_direction_NS_24const_host_device_scalarIT2_EEPKiS6_PKS3_S8_S4_PS3_21rocsparse_index_base_b.has_dyn_sized_stack, 0
	.set _ZN9rocsparseL19gebsrmvn_4xn_kernelILj128ELj6ELj4EdEEvi20rocsparse_direction_NS_24const_host_device_scalarIT2_EEPKiS6_PKS3_S8_S4_PS3_21rocsparse_index_base_b.has_recursion, 0
	.set _ZN9rocsparseL19gebsrmvn_4xn_kernelILj128ELj6ELj4EdEEvi20rocsparse_direction_NS_24const_host_device_scalarIT2_EEPKiS6_PKS3_S8_S4_PS3_21rocsparse_index_base_b.has_indirect_call, 0
	.section	.AMDGPU.csdata,"",@progbits
; Kernel info:
; codeLenInByte = 1824
; TotalNumSgprs: 22
; NumVgprs: 74
; NumAgprs: 0
; TotalNumVgprs: 74
; ScratchSize: 0
; MemoryBound: 1
; FloatMode: 240
; IeeeMode: 1
; LDSByteSize: 0 bytes/workgroup (compile time only)
; SGPRBlocks: 2
; VGPRBlocks: 9
; NumSGPRsForWavesPerEU: 22
; NumVGPRsForWavesPerEU: 74
; AccumOffset: 76
; Occupancy: 6
; WaveLimiterHint : 1
; COMPUTE_PGM_RSRC2:SCRATCH_EN: 0
; COMPUTE_PGM_RSRC2:USER_SGPR: 2
; COMPUTE_PGM_RSRC2:TRAP_HANDLER: 0
; COMPUTE_PGM_RSRC2:TGID_X_EN: 1
; COMPUTE_PGM_RSRC2:TGID_Y_EN: 0
; COMPUTE_PGM_RSRC2:TGID_Z_EN: 0
; COMPUTE_PGM_RSRC2:TIDIG_COMP_CNT: 0
; COMPUTE_PGM_RSRC3_GFX90A:ACCUM_OFFSET: 18
; COMPUTE_PGM_RSRC3_GFX90A:TG_SPLIT: 0
	.section	.text._ZN9rocsparseL19gebsrmvn_4xn_kernelILj128ELj6ELj8EdEEvi20rocsparse_direction_NS_24const_host_device_scalarIT2_EEPKiS6_PKS3_S8_S4_PS3_21rocsparse_index_base_b,"axG",@progbits,_ZN9rocsparseL19gebsrmvn_4xn_kernelILj128ELj6ELj8EdEEvi20rocsparse_direction_NS_24const_host_device_scalarIT2_EEPKiS6_PKS3_S8_S4_PS3_21rocsparse_index_base_b,comdat
	.globl	_ZN9rocsparseL19gebsrmvn_4xn_kernelILj128ELj6ELj8EdEEvi20rocsparse_direction_NS_24const_host_device_scalarIT2_EEPKiS6_PKS3_S8_S4_PS3_21rocsparse_index_base_b ; -- Begin function _ZN9rocsparseL19gebsrmvn_4xn_kernelILj128ELj6ELj8EdEEvi20rocsparse_direction_NS_24const_host_device_scalarIT2_EEPKiS6_PKS3_S8_S4_PS3_21rocsparse_index_base_b
	.p2align	8
	.type	_ZN9rocsparseL19gebsrmvn_4xn_kernelILj128ELj6ELj8EdEEvi20rocsparse_direction_NS_24const_host_device_scalarIT2_EEPKiS6_PKS3_S8_S4_PS3_21rocsparse_index_base_b,@function
_ZN9rocsparseL19gebsrmvn_4xn_kernelILj128ELj6ELj8EdEEvi20rocsparse_direction_NS_24const_host_device_scalarIT2_EEPKiS6_PKS3_S8_S4_PS3_21rocsparse_index_base_b: ; @_ZN9rocsparseL19gebsrmvn_4xn_kernelILj128ELj6ELj8EdEEvi20rocsparse_direction_NS_24const_host_device_scalarIT2_EEPKiS6_PKS3_S8_S4_PS3_21rocsparse_index_base_b
; %bb.0:
	s_load_dwordx2 s[12:13], s[0:1], 0x40
	s_load_dwordx2 s[8:9], s[0:1], 0x8
	;; [unrolled: 1-line block ×3, first 2 shown]
	s_waitcnt lgkmcnt(0)
	s_bitcmp1_b32 s13, 0
	s_cselect_b64 s[10:11], -1, 0
	s_xor_b64 s[6:7], s[10:11], -1
	s_and_b64 vcc, exec, s[10:11]
	v_mov_b64_e32 v[2:3], s[8:9]
	s_cbranch_vccnz .LBB58_2
; %bb.1:
	v_mov_b64_e32 v[2:3], s[8:9]
	flat_load_dwordx2 v[2:3], v[2:3]
.LBB58_2:
	s_andn2_b64 vcc, exec, s[6:7]
	v_mov_b64_e32 v[4:5], s[4:5]
	s_cbranch_vccnz .LBB58_4
; %bb.3:
	v_mov_b64_e32 v[4:5], s[4:5]
	flat_load_dwordx2 v[4:5], v[4:5]
.LBB58_4:
	s_waitcnt vmcnt(0) lgkmcnt(0)
	v_cmp_neq_f64_e32 vcc, 0, v[2:3]
	v_cmp_neq_f64_e64 s[4:5], 1.0, v[4:5]
	s_or_b64 s[4:5], vcc, s[4:5]
	s_and_saveexec_b64 s[6:7], s[4:5]
	s_cbranch_execz .LBB58_23
; %bb.5:
	s_load_dwordx2 s[14:15], s[0:1], 0x0
	v_lshrrev_b32_e32 v1, 3, v0
	v_lshl_or_b32 v6, s2, 4, v1
	s_waitcnt lgkmcnt(0)
	v_cmp_gt_i32_e32 vcc, s14, v6
	s_and_b64 exec, exec, vcc
	s_cbranch_execz .LBB58_23
; %bb.6:
	s_load_dwordx8 s[4:11], s[0:1], 0x10
	v_ashrrev_i32_e32 v7, 31, v6
	s_cmp_lg_u32 s15, 0
	s_waitcnt lgkmcnt(0)
	v_lshl_add_u64 v[8:9], v[6:7], 2, s[4:5]
	global_load_dwordx2 v[8:9], v[8:9], off
	v_and_b32_e32 v7, 7, v0
	s_waitcnt vmcnt(0)
	v_subrev_u32_e32 v0, s12, v8
	v_subrev_u32_e32 v22, s12, v9
	v_add_u32_e32 v12, v0, v7
	v_cmp_lt_i32_e64 s[2:3], v12, v22
	s_cbranch_scc0 .LBB58_12
; %bb.7:
	v_mov_b64_e32 v[8:9], 0
	v_mov_b64_e32 v[0:1], 0
	;; [unrolled: 1-line block ×4, first 2 shown]
	s_and_saveexec_b64 s[4:5], s[2:3]
	s_cbranch_execz .LBB58_11
; %bb.8:
	v_mad_u64_u32 v[16:17], s[14:15], v12, 24, 20
	v_mov_b64_e32 v[8:9], 0
	s_mov_b64 s[14:15], 0
	v_mov_b32_e32 v19, 0
	v_mov_b32_e32 v20, v12
	v_mov_b64_e32 v[0:1], 0
	v_mov_b64_e32 v[10:11], 0
	;; [unrolled: 1-line block ×3, first 2 shown]
.LBB58_9:                               ; =>This Inner Loop Header: Depth=1
	v_ashrrev_i32_e32 v21, 31, v20
	v_subrev_u32_e32 v18, 20, v16
	v_lshl_add_u64 v[40:41], v[20:21], 2, s[6:7]
	v_lshl_add_u64 v[42:43], v[18:19], 3, s[8:9]
	global_load_dword v13, v[40:41], off
	global_load_dwordx4 v[24:27], v[42:43], off offset:48
	global_load_dwordx4 v[28:31], v[42:43], off offset:32
	;; [unrolled: 1-line block ×3, first 2 shown]
	global_load_dwordx4 v[36:39], v[42:43], off
	v_mov_b32_e32 v17, v19
	v_add_u32_e32 v18, -12, v16
	v_mov_b32_e32 v57, v19
	v_lshl_add_u64 v[60:61], v[16:17], 3, s[8:9]
	v_lshl_add_u64 v[52:53], v[18:19], 3, s[8:9]
	global_load_dwordx4 v[40:43], v[60:61], off
	global_load_dwordx4 v[44:47], v[52:53], off offset:16
	global_load_dwordx4 v[48:51], v[52:53], off
	v_add_u32_e32 v20, 8, v20
	v_cmp_ge_i32_e32 vcc, v20, v22
	s_or_b64 s[14:15], vcc, s[14:15]
	s_waitcnt vmcnt(7)
	v_subrev_u32_e32 v13, s12, v13
	v_mul_lo_u32 v56, v13, 6
	v_lshl_add_u64 v[52:53], v[56:57], 3, s[10:11]
	global_load_dwordx4 v[52:55], v[52:53], off
	v_add_u32_e32 v18, 2, v56
	v_lshl_add_u64 v[58:59], v[18:19], 3, s[10:11]
	v_add_u32_e32 v18, -8, v16
	s_waitcnt vmcnt(0)
	v_fmac_f64_e32 v[8:9], v[36:37], v[52:53]
	v_fmac_f64_e32 v[14:15], v[38:39], v[52:53]
	global_load_dwordx4 v[36:39], v[58:59], off
	v_lshl_add_u64 v[58:59], v[18:19], 3, s[8:9]
	v_add_u32_e32 v18, -4, v16
	v_fmac_f64_e32 v[10:11], v[32:33], v[52:53]
	v_fmac_f64_e32 v[0:1], v[34:35], v[52:53]
	global_load_dwordx4 v[32:35], v[58:59], off offset:16
	v_fmac_f64_e32 v[8:9], v[28:29], v[54:55]
	v_fmac_f64_e32 v[14:15], v[30:31], v[54:55]
	global_load_dwordx4 v[28:31], v[58:59], off
	v_lshl_add_u64 v[58:59], v[18:19], 3, s[8:9]
	v_add_u32_e32 v18, 4, v56
	v_lshl_add_u64 v[56:57], v[18:19], 3, s[10:11]
	v_fmac_f64_e32 v[10:11], v[24:25], v[54:55]
	v_fmac_f64_e32 v[0:1], v[26:27], v[54:55]
	global_load_dwordx4 v[24:27], v[58:59], off offset:16
	global_load_dwordx4 v[52:55], v[58:59], off
	v_add_u32_e32 v16, 0xc0, v16
	global_load_dwordx4 v[56:59], v[56:57], off
	s_waitcnt vmcnt(5)
	v_fmac_f64_e32 v[8:9], v[48:49], v[36:37]
	v_fmac_f64_e32 v[14:15], v[50:51], v[36:37]
	global_load_dwordx4 v[48:51], v[60:61], off offset:16
	v_fmac_f64_e32 v[10:11], v[44:45], v[36:37]
	v_fmac_f64_e32 v[0:1], v[46:47], v[36:37]
	s_waitcnt vmcnt(5)
	v_fmac_f64_e32 v[10:11], v[32:33], v[38:39]
	v_fmac_f64_e32 v[0:1], v[34:35], v[38:39]
	s_waitcnt vmcnt(4)
	;; [unrolled: 3-line block ×3, first 2 shown]
	v_fmac_f64_e32 v[8:9], v[52:53], v[56:57]
	v_fmac_f64_e32 v[14:15], v[54:55], v[56:57]
	;; [unrolled: 1-line block ×6, first 2 shown]
	s_waitcnt vmcnt(0)
	v_fmac_f64_e32 v[10:11], v[48:49], v[58:59]
	v_fmac_f64_e32 v[0:1], v[50:51], v[58:59]
	s_andn2_b64 exec, exec, s[14:15]
	s_cbranch_execnz .LBB58_9
; %bb.10:
	s_or_b64 exec, exec, s[14:15]
.LBB58_11:
	s_or_b64 exec, exec, s[4:5]
	s_cbranch_execz .LBB58_13
	s_branch .LBB58_18
.LBB58_12:
                                        ; implicit-def: $vgpr8_vgpr9
                                        ; implicit-def: $vgpr0_vgpr1
                                        ; implicit-def: $vgpr10_vgpr11
                                        ; implicit-def: $vgpr14_vgpr15
.LBB58_13:
	v_mov_b64_e32 v[8:9], 0
	v_mov_b64_e32 v[0:1], 0
	;; [unrolled: 1-line block ×4, first 2 shown]
	s_and_saveexec_b64 s[4:5], s[2:3]
	s_cbranch_execz .LBB58_17
; %bb.14:
	v_mad_u64_u32 v[16:17], s[2:3], v12, 24, 23
	v_mov_b64_e32 v[8:9], 0
	s_mov_b64 s[2:3], 0
	v_mov_b32_e32 v19, 0
	v_mov_b64_e32 v[0:1], 0
	v_mov_b64_e32 v[10:11], 0
	;; [unrolled: 1-line block ×3, first 2 shown]
.LBB58_15:                              ; =>This Inner Loop Header: Depth=1
	v_ashrrev_i32_e32 v13, 31, v12
	v_subrev_u32_e32 v18, 23, v16
	v_add_u32_e32 v20, -11, v16
	v_add_u32_e32 v24, -5, v16
	v_mov_b32_e32 v21, v19
	v_mov_b32_e32 v25, v19
	v_lshl_add_u64 v[40:41], v[12:13], 2, s[6:7]
	v_lshl_add_u64 v[42:43], v[18:19], 3, s[8:9]
	;; [unrolled: 1-line block ×4, first 2 shown]
	global_load_dword v13, v[40:41], off
	global_load_dwordx4 v[24:27], v[42:43], off offset:48
	global_load_dwordx4 v[28:31], v[42:43], off offset:32
	global_load_dwordx4 v[32:35], v[42:43], off offset:16
	global_load_dwordx4 v[36:39], v[42:43], off
	global_load_dwordx2 v[50:51], v[20:21], off
	global_load_dwordx2 v[52:53], v[46:47], off
	v_mov_b32_e32 v17, v19
	v_add_u32_e32 v18, -10, v16
	v_mov_b32_e32 v45, v19
	v_lshl_add_u64 v[48:49], v[16:17], 3, s[8:9]
	v_lshl_add_u64 v[20:21], v[18:19], 3, s[8:9]
	v_add_u32_e32 v18, -4, v16
	global_load_dwordx2 v[46:47], v[48:49], off
	v_lshl_add_u64 v[40:41], v[18:19], 3, s[8:9]
	global_load_dwordx2 v[48:49], v[20:21], off
	global_load_dwordx2 v[54:55], v[40:41], off
	v_add_u32_e32 v12, 8, v12
	v_cmp_ge_i32_e32 vcc, v12, v22
	s_or_b64 s[2:3], vcc, s[2:3]
	s_waitcnt vmcnt(9)
	v_subrev_u32_e32 v13, s12, v13
	v_mul_lo_u32 v44, v13, 6
	v_lshl_add_u64 v[20:21], v[44:45], 3, s[10:11]
	global_load_dwordx4 v[40:43], v[20:21], off
	v_add_u32_e32 v18, 2, v44
	v_lshl_add_u64 v[20:21], v[18:19], 3, s[10:11]
	v_add_u32_e32 v18, -15, v16
	v_lshl_add_u64 v[56:57], v[18:19], 3, s[8:9]
	v_add_u32_e32 v18, -9, v16
	;; [unrolled: 2-line block ×3, first 2 shown]
	s_waitcnt vmcnt(0)
	v_fmac_f64_e32 v[8:9], v[36:37], v[40:41]
	v_lshl_add_u64 v[36:37], v[18:19], 3, s[8:9]
	v_add_u32_e32 v18, -14, v16
	v_fmac_f64_e32 v[8:9], v[38:39], v[42:43]
	v_lshl_add_u64 v[38:39], v[18:19], 3, s[8:9]
	v_add_u32_e32 v18, -8, v16
	v_lshl_add_u64 v[60:61], v[18:19], 3, s[8:9]
	v_add_u32_e32 v18, -2, v16
	v_fmac_f64_e32 v[14:15], v[24:25], v[40:41]
	v_lshl_add_u64 v[62:63], v[18:19], 3, s[8:9]
	v_add_u32_e32 v18, 4, v44
	v_fmac_f64_e32 v[14:15], v[26:27], v[42:43]
	global_load_dwordx4 v[24:27], v[20:21], off
	global_load_dwordx2 v[44:45], v[56:57], off
	global_load_dwordx2 v[64:65], v[58:59], off
	;; [unrolled: 1-line block ×6, first 2 shown]
	v_lshl_add_u64 v[20:21], v[18:19], 3, s[10:11]
	v_add_u32_e32 v18, -13, v16
	global_load_dwordx4 v[36:39], v[20:21], off
	v_lshl_add_u64 v[20:21], v[18:19], 3, s[8:9]
	v_add_u32_e32 v18, -7, v16
	v_fmac_f64_e32 v[10:11], v[50:51], v[40:41]
	v_fmac_f64_e32 v[0:1], v[52:53], v[40:41]
	v_lshl_add_u64 v[40:41], v[18:19], 3, s[8:9]
	v_add_u32_e32 v18, -1, v16
	v_fmac_f64_e32 v[10:11], v[48:49], v[42:43]
	v_fmac_f64_e32 v[0:1], v[54:55], v[42:43]
	global_load_dwordx2 v[42:43], v[20:21], off
	global_load_dwordx2 v[48:49], v[40:41], off
	v_lshl_add_u64 v[20:21], v[18:19], 3, s[8:9]
	v_add_u32_e32 v18, -12, v16
	v_lshl_add_u64 v[40:41], v[18:19], 3, s[8:9]
	v_add_u32_e32 v18, -6, v16
	global_load_dwordx2 v[50:51], v[20:21], off
	global_load_dwordx2 v[52:53], v[40:41], off
	v_lshl_add_u64 v[20:21], v[18:19], 3, s[8:9]
	global_load_dwordx2 v[20:21], v[20:21], off
	v_add_u32_e32 v16, 0xc0, v16
	s_waitcnt vmcnt(12)
	v_fmac_f64_e32 v[8:9], v[32:33], v[24:25]
	s_waitcnt vmcnt(11)
	v_fmac_f64_e32 v[14:15], v[44:45], v[24:25]
	s_waitcnt vmcnt(10)
	v_fmac_f64_e32 v[10:11], v[64:65], v[24:25]
	s_waitcnt vmcnt(9)
	v_fmac_f64_e32 v[0:1], v[66:67], v[24:25]
	v_fmac_f64_e32 v[8:9], v[34:35], v[26:27]
	s_waitcnt vmcnt(8)
	v_fmac_f64_e32 v[14:15], v[68:69], v[26:27]
	s_waitcnt vmcnt(7)
	v_fmac_f64_e32 v[10:11], v[70:71], v[26:27]
	s_waitcnt vmcnt(6)
	v_fmac_f64_e32 v[0:1], v[72:73], v[26:27]
	s_waitcnt vmcnt(5)
	v_fmac_f64_e32 v[8:9], v[28:29], v[36:37]
	v_fmac_f64_e32 v[8:9], v[30:31], v[38:39]
	;; [unrolled: 9-line block ×3, first 2 shown]
	s_waitcnt vmcnt(0)
	v_fmac_f64_e32 v[10:11], v[20:21], v[38:39]
	s_andn2_b64 exec, exec, s[2:3]
	s_cbranch_execnz .LBB58_15
; %bb.16:
	s_or_b64 exec, exec, s[2:3]
.LBB58_17:
	s_or_b64 exec, exec, s[4:5]
.LBB58_18:
	v_mov_b32_dpp v18, v10 row_shr:1 row_mask:0xf bank_mask:0xf
	v_mov_b32_dpp v19, v11 row_shr:1 row_mask:0xf bank_mask:0xf
	v_add_f64 v[10:11], v[10:11], v[18:19]
	v_mov_b32_dpp v12, v8 row_shr:1 row_mask:0xf bank_mask:0xf
	v_mov_b32_dpp v13, v9 row_shr:1 row_mask:0xf bank_mask:0xf
	;; [unrolled: 1-line block ×6, first 2 shown]
	v_add_f64 v[18:19], v[10:11], v[18:19]
	v_mov_b32_dpp v10, v0 row_shr:1 row_mask:0xf bank_mask:0xf
	v_mov_b32_dpp v11, v1 row_shr:1 row_mask:0xf bank_mask:0xf
	v_add_f64 v[8:9], v[8:9], v[12:13]
	v_add_f64 v[14:15], v[14:15], v[16:17]
	;; [unrolled: 1-line block ×3, first 2 shown]
	v_mov_b32_dpp v12, v8 row_shr:2 row_mask:0xf bank_mask:0xf
	v_mov_b32_dpp v13, v9 row_shr:2 row_mask:0xf bank_mask:0xf
	;; [unrolled: 1-line block ×6, first 2 shown]
	v_add_f64 v[8:9], v[8:9], v[12:13]
	v_add_f64 v[14:15], v[14:15], v[16:17]
	;; [unrolled: 1-line block ×3, first 2 shown]
	v_mov_b32_dpp v12, v8 row_shr:4 row_mask:0xf bank_mask:0xe
	v_mov_b32_dpp v13, v9 row_shr:4 row_mask:0xf bank_mask:0xe
	v_mov_b32_dpp v16, v14 row_shr:4 row_mask:0xf bank_mask:0xe
	v_mov_b32_dpp v17, v15 row_shr:4 row_mask:0xf bank_mask:0xe
	v_mov_b32_dpp v20, v18 row_shr:4 row_mask:0xf bank_mask:0xe
	v_mov_b32_dpp v21, v19 row_shr:4 row_mask:0xf bank_mask:0xe
	v_mov_b32_dpp v24, v22 row_shr:4 row_mask:0xf bank_mask:0xe
	v_mov_b32_dpp v25, v23 row_shr:4 row_mask:0xf bank_mask:0xe
	v_cmp_eq_u32_e32 vcc, 7, v7
	s_and_b64 exec, exec, vcc
	s_cbranch_execz .LBB58_23
; %bb.19:
	s_load_dwordx2 s[0:1], s[0:1], 0x38
	v_add_f64 v[12:13], v[8:9], v[12:13]
	v_add_f64 v[10:11], v[14:15], v[16:17]
	;; [unrolled: 1-line block ×4, first 2 shown]
	v_cmp_eq_f64_e32 vcc, 0, v[4:5]
	s_and_saveexec_b64 s[2:3], vcc
	s_xor_b64 s[2:3], exec, s[2:3]
	s_cbranch_execz .LBB58_21
; %bb.20:
	v_lshlrev_b32_e32 v6, 2, v6
	v_ashrrev_i32_e32 v7, 31, v6
	v_mul_f64 v[4:5], v[2:3], v[12:13]
	s_waitcnt lgkmcnt(0)
	v_lshl_add_u64 v[12:13], v[6:7], 3, s[0:1]
	v_mul_f64 v[6:7], v[2:3], v[10:11]
	v_mul_f64 v[0:1], v[2:3], v[0:1]
	;; [unrolled: 1-line block ×3, first 2 shown]
	global_store_dwordx4 v[12:13], v[4:7], off
	global_store_dwordx4 v[12:13], v[0:3], off offset:16
                                        ; implicit-def: $vgpr6
                                        ; implicit-def: $vgpr2_vgpr3
                                        ; implicit-def: $vgpr12_vgpr13
                                        ; implicit-def: $vgpr4_vgpr5
                                        ; implicit-def: $vgpr10_vgpr11
                                        ; implicit-def: $vgpr0_vgpr1
                                        ; implicit-def: $vgpr8_vgpr9
.LBB58_21:
	s_andn2_saveexec_b64 s[2:3], s[2:3]
	s_cbranch_execz .LBB58_23
; %bb.22:
	v_lshlrev_b32_e32 v6, 2, v6
	v_ashrrev_i32_e32 v7, 31, v6
	s_waitcnt lgkmcnt(0)
	v_lshl_add_u64 v[6:7], v[6:7], 3, s[0:1]
	global_load_dwordx4 v[14:17], v[6:7], off
	global_load_dwordx4 v[18:21], v[6:7], off offset:16
	v_mul_f64 v[22:23], v[2:3], v[12:13]
	v_mul_f64 v[24:25], v[2:3], v[10:11]
	;; [unrolled: 1-line block ×4, first 2 shown]
	s_waitcnt vmcnt(1)
	v_fmac_f64_e32 v[22:23], v[4:5], v[14:15]
	v_fmac_f64_e32 v[24:25], v[4:5], v[16:17]
	s_waitcnt vmcnt(0)
	v_fmac_f64_e32 v[0:1], v[4:5], v[18:19]
	v_fmac_f64_e32 v[2:3], v[4:5], v[20:21]
	global_store_dwordx4 v[6:7], v[22:25], off
	global_store_dwordx4 v[6:7], v[0:3], off offset:16
.LBB58_23:
	s_endpgm
	.section	.rodata,"a",@progbits
	.p2align	6, 0x0
	.amdhsa_kernel _ZN9rocsparseL19gebsrmvn_4xn_kernelILj128ELj6ELj8EdEEvi20rocsparse_direction_NS_24const_host_device_scalarIT2_EEPKiS6_PKS3_S8_S4_PS3_21rocsparse_index_base_b
		.amdhsa_group_segment_fixed_size 0
		.amdhsa_private_segment_fixed_size 0
		.amdhsa_kernarg_size 72
		.amdhsa_user_sgpr_count 2
		.amdhsa_user_sgpr_dispatch_ptr 0
		.amdhsa_user_sgpr_queue_ptr 0
		.amdhsa_user_sgpr_kernarg_segment_ptr 1
		.amdhsa_user_sgpr_dispatch_id 0
		.amdhsa_user_sgpr_kernarg_preload_length 0
		.amdhsa_user_sgpr_kernarg_preload_offset 0
		.amdhsa_user_sgpr_private_segment_size 0
		.amdhsa_uses_dynamic_stack 0
		.amdhsa_enable_private_segment 0
		.amdhsa_system_sgpr_workgroup_id_x 1
		.amdhsa_system_sgpr_workgroup_id_y 0
		.amdhsa_system_sgpr_workgroup_id_z 0
		.amdhsa_system_sgpr_workgroup_info 0
		.amdhsa_system_vgpr_workitem_id 0
		.amdhsa_next_free_vgpr 74
		.amdhsa_next_free_sgpr 16
		.amdhsa_accum_offset 76
		.amdhsa_reserve_vcc 1
		.amdhsa_float_round_mode_32 0
		.amdhsa_float_round_mode_16_64 0
		.amdhsa_float_denorm_mode_32 3
		.amdhsa_float_denorm_mode_16_64 3
		.amdhsa_dx10_clamp 1
		.amdhsa_ieee_mode 1
		.amdhsa_fp16_overflow 0
		.amdhsa_tg_split 0
		.amdhsa_exception_fp_ieee_invalid_op 0
		.amdhsa_exception_fp_denorm_src 0
		.amdhsa_exception_fp_ieee_div_zero 0
		.amdhsa_exception_fp_ieee_overflow 0
		.amdhsa_exception_fp_ieee_underflow 0
		.amdhsa_exception_fp_ieee_inexact 0
		.amdhsa_exception_int_div_zero 0
	.end_amdhsa_kernel
	.section	.text._ZN9rocsparseL19gebsrmvn_4xn_kernelILj128ELj6ELj8EdEEvi20rocsparse_direction_NS_24const_host_device_scalarIT2_EEPKiS6_PKS3_S8_S4_PS3_21rocsparse_index_base_b,"axG",@progbits,_ZN9rocsparseL19gebsrmvn_4xn_kernelILj128ELj6ELj8EdEEvi20rocsparse_direction_NS_24const_host_device_scalarIT2_EEPKiS6_PKS3_S8_S4_PS3_21rocsparse_index_base_b,comdat
.Lfunc_end58:
	.size	_ZN9rocsparseL19gebsrmvn_4xn_kernelILj128ELj6ELj8EdEEvi20rocsparse_direction_NS_24const_host_device_scalarIT2_EEPKiS6_PKS3_S8_S4_PS3_21rocsparse_index_base_b, .Lfunc_end58-_ZN9rocsparseL19gebsrmvn_4xn_kernelILj128ELj6ELj8EdEEvi20rocsparse_direction_NS_24const_host_device_scalarIT2_EEPKiS6_PKS3_S8_S4_PS3_21rocsparse_index_base_b
                                        ; -- End function
	.set _ZN9rocsparseL19gebsrmvn_4xn_kernelILj128ELj6ELj8EdEEvi20rocsparse_direction_NS_24const_host_device_scalarIT2_EEPKiS6_PKS3_S8_S4_PS3_21rocsparse_index_base_b.num_vgpr, 74
	.set _ZN9rocsparseL19gebsrmvn_4xn_kernelILj128ELj6ELj8EdEEvi20rocsparse_direction_NS_24const_host_device_scalarIT2_EEPKiS6_PKS3_S8_S4_PS3_21rocsparse_index_base_b.num_agpr, 0
	.set _ZN9rocsparseL19gebsrmvn_4xn_kernelILj128ELj6ELj8EdEEvi20rocsparse_direction_NS_24const_host_device_scalarIT2_EEPKiS6_PKS3_S8_S4_PS3_21rocsparse_index_base_b.numbered_sgpr, 16
	.set _ZN9rocsparseL19gebsrmvn_4xn_kernelILj128ELj6ELj8EdEEvi20rocsparse_direction_NS_24const_host_device_scalarIT2_EEPKiS6_PKS3_S8_S4_PS3_21rocsparse_index_base_b.num_named_barrier, 0
	.set _ZN9rocsparseL19gebsrmvn_4xn_kernelILj128ELj6ELj8EdEEvi20rocsparse_direction_NS_24const_host_device_scalarIT2_EEPKiS6_PKS3_S8_S4_PS3_21rocsparse_index_base_b.private_seg_size, 0
	.set _ZN9rocsparseL19gebsrmvn_4xn_kernelILj128ELj6ELj8EdEEvi20rocsparse_direction_NS_24const_host_device_scalarIT2_EEPKiS6_PKS3_S8_S4_PS3_21rocsparse_index_base_b.uses_vcc, 1
	.set _ZN9rocsparseL19gebsrmvn_4xn_kernelILj128ELj6ELj8EdEEvi20rocsparse_direction_NS_24const_host_device_scalarIT2_EEPKiS6_PKS3_S8_S4_PS3_21rocsparse_index_base_b.uses_flat_scratch, 0
	.set _ZN9rocsparseL19gebsrmvn_4xn_kernelILj128ELj6ELj8EdEEvi20rocsparse_direction_NS_24const_host_device_scalarIT2_EEPKiS6_PKS3_S8_S4_PS3_21rocsparse_index_base_b.has_dyn_sized_stack, 0
	.set _ZN9rocsparseL19gebsrmvn_4xn_kernelILj128ELj6ELj8EdEEvi20rocsparse_direction_NS_24const_host_device_scalarIT2_EEPKiS6_PKS3_S8_S4_PS3_21rocsparse_index_base_b.has_recursion, 0
	.set _ZN9rocsparseL19gebsrmvn_4xn_kernelILj128ELj6ELj8EdEEvi20rocsparse_direction_NS_24const_host_device_scalarIT2_EEPKiS6_PKS3_S8_S4_PS3_21rocsparse_index_base_b.has_indirect_call, 0
	.section	.AMDGPU.csdata,"",@progbits
; Kernel info:
; codeLenInByte = 1920
; TotalNumSgprs: 22
; NumVgprs: 74
; NumAgprs: 0
; TotalNumVgprs: 74
; ScratchSize: 0
; MemoryBound: 1
; FloatMode: 240
; IeeeMode: 1
; LDSByteSize: 0 bytes/workgroup (compile time only)
; SGPRBlocks: 2
; VGPRBlocks: 9
; NumSGPRsForWavesPerEU: 22
; NumVGPRsForWavesPerEU: 74
; AccumOffset: 76
; Occupancy: 6
; WaveLimiterHint : 1
; COMPUTE_PGM_RSRC2:SCRATCH_EN: 0
; COMPUTE_PGM_RSRC2:USER_SGPR: 2
; COMPUTE_PGM_RSRC2:TRAP_HANDLER: 0
; COMPUTE_PGM_RSRC2:TGID_X_EN: 1
; COMPUTE_PGM_RSRC2:TGID_Y_EN: 0
; COMPUTE_PGM_RSRC2:TGID_Z_EN: 0
; COMPUTE_PGM_RSRC2:TIDIG_COMP_CNT: 0
; COMPUTE_PGM_RSRC3_GFX90A:ACCUM_OFFSET: 18
; COMPUTE_PGM_RSRC3_GFX90A:TG_SPLIT: 0
	.section	.text._ZN9rocsparseL19gebsrmvn_4xn_kernelILj128ELj6ELj16EdEEvi20rocsparse_direction_NS_24const_host_device_scalarIT2_EEPKiS6_PKS3_S8_S4_PS3_21rocsparse_index_base_b,"axG",@progbits,_ZN9rocsparseL19gebsrmvn_4xn_kernelILj128ELj6ELj16EdEEvi20rocsparse_direction_NS_24const_host_device_scalarIT2_EEPKiS6_PKS3_S8_S4_PS3_21rocsparse_index_base_b,comdat
	.globl	_ZN9rocsparseL19gebsrmvn_4xn_kernelILj128ELj6ELj16EdEEvi20rocsparse_direction_NS_24const_host_device_scalarIT2_EEPKiS6_PKS3_S8_S4_PS3_21rocsparse_index_base_b ; -- Begin function _ZN9rocsparseL19gebsrmvn_4xn_kernelILj128ELj6ELj16EdEEvi20rocsparse_direction_NS_24const_host_device_scalarIT2_EEPKiS6_PKS3_S8_S4_PS3_21rocsparse_index_base_b
	.p2align	8
	.type	_ZN9rocsparseL19gebsrmvn_4xn_kernelILj128ELj6ELj16EdEEvi20rocsparse_direction_NS_24const_host_device_scalarIT2_EEPKiS6_PKS3_S8_S4_PS3_21rocsparse_index_base_b,@function
_ZN9rocsparseL19gebsrmvn_4xn_kernelILj128ELj6ELj16EdEEvi20rocsparse_direction_NS_24const_host_device_scalarIT2_EEPKiS6_PKS3_S8_S4_PS3_21rocsparse_index_base_b: ; @_ZN9rocsparseL19gebsrmvn_4xn_kernelILj128ELj6ELj16EdEEvi20rocsparse_direction_NS_24const_host_device_scalarIT2_EEPKiS6_PKS3_S8_S4_PS3_21rocsparse_index_base_b
; %bb.0:
	s_load_dwordx2 s[12:13], s[0:1], 0x40
	s_load_dwordx2 s[8:9], s[0:1], 0x8
	;; [unrolled: 1-line block ×3, first 2 shown]
	s_waitcnt lgkmcnt(0)
	s_bitcmp1_b32 s13, 0
	s_cselect_b64 s[10:11], -1, 0
	s_xor_b64 s[6:7], s[10:11], -1
	s_and_b64 vcc, exec, s[10:11]
	v_mov_b64_e32 v[2:3], s[8:9]
	s_cbranch_vccnz .LBB59_2
; %bb.1:
	v_mov_b64_e32 v[2:3], s[8:9]
	flat_load_dwordx2 v[2:3], v[2:3]
.LBB59_2:
	s_andn2_b64 vcc, exec, s[6:7]
	v_mov_b64_e32 v[4:5], s[4:5]
	s_cbranch_vccnz .LBB59_4
; %bb.3:
	v_mov_b64_e32 v[4:5], s[4:5]
	flat_load_dwordx2 v[4:5], v[4:5]
.LBB59_4:
	s_waitcnt vmcnt(0) lgkmcnt(0)
	v_cmp_neq_f64_e32 vcc, 0, v[2:3]
	v_cmp_neq_f64_e64 s[4:5], 1.0, v[4:5]
	s_or_b64 s[4:5], vcc, s[4:5]
	s_and_saveexec_b64 s[6:7], s[4:5]
	s_cbranch_execz .LBB59_23
; %bb.5:
	s_load_dwordx2 s[14:15], s[0:1], 0x0
	v_lshrrev_b32_e32 v1, 4, v0
	v_lshl_or_b32 v6, s2, 3, v1
	s_waitcnt lgkmcnt(0)
	v_cmp_gt_i32_e32 vcc, s14, v6
	s_and_b64 exec, exec, vcc
	s_cbranch_execz .LBB59_23
; %bb.6:
	s_load_dwordx8 s[4:11], s[0:1], 0x10
	v_ashrrev_i32_e32 v7, 31, v6
	s_cmp_lg_u32 s15, 0
	s_waitcnt lgkmcnt(0)
	v_lshl_add_u64 v[8:9], v[6:7], 2, s[4:5]
	global_load_dwordx2 v[8:9], v[8:9], off
	v_and_b32_e32 v7, 15, v0
	s_waitcnt vmcnt(0)
	v_subrev_u32_e32 v0, s12, v8
	v_subrev_u32_e32 v22, s12, v9
	v_add_u32_e32 v14, v0, v7
	v_cmp_lt_i32_e64 s[2:3], v14, v22
	s_cbranch_scc0 .LBB59_12
; %bb.7:
	v_mov_b64_e32 v[10:11], 0
	v_mov_b64_e32 v[0:1], 0
	;; [unrolled: 1-line block ×4, first 2 shown]
	s_and_saveexec_b64 s[4:5], s[2:3]
	s_cbranch_execz .LBB59_11
; %bb.8:
	v_mad_u64_u32 v[16:17], s[14:15], v14, 24, 20
	v_mov_b64_e32 v[10:11], 0
	s_mov_b64 s[14:15], 0
	v_mov_b32_e32 v19, 0
	v_mov_b32_e32 v20, v14
	v_mov_b64_e32 v[0:1], 0
	v_mov_b64_e32 v[8:9], 0
	v_mov_b64_e32 v[12:13], 0
.LBB59_9:                               ; =>This Inner Loop Header: Depth=1
	v_ashrrev_i32_e32 v21, 31, v20
	v_subrev_u32_e32 v18, 20, v16
	v_lshl_add_u64 v[40:41], v[20:21], 2, s[6:7]
	v_lshl_add_u64 v[42:43], v[18:19], 3, s[8:9]
	global_load_dword v15, v[40:41], off
	global_load_dwordx4 v[24:27], v[42:43], off offset:48
	global_load_dwordx4 v[28:31], v[42:43], off offset:32
	;; [unrolled: 1-line block ×3, first 2 shown]
	global_load_dwordx4 v[36:39], v[42:43], off
	v_mov_b32_e32 v17, v19
	v_add_u32_e32 v18, -12, v16
	v_mov_b32_e32 v57, v19
	v_lshl_add_u64 v[60:61], v[16:17], 3, s[8:9]
	v_lshl_add_u64 v[52:53], v[18:19], 3, s[8:9]
	global_load_dwordx4 v[40:43], v[60:61], off
	global_load_dwordx4 v[44:47], v[52:53], off offset:16
	global_load_dwordx4 v[48:51], v[52:53], off
	v_add_u32_e32 v20, 16, v20
	v_cmp_ge_i32_e32 vcc, v20, v22
	s_or_b64 s[14:15], vcc, s[14:15]
	s_waitcnt vmcnt(7)
	v_subrev_u32_e32 v15, s12, v15
	v_mul_lo_u32 v56, v15, 6
	v_lshl_add_u64 v[52:53], v[56:57], 3, s[10:11]
	global_load_dwordx4 v[52:55], v[52:53], off
	v_add_u32_e32 v18, 2, v56
	v_lshl_add_u64 v[58:59], v[18:19], 3, s[10:11]
	v_add_u32_e32 v18, -8, v16
	s_waitcnt vmcnt(0)
	v_fmac_f64_e32 v[10:11], v[36:37], v[52:53]
	v_fmac_f64_e32 v[12:13], v[38:39], v[52:53]
	global_load_dwordx4 v[36:39], v[58:59], off
	v_lshl_add_u64 v[58:59], v[18:19], 3, s[8:9]
	v_add_u32_e32 v18, -4, v16
	v_fmac_f64_e32 v[8:9], v[32:33], v[52:53]
	v_fmac_f64_e32 v[0:1], v[34:35], v[52:53]
	global_load_dwordx4 v[32:35], v[58:59], off offset:16
	v_fmac_f64_e32 v[10:11], v[28:29], v[54:55]
	v_fmac_f64_e32 v[12:13], v[30:31], v[54:55]
	global_load_dwordx4 v[28:31], v[58:59], off
	v_lshl_add_u64 v[58:59], v[18:19], 3, s[8:9]
	v_add_u32_e32 v18, 4, v56
	v_lshl_add_u64 v[56:57], v[18:19], 3, s[10:11]
	v_fmac_f64_e32 v[8:9], v[24:25], v[54:55]
	v_fmac_f64_e32 v[0:1], v[26:27], v[54:55]
	global_load_dwordx4 v[24:27], v[58:59], off offset:16
	global_load_dwordx4 v[52:55], v[58:59], off
	v_add_u32_e32 v16, 0x180, v16
	global_load_dwordx4 v[56:59], v[56:57], off
	s_waitcnt vmcnt(5)
	v_fmac_f64_e32 v[10:11], v[48:49], v[36:37]
	v_fmac_f64_e32 v[12:13], v[50:51], v[36:37]
	global_load_dwordx4 v[48:51], v[60:61], off offset:16
	v_fmac_f64_e32 v[8:9], v[44:45], v[36:37]
	v_fmac_f64_e32 v[0:1], v[46:47], v[36:37]
	s_waitcnt vmcnt(5)
	v_fmac_f64_e32 v[8:9], v[32:33], v[38:39]
	v_fmac_f64_e32 v[0:1], v[34:35], v[38:39]
	s_waitcnt vmcnt(4)
	;; [unrolled: 3-line block ×3, first 2 shown]
	v_fmac_f64_e32 v[10:11], v[52:53], v[56:57]
	v_fmac_f64_e32 v[12:13], v[54:55], v[56:57]
	;; [unrolled: 1-line block ×6, first 2 shown]
	s_waitcnt vmcnt(0)
	v_fmac_f64_e32 v[8:9], v[48:49], v[58:59]
	v_fmac_f64_e32 v[0:1], v[50:51], v[58:59]
	s_andn2_b64 exec, exec, s[14:15]
	s_cbranch_execnz .LBB59_9
; %bb.10:
	s_or_b64 exec, exec, s[14:15]
.LBB59_11:
	s_or_b64 exec, exec, s[4:5]
	s_cbranch_execz .LBB59_13
	s_branch .LBB59_18
.LBB59_12:
                                        ; implicit-def: $vgpr10_vgpr11
                                        ; implicit-def: $vgpr0_vgpr1
                                        ; implicit-def: $vgpr8_vgpr9
                                        ; implicit-def: $vgpr12_vgpr13
.LBB59_13:
	v_mov_b64_e32 v[10:11], 0
	v_mov_b64_e32 v[0:1], 0
	;; [unrolled: 1-line block ×4, first 2 shown]
	s_and_saveexec_b64 s[4:5], s[2:3]
	s_cbranch_execz .LBB59_17
; %bb.14:
	v_mad_u64_u32 v[16:17], s[2:3], v14, 24, 23
	v_mov_b64_e32 v[10:11], 0
	s_mov_b64 s[2:3], 0
	v_mov_b32_e32 v19, 0
	v_mov_b64_e32 v[0:1], 0
	v_mov_b64_e32 v[8:9], 0
	v_mov_b64_e32 v[12:13], 0
.LBB59_15:                              ; =>This Inner Loop Header: Depth=1
	v_ashrrev_i32_e32 v15, 31, v14
	v_subrev_u32_e32 v18, 23, v16
	v_add_u32_e32 v20, -11, v16
	v_add_u32_e32 v24, -5, v16
	v_mov_b32_e32 v21, v19
	v_mov_b32_e32 v25, v19
	v_lshl_add_u64 v[40:41], v[14:15], 2, s[6:7]
	v_lshl_add_u64 v[42:43], v[18:19], 3, s[8:9]
	;; [unrolled: 1-line block ×4, first 2 shown]
	global_load_dword v15, v[40:41], off
	global_load_dwordx4 v[24:27], v[42:43], off offset:48
	global_load_dwordx4 v[28:31], v[42:43], off offset:32
	;; [unrolled: 1-line block ×3, first 2 shown]
	global_load_dwordx4 v[36:39], v[42:43], off
	global_load_dwordx2 v[50:51], v[20:21], off
	global_load_dwordx2 v[52:53], v[46:47], off
	v_mov_b32_e32 v17, v19
	v_add_u32_e32 v18, -10, v16
	v_mov_b32_e32 v45, v19
	v_lshl_add_u64 v[48:49], v[16:17], 3, s[8:9]
	v_lshl_add_u64 v[20:21], v[18:19], 3, s[8:9]
	v_add_u32_e32 v18, -4, v16
	global_load_dwordx2 v[46:47], v[48:49], off
	v_lshl_add_u64 v[40:41], v[18:19], 3, s[8:9]
	global_load_dwordx2 v[48:49], v[20:21], off
	global_load_dwordx2 v[54:55], v[40:41], off
	v_add_u32_e32 v14, 16, v14
	v_cmp_ge_i32_e32 vcc, v14, v22
	s_or_b64 s[2:3], vcc, s[2:3]
	s_waitcnt vmcnt(9)
	v_subrev_u32_e32 v15, s12, v15
	v_mul_lo_u32 v44, v15, 6
	v_lshl_add_u64 v[20:21], v[44:45], 3, s[10:11]
	global_load_dwordx4 v[40:43], v[20:21], off
	v_add_u32_e32 v18, 2, v44
	v_lshl_add_u64 v[20:21], v[18:19], 3, s[10:11]
	v_add_u32_e32 v18, -15, v16
	v_lshl_add_u64 v[56:57], v[18:19], 3, s[8:9]
	v_add_u32_e32 v18, -9, v16
	v_lshl_add_u64 v[58:59], v[18:19], 3, s[8:9]
	v_add_u32_e32 v18, -3, v16
	s_waitcnt vmcnt(0)
	v_fmac_f64_e32 v[10:11], v[36:37], v[40:41]
	v_lshl_add_u64 v[36:37], v[18:19], 3, s[8:9]
	v_add_u32_e32 v18, -14, v16
	v_fmac_f64_e32 v[10:11], v[38:39], v[42:43]
	v_lshl_add_u64 v[38:39], v[18:19], 3, s[8:9]
	v_add_u32_e32 v18, -8, v16
	v_lshl_add_u64 v[60:61], v[18:19], 3, s[8:9]
	v_add_u32_e32 v18, -2, v16
	v_fmac_f64_e32 v[12:13], v[24:25], v[40:41]
	v_lshl_add_u64 v[62:63], v[18:19], 3, s[8:9]
	v_add_u32_e32 v18, 4, v44
	v_fmac_f64_e32 v[12:13], v[26:27], v[42:43]
	global_load_dwordx4 v[24:27], v[20:21], off
	global_load_dwordx2 v[44:45], v[56:57], off
	global_load_dwordx2 v[64:65], v[58:59], off
	;; [unrolled: 1-line block ×6, first 2 shown]
	v_lshl_add_u64 v[20:21], v[18:19], 3, s[10:11]
	v_add_u32_e32 v18, -13, v16
	global_load_dwordx4 v[36:39], v[20:21], off
	v_lshl_add_u64 v[20:21], v[18:19], 3, s[8:9]
	v_add_u32_e32 v18, -7, v16
	v_fmac_f64_e32 v[8:9], v[50:51], v[40:41]
	v_fmac_f64_e32 v[0:1], v[52:53], v[40:41]
	v_lshl_add_u64 v[40:41], v[18:19], 3, s[8:9]
	v_add_u32_e32 v18, -1, v16
	v_fmac_f64_e32 v[8:9], v[48:49], v[42:43]
	v_fmac_f64_e32 v[0:1], v[54:55], v[42:43]
	global_load_dwordx2 v[42:43], v[20:21], off
	global_load_dwordx2 v[48:49], v[40:41], off
	v_lshl_add_u64 v[20:21], v[18:19], 3, s[8:9]
	v_add_u32_e32 v18, -12, v16
	v_lshl_add_u64 v[40:41], v[18:19], 3, s[8:9]
	v_add_u32_e32 v18, -6, v16
	global_load_dwordx2 v[50:51], v[20:21], off
	global_load_dwordx2 v[52:53], v[40:41], off
	v_lshl_add_u64 v[20:21], v[18:19], 3, s[8:9]
	global_load_dwordx2 v[20:21], v[20:21], off
	v_add_u32_e32 v16, 0x180, v16
	s_waitcnt vmcnt(12)
	v_fmac_f64_e32 v[10:11], v[32:33], v[24:25]
	s_waitcnt vmcnt(11)
	v_fmac_f64_e32 v[12:13], v[44:45], v[24:25]
	s_waitcnt vmcnt(10)
	v_fmac_f64_e32 v[8:9], v[64:65], v[24:25]
	s_waitcnt vmcnt(9)
	v_fmac_f64_e32 v[0:1], v[66:67], v[24:25]
	v_fmac_f64_e32 v[10:11], v[34:35], v[26:27]
	s_waitcnt vmcnt(8)
	v_fmac_f64_e32 v[12:13], v[68:69], v[26:27]
	s_waitcnt vmcnt(7)
	v_fmac_f64_e32 v[8:9], v[70:71], v[26:27]
	s_waitcnt vmcnt(6)
	v_fmac_f64_e32 v[0:1], v[72:73], v[26:27]
	s_waitcnt vmcnt(5)
	v_fmac_f64_e32 v[10:11], v[28:29], v[36:37]
	v_fmac_f64_e32 v[10:11], v[30:31], v[38:39]
	;; [unrolled: 9-line block ×3, first 2 shown]
	s_waitcnt vmcnt(0)
	v_fmac_f64_e32 v[8:9], v[20:21], v[38:39]
	s_andn2_b64 exec, exec, s[2:3]
	s_cbranch_execnz .LBB59_15
; %bb.16:
	s_or_b64 exec, exec, s[2:3]
.LBB59_17:
	s_or_b64 exec, exec, s[4:5]
.LBB59_18:
	v_mov_b32_dpp v16, v12 row_shr:1 row_mask:0xf bank_mask:0xf
	v_mov_b32_dpp v17, v13 row_shr:1 row_mask:0xf bank_mask:0xf
	v_add_f64 v[12:13], v[12:13], v[16:17]
	v_mov_b32_dpp v14, v10 row_shr:1 row_mask:0xf bank_mask:0xf
	v_mov_b32_dpp v15, v11 row_shr:1 row_mask:0xf bank_mask:0xf
	;; [unrolled: 1-line block ×4, first 2 shown]
	v_add_f64 v[12:13], v[12:13], v[16:17]
	v_add_f64 v[10:11], v[10:11], v[14:15]
	v_cmp_eq_u32_e32 vcc, 15, v7
	v_mov_b32_dpp v16, v12 row_shr:4 row_mask:0xf bank_mask:0xe
	v_mov_b32_dpp v17, v13 row_shr:4 row_mask:0xf bank_mask:0xe
	v_add_f64 v[16:17], v[12:13], v[16:17]
	v_mov_b32_dpp v12, v8 row_shr:1 row_mask:0xf bank_mask:0xf
	v_mov_b32_dpp v13, v9 row_shr:1 row_mask:0xf bank_mask:0xf
	v_add_f64 v[8:9], v[8:9], v[12:13]
	v_mov_b32_dpp v14, v10 row_shr:2 row_mask:0xf bank_mask:0xf
	v_mov_b32_dpp v15, v11 row_shr:2 row_mask:0xf bank_mask:0xf
	;; [unrolled: 1-line block ×4, first 2 shown]
	v_add_f64 v[8:9], v[8:9], v[12:13]
	v_add_f64 v[10:11], v[10:11], v[14:15]
	v_mov_b32_dpp v18, v16 row_shr:8 row_mask:0xf bank_mask:0xc
	v_mov_b32_dpp v12, v8 row_shr:4 row_mask:0xf bank_mask:0xe
	;; [unrolled: 1-line block ×3, first 2 shown]
	v_add_f64 v[8:9], v[8:9], v[12:13]
	v_mov_b32_dpp v12, v0 row_shr:1 row_mask:0xf bank_mask:0xf
	v_mov_b32_dpp v13, v1 row_shr:1 row_mask:0xf bank_mask:0xf
	v_add_f64 v[0:1], v[0:1], v[12:13]
	v_mov_b32_dpp v14, v10 row_shr:4 row_mask:0xf bank_mask:0xe
	v_mov_b32_dpp v15, v11 row_shr:4 row_mask:0xf bank_mask:0xe
	;; [unrolled: 1-line block ×4, first 2 shown]
	v_add_f64 v[0:1], v[0:1], v[12:13]
	v_add_f64 v[10:11], v[10:11], v[14:15]
	v_mov_b32_dpp v19, v17 row_shr:8 row_mask:0xf bank_mask:0xc
	v_mov_b32_dpp v12, v0 row_shr:4 row_mask:0xf bank_mask:0xe
	;; [unrolled: 1-line block ×3, first 2 shown]
	v_add_f64 v[22:23], v[0:1], v[12:13]
	v_mov_b32_dpp v14, v10 row_shr:8 row_mask:0xf bank_mask:0xc
	v_mov_b32_dpp v15, v11 row_shr:8 row_mask:0xf bank_mask:0xc
	;; [unrolled: 1-line block ×6, first 2 shown]
	s_and_b64 exec, exec, vcc
	s_cbranch_execz .LBB59_23
; %bb.19:
	s_load_dwordx2 s[0:1], s[0:1], 0x38
	v_add_f64 v[12:13], v[10:11], v[14:15]
	v_add_f64 v[10:11], v[16:17], v[18:19]
	;; [unrolled: 1-line block ×4, first 2 shown]
	v_cmp_eq_f64_e32 vcc, 0, v[4:5]
	s_and_saveexec_b64 s[2:3], vcc
	s_xor_b64 s[2:3], exec, s[2:3]
	s_cbranch_execz .LBB59_21
; %bb.20:
	v_lshlrev_b32_e32 v6, 2, v6
	v_ashrrev_i32_e32 v7, 31, v6
	v_mul_f64 v[4:5], v[2:3], v[12:13]
	s_waitcnt lgkmcnt(0)
	v_lshl_add_u64 v[12:13], v[6:7], 3, s[0:1]
	v_mul_f64 v[6:7], v[2:3], v[10:11]
	v_mul_f64 v[0:1], v[2:3], v[0:1]
	;; [unrolled: 1-line block ×3, first 2 shown]
	global_store_dwordx4 v[12:13], v[4:7], off
	global_store_dwordx4 v[12:13], v[0:3], off offset:16
                                        ; implicit-def: $vgpr6
                                        ; implicit-def: $vgpr2_vgpr3
                                        ; implicit-def: $vgpr12_vgpr13
                                        ; implicit-def: $vgpr4_vgpr5
                                        ; implicit-def: $vgpr10_vgpr11
                                        ; implicit-def: $vgpr0_vgpr1
                                        ; implicit-def: $vgpr8_vgpr9
.LBB59_21:
	s_andn2_saveexec_b64 s[2:3], s[2:3]
	s_cbranch_execz .LBB59_23
; %bb.22:
	v_lshlrev_b32_e32 v6, 2, v6
	v_ashrrev_i32_e32 v7, 31, v6
	s_waitcnt lgkmcnt(0)
	v_lshl_add_u64 v[6:7], v[6:7], 3, s[0:1]
	global_load_dwordx4 v[14:17], v[6:7], off
	global_load_dwordx4 v[18:21], v[6:7], off offset:16
	v_mul_f64 v[22:23], v[2:3], v[12:13]
	v_mul_f64 v[24:25], v[2:3], v[10:11]
	;; [unrolled: 1-line block ×4, first 2 shown]
	s_waitcnt vmcnt(1)
	v_fmac_f64_e32 v[22:23], v[4:5], v[14:15]
	v_fmac_f64_e32 v[24:25], v[4:5], v[16:17]
	s_waitcnt vmcnt(0)
	v_fmac_f64_e32 v[0:1], v[4:5], v[18:19]
	v_fmac_f64_e32 v[2:3], v[4:5], v[20:21]
	global_store_dwordx4 v[6:7], v[22:25], off
	global_store_dwordx4 v[6:7], v[0:3], off offset:16
.LBB59_23:
	s_endpgm
	.section	.rodata,"a",@progbits
	.p2align	6, 0x0
	.amdhsa_kernel _ZN9rocsparseL19gebsrmvn_4xn_kernelILj128ELj6ELj16EdEEvi20rocsparse_direction_NS_24const_host_device_scalarIT2_EEPKiS6_PKS3_S8_S4_PS3_21rocsparse_index_base_b
		.amdhsa_group_segment_fixed_size 0
		.amdhsa_private_segment_fixed_size 0
		.amdhsa_kernarg_size 72
		.amdhsa_user_sgpr_count 2
		.amdhsa_user_sgpr_dispatch_ptr 0
		.amdhsa_user_sgpr_queue_ptr 0
		.amdhsa_user_sgpr_kernarg_segment_ptr 1
		.amdhsa_user_sgpr_dispatch_id 0
		.amdhsa_user_sgpr_kernarg_preload_length 0
		.amdhsa_user_sgpr_kernarg_preload_offset 0
		.amdhsa_user_sgpr_private_segment_size 0
		.amdhsa_uses_dynamic_stack 0
		.amdhsa_enable_private_segment 0
		.amdhsa_system_sgpr_workgroup_id_x 1
		.amdhsa_system_sgpr_workgroup_id_y 0
		.amdhsa_system_sgpr_workgroup_id_z 0
		.amdhsa_system_sgpr_workgroup_info 0
		.amdhsa_system_vgpr_workitem_id 0
		.amdhsa_next_free_vgpr 74
		.amdhsa_next_free_sgpr 16
		.amdhsa_accum_offset 76
		.amdhsa_reserve_vcc 1
		.amdhsa_float_round_mode_32 0
		.amdhsa_float_round_mode_16_64 0
		.amdhsa_float_denorm_mode_32 3
		.amdhsa_float_denorm_mode_16_64 3
		.amdhsa_dx10_clamp 1
		.amdhsa_ieee_mode 1
		.amdhsa_fp16_overflow 0
		.amdhsa_tg_split 0
		.amdhsa_exception_fp_ieee_invalid_op 0
		.amdhsa_exception_fp_denorm_src 0
		.amdhsa_exception_fp_ieee_div_zero 0
		.amdhsa_exception_fp_ieee_overflow 0
		.amdhsa_exception_fp_ieee_underflow 0
		.amdhsa_exception_fp_ieee_inexact 0
		.amdhsa_exception_int_div_zero 0
	.end_amdhsa_kernel
	.section	.text._ZN9rocsparseL19gebsrmvn_4xn_kernelILj128ELj6ELj16EdEEvi20rocsparse_direction_NS_24const_host_device_scalarIT2_EEPKiS6_PKS3_S8_S4_PS3_21rocsparse_index_base_b,"axG",@progbits,_ZN9rocsparseL19gebsrmvn_4xn_kernelILj128ELj6ELj16EdEEvi20rocsparse_direction_NS_24const_host_device_scalarIT2_EEPKiS6_PKS3_S8_S4_PS3_21rocsparse_index_base_b,comdat
.Lfunc_end59:
	.size	_ZN9rocsparseL19gebsrmvn_4xn_kernelILj128ELj6ELj16EdEEvi20rocsparse_direction_NS_24const_host_device_scalarIT2_EEPKiS6_PKS3_S8_S4_PS3_21rocsparse_index_base_b, .Lfunc_end59-_ZN9rocsparseL19gebsrmvn_4xn_kernelILj128ELj6ELj16EdEEvi20rocsparse_direction_NS_24const_host_device_scalarIT2_EEPKiS6_PKS3_S8_S4_PS3_21rocsparse_index_base_b
                                        ; -- End function
	.set _ZN9rocsparseL19gebsrmvn_4xn_kernelILj128ELj6ELj16EdEEvi20rocsparse_direction_NS_24const_host_device_scalarIT2_EEPKiS6_PKS3_S8_S4_PS3_21rocsparse_index_base_b.num_vgpr, 74
	.set _ZN9rocsparseL19gebsrmvn_4xn_kernelILj128ELj6ELj16EdEEvi20rocsparse_direction_NS_24const_host_device_scalarIT2_EEPKiS6_PKS3_S8_S4_PS3_21rocsparse_index_base_b.num_agpr, 0
	.set _ZN9rocsparseL19gebsrmvn_4xn_kernelILj128ELj6ELj16EdEEvi20rocsparse_direction_NS_24const_host_device_scalarIT2_EEPKiS6_PKS3_S8_S4_PS3_21rocsparse_index_base_b.numbered_sgpr, 16
	.set _ZN9rocsparseL19gebsrmvn_4xn_kernelILj128ELj6ELj16EdEEvi20rocsparse_direction_NS_24const_host_device_scalarIT2_EEPKiS6_PKS3_S8_S4_PS3_21rocsparse_index_base_b.num_named_barrier, 0
	.set _ZN9rocsparseL19gebsrmvn_4xn_kernelILj128ELj6ELj16EdEEvi20rocsparse_direction_NS_24const_host_device_scalarIT2_EEPKiS6_PKS3_S8_S4_PS3_21rocsparse_index_base_b.private_seg_size, 0
	.set _ZN9rocsparseL19gebsrmvn_4xn_kernelILj128ELj6ELj16EdEEvi20rocsparse_direction_NS_24const_host_device_scalarIT2_EEPKiS6_PKS3_S8_S4_PS3_21rocsparse_index_base_b.uses_vcc, 1
	.set _ZN9rocsparseL19gebsrmvn_4xn_kernelILj128ELj6ELj16EdEEvi20rocsparse_direction_NS_24const_host_device_scalarIT2_EEPKiS6_PKS3_S8_S4_PS3_21rocsparse_index_base_b.uses_flat_scratch, 0
	.set _ZN9rocsparseL19gebsrmvn_4xn_kernelILj128ELj6ELj16EdEEvi20rocsparse_direction_NS_24const_host_device_scalarIT2_EEPKiS6_PKS3_S8_S4_PS3_21rocsparse_index_base_b.has_dyn_sized_stack, 0
	.set _ZN9rocsparseL19gebsrmvn_4xn_kernelILj128ELj6ELj16EdEEvi20rocsparse_direction_NS_24const_host_device_scalarIT2_EEPKiS6_PKS3_S8_S4_PS3_21rocsparse_index_base_b.has_recursion, 0
	.set _ZN9rocsparseL19gebsrmvn_4xn_kernelILj128ELj6ELj16EdEEvi20rocsparse_direction_NS_24const_host_device_scalarIT2_EEPKiS6_PKS3_S8_S4_PS3_21rocsparse_index_base_b.has_indirect_call, 0
	.section	.AMDGPU.csdata,"",@progbits
; Kernel info:
; codeLenInByte = 2016
; TotalNumSgprs: 22
; NumVgprs: 74
; NumAgprs: 0
; TotalNumVgprs: 74
; ScratchSize: 0
; MemoryBound: 1
; FloatMode: 240
; IeeeMode: 1
; LDSByteSize: 0 bytes/workgroup (compile time only)
; SGPRBlocks: 2
; VGPRBlocks: 9
; NumSGPRsForWavesPerEU: 22
; NumVGPRsForWavesPerEU: 74
; AccumOffset: 76
; Occupancy: 6
; WaveLimiterHint : 1
; COMPUTE_PGM_RSRC2:SCRATCH_EN: 0
; COMPUTE_PGM_RSRC2:USER_SGPR: 2
; COMPUTE_PGM_RSRC2:TRAP_HANDLER: 0
; COMPUTE_PGM_RSRC2:TGID_X_EN: 1
; COMPUTE_PGM_RSRC2:TGID_Y_EN: 0
; COMPUTE_PGM_RSRC2:TGID_Z_EN: 0
; COMPUTE_PGM_RSRC2:TIDIG_COMP_CNT: 0
; COMPUTE_PGM_RSRC3_GFX90A:ACCUM_OFFSET: 18
; COMPUTE_PGM_RSRC3_GFX90A:TG_SPLIT: 0
	.section	.text._ZN9rocsparseL19gebsrmvn_4xn_kernelILj128ELj6ELj32EdEEvi20rocsparse_direction_NS_24const_host_device_scalarIT2_EEPKiS6_PKS3_S8_S4_PS3_21rocsparse_index_base_b,"axG",@progbits,_ZN9rocsparseL19gebsrmvn_4xn_kernelILj128ELj6ELj32EdEEvi20rocsparse_direction_NS_24const_host_device_scalarIT2_EEPKiS6_PKS3_S8_S4_PS3_21rocsparse_index_base_b,comdat
	.globl	_ZN9rocsparseL19gebsrmvn_4xn_kernelILj128ELj6ELj32EdEEvi20rocsparse_direction_NS_24const_host_device_scalarIT2_EEPKiS6_PKS3_S8_S4_PS3_21rocsparse_index_base_b ; -- Begin function _ZN9rocsparseL19gebsrmvn_4xn_kernelILj128ELj6ELj32EdEEvi20rocsparse_direction_NS_24const_host_device_scalarIT2_EEPKiS6_PKS3_S8_S4_PS3_21rocsparse_index_base_b
	.p2align	8
	.type	_ZN9rocsparseL19gebsrmvn_4xn_kernelILj128ELj6ELj32EdEEvi20rocsparse_direction_NS_24const_host_device_scalarIT2_EEPKiS6_PKS3_S8_S4_PS3_21rocsparse_index_base_b,@function
_ZN9rocsparseL19gebsrmvn_4xn_kernelILj128ELj6ELj32EdEEvi20rocsparse_direction_NS_24const_host_device_scalarIT2_EEPKiS6_PKS3_S8_S4_PS3_21rocsparse_index_base_b: ; @_ZN9rocsparseL19gebsrmvn_4xn_kernelILj128ELj6ELj32EdEEvi20rocsparse_direction_NS_24const_host_device_scalarIT2_EEPKiS6_PKS3_S8_S4_PS3_21rocsparse_index_base_b
; %bb.0:
	s_load_dwordx2 s[12:13], s[0:1], 0x40
	s_load_dwordx2 s[8:9], s[0:1], 0x8
	;; [unrolled: 1-line block ×3, first 2 shown]
	s_waitcnt lgkmcnt(0)
	s_bitcmp1_b32 s13, 0
	s_cselect_b64 s[10:11], -1, 0
	s_xor_b64 s[6:7], s[10:11], -1
	s_and_b64 vcc, exec, s[10:11]
	v_mov_b64_e32 v[2:3], s[8:9]
	s_cbranch_vccnz .LBB60_2
; %bb.1:
	v_mov_b64_e32 v[2:3], s[8:9]
	flat_load_dwordx2 v[2:3], v[2:3]
.LBB60_2:
	s_andn2_b64 vcc, exec, s[6:7]
	v_mov_b64_e32 v[4:5], s[4:5]
	s_cbranch_vccnz .LBB60_4
; %bb.3:
	v_mov_b64_e32 v[4:5], s[4:5]
	flat_load_dwordx2 v[4:5], v[4:5]
.LBB60_4:
	s_waitcnt vmcnt(0) lgkmcnt(0)
	v_cmp_neq_f64_e32 vcc, 0, v[2:3]
	v_cmp_neq_f64_e64 s[4:5], 1.0, v[4:5]
	s_or_b64 s[4:5], vcc, s[4:5]
	s_and_saveexec_b64 s[6:7], s[4:5]
	s_cbranch_execz .LBB60_23
; %bb.5:
	s_load_dwordx2 s[14:15], s[0:1], 0x0
	v_lshrrev_b32_e32 v1, 5, v0
	v_lshl_or_b32 v6, s2, 2, v1
	s_waitcnt lgkmcnt(0)
	v_cmp_gt_i32_e32 vcc, s14, v6
	s_and_b64 exec, exec, vcc
	s_cbranch_execz .LBB60_23
; %bb.6:
	s_load_dwordx8 s[4:11], s[0:1], 0x10
	v_ashrrev_i32_e32 v7, 31, v6
	s_cmp_lg_u32 s15, 0
	s_waitcnt lgkmcnt(0)
	v_lshl_add_u64 v[8:9], v[6:7], 2, s[4:5]
	global_load_dwordx2 v[8:9], v[8:9], off
	v_and_b32_e32 v7, 31, v0
	s_waitcnt vmcnt(0)
	v_subrev_u32_e32 v0, s12, v8
	v_subrev_u32_e32 v22, s12, v9
	v_add_u32_e32 v14, v0, v7
	v_cmp_lt_i32_e64 s[2:3], v14, v22
	s_cbranch_scc0 .LBB60_12
; %bb.7:
	v_mov_b64_e32 v[10:11], 0
	v_mov_b64_e32 v[0:1], 0
	;; [unrolled: 1-line block ×4, first 2 shown]
	s_and_saveexec_b64 s[4:5], s[2:3]
	s_cbranch_execz .LBB60_11
; %bb.8:
	v_mad_u64_u32 v[16:17], s[14:15], v14, 24, 20
	v_mov_b64_e32 v[10:11], 0
	s_mov_b64 s[14:15], 0
	v_mov_b32_e32 v19, 0
	v_mov_b32_e32 v20, v14
	v_mov_b64_e32 v[0:1], 0
	v_mov_b64_e32 v[8:9], 0
	;; [unrolled: 1-line block ×3, first 2 shown]
.LBB60_9:                               ; =>This Inner Loop Header: Depth=1
	v_ashrrev_i32_e32 v21, 31, v20
	v_subrev_u32_e32 v18, 20, v16
	v_lshl_add_u64 v[40:41], v[20:21], 2, s[6:7]
	v_lshl_add_u64 v[42:43], v[18:19], 3, s[8:9]
	global_load_dword v15, v[40:41], off
	global_load_dwordx4 v[24:27], v[42:43], off offset:48
	global_load_dwordx4 v[28:31], v[42:43], off offset:32
	;; [unrolled: 1-line block ×3, first 2 shown]
	global_load_dwordx4 v[36:39], v[42:43], off
	v_mov_b32_e32 v17, v19
	v_add_u32_e32 v18, -12, v16
	v_mov_b32_e32 v57, v19
	v_lshl_add_u64 v[60:61], v[16:17], 3, s[8:9]
	v_lshl_add_u64 v[52:53], v[18:19], 3, s[8:9]
	global_load_dwordx4 v[40:43], v[60:61], off
	global_load_dwordx4 v[44:47], v[52:53], off offset:16
	global_load_dwordx4 v[48:51], v[52:53], off
	v_add_u32_e32 v20, 32, v20
	v_cmp_ge_i32_e32 vcc, v20, v22
	s_or_b64 s[14:15], vcc, s[14:15]
	s_waitcnt vmcnt(7)
	v_subrev_u32_e32 v15, s12, v15
	v_mul_lo_u32 v56, v15, 6
	v_lshl_add_u64 v[52:53], v[56:57], 3, s[10:11]
	global_load_dwordx4 v[52:55], v[52:53], off
	v_add_u32_e32 v18, 2, v56
	v_lshl_add_u64 v[58:59], v[18:19], 3, s[10:11]
	v_add_u32_e32 v18, -8, v16
	s_waitcnt vmcnt(0)
	v_fmac_f64_e32 v[10:11], v[36:37], v[52:53]
	v_fmac_f64_e32 v[12:13], v[38:39], v[52:53]
	global_load_dwordx4 v[36:39], v[58:59], off
	v_lshl_add_u64 v[58:59], v[18:19], 3, s[8:9]
	v_add_u32_e32 v18, -4, v16
	v_fmac_f64_e32 v[8:9], v[32:33], v[52:53]
	v_fmac_f64_e32 v[0:1], v[34:35], v[52:53]
	global_load_dwordx4 v[32:35], v[58:59], off offset:16
	v_fmac_f64_e32 v[10:11], v[28:29], v[54:55]
	v_fmac_f64_e32 v[12:13], v[30:31], v[54:55]
	global_load_dwordx4 v[28:31], v[58:59], off
	v_lshl_add_u64 v[58:59], v[18:19], 3, s[8:9]
	v_add_u32_e32 v18, 4, v56
	v_lshl_add_u64 v[56:57], v[18:19], 3, s[10:11]
	v_fmac_f64_e32 v[8:9], v[24:25], v[54:55]
	v_fmac_f64_e32 v[0:1], v[26:27], v[54:55]
	global_load_dwordx4 v[24:27], v[58:59], off offset:16
	global_load_dwordx4 v[52:55], v[58:59], off
	v_add_u32_e32 v16, 0x300, v16
	global_load_dwordx4 v[56:59], v[56:57], off
	s_waitcnt vmcnt(5)
	v_fmac_f64_e32 v[10:11], v[48:49], v[36:37]
	v_fmac_f64_e32 v[12:13], v[50:51], v[36:37]
	global_load_dwordx4 v[48:51], v[60:61], off offset:16
	v_fmac_f64_e32 v[8:9], v[44:45], v[36:37]
	v_fmac_f64_e32 v[0:1], v[46:47], v[36:37]
	s_waitcnt vmcnt(5)
	v_fmac_f64_e32 v[8:9], v[32:33], v[38:39]
	v_fmac_f64_e32 v[0:1], v[34:35], v[38:39]
	s_waitcnt vmcnt(4)
	;; [unrolled: 3-line block ×3, first 2 shown]
	v_fmac_f64_e32 v[10:11], v[52:53], v[56:57]
	v_fmac_f64_e32 v[12:13], v[54:55], v[56:57]
	v_fmac_f64_e32 v[8:9], v[24:25], v[56:57]
	v_fmac_f64_e32 v[0:1], v[26:27], v[56:57]
	v_fmac_f64_e32 v[10:11], v[40:41], v[58:59]
	v_fmac_f64_e32 v[12:13], v[42:43], v[58:59]
	s_waitcnt vmcnt(0)
	v_fmac_f64_e32 v[8:9], v[48:49], v[58:59]
	v_fmac_f64_e32 v[0:1], v[50:51], v[58:59]
	s_andn2_b64 exec, exec, s[14:15]
	s_cbranch_execnz .LBB60_9
; %bb.10:
	s_or_b64 exec, exec, s[14:15]
.LBB60_11:
	s_or_b64 exec, exec, s[4:5]
	s_cbranch_execz .LBB60_13
	s_branch .LBB60_18
.LBB60_12:
                                        ; implicit-def: $vgpr10_vgpr11
                                        ; implicit-def: $vgpr0_vgpr1
                                        ; implicit-def: $vgpr8_vgpr9
                                        ; implicit-def: $vgpr12_vgpr13
.LBB60_13:
	v_mov_b64_e32 v[10:11], 0
	v_mov_b64_e32 v[0:1], 0
	;; [unrolled: 1-line block ×4, first 2 shown]
	s_and_saveexec_b64 s[4:5], s[2:3]
	s_cbranch_execz .LBB60_17
; %bb.14:
	v_mad_u64_u32 v[16:17], s[2:3], v14, 24, 23
	v_mov_b64_e32 v[10:11], 0
	s_mov_b64 s[2:3], 0
	v_mov_b32_e32 v19, 0
	v_mov_b64_e32 v[0:1], 0
	v_mov_b64_e32 v[8:9], 0
	;; [unrolled: 1-line block ×3, first 2 shown]
.LBB60_15:                              ; =>This Inner Loop Header: Depth=1
	v_ashrrev_i32_e32 v15, 31, v14
	v_subrev_u32_e32 v18, 23, v16
	v_add_u32_e32 v20, -11, v16
	v_add_u32_e32 v24, -5, v16
	v_mov_b32_e32 v21, v19
	v_mov_b32_e32 v25, v19
	v_lshl_add_u64 v[40:41], v[14:15], 2, s[6:7]
	v_lshl_add_u64 v[42:43], v[18:19], 3, s[8:9]
	;; [unrolled: 1-line block ×4, first 2 shown]
	global_load_dword v15, v[40:41], off
	global_load_dwordx4 v[24:27], v[42:43], off offset:48
	global_load_dwordx4 v[28:31], v[42:43], off offset:32
	;; [unrolled: 1-line block ×3, first 2 shown]
	global_load_dwordx4 v[36:39], v[42:43], off
	global_load_dwordx2 v[50:51], v[20:21], off
	global_load_dwordx2 v[52:53], v[46:47], off
	v_mov_b32_e32 v17, v19
	v_add_u32_e32 v18, -10, v16
	v_mov_b32_e32 v45, v19
	v_lshl_add_u64 v[48:49], v[16:17], 3, s[8:9]
	v_lshl_add_u64 v[20:21], v[18:19], 3, s[8:9]
	v_add_u32_e32 v18, -4, v16
	global_load_dwordx2 v[46:47], v[48:49], off
	v_lshl_add_u64 v[40:41], v[18:19], 3, s[8:9]
	global_load_dwordx2 v[48:49], v[20:21], off
	global_load_dwordx2 v[54:55], v[40:41], off
	v_add_u32_e32 v14, 32, v14
	v_cmp_ge_i32_e32 vcc, v14, v22
	s_or_b64 s[2:3], vcc, s[2:3]
	s_waitcnt vmcnt(9)
	v_subrev_u32_e32 v15, s12, v15
	v_mul_lo_u32 v44, v15, 6
	v_lshl_add_u64 v[20:21], v[44:45], 3, s[10:11]
	global_load_dwordx4 v[40:43], v[20:21], off
	v_add_u32_e32 v18, 2, v44
	v_lshl_add_u64 v[20:21], v[18:19], 3, s[10:11]
	v_add_u32_e32 v18, -15, v16
	v_lshl_add_u64 v[56:57], v[18:19], 3, s[8:9]
	v_add_u32_e32 v18, -9, v16
	;; [unrolled: 2-line block ×3, first 2 shown]
	s_waitcnt vmcnt(0)
	v_fmac_f64_e32 v[10:11], v[36:37], v[40:41]
	v_lshl_add_u64 v[36:37], v[18:19], 3, s[8:9]
	v_add_u32_e32 v18, -14, v16
	v_fmac_f64_e32 v[10:11], v[38:39], v[42:43]
	v_lshl_add_u64 v[38:39], v[18:19], 3, s[8:9]
	v_add_u32_e32 v18, -8, v16
	v_lshl_add_u64 v[60:61], v[18:19], 3, s[8:9]
	v_add_u32_e32 v18, -2, v16
	v_fmac_f64_e32 v[12:13], v[24:25], v[40:41]
	v_lshl_add_u64 v[62:63], v[18:19], 3, s[8:9]
	v_add_u32_e32 v18, 4, v44
	v_fmac_f64_e32 v[12:13], v[26:27], v[42:43]
	global_load_dwordx4 v[24:27], v[20:21], off
	global_load_dwordx2 v[44:45], v[56:57], off
	global_load_dwordx2 v[64:65], v[58:59], off
	;; [unrolled: 1-line block ×6, first 2 shown]
	v_lshl_add_u64 v[20:21], v[18:19], 3, s[10:11]
	v_add_u32_e32 v18, -13, v16
	global_load_dwordx4 v[36:39], v[20:21], off
	v_lshl_add_u64 v[20:21], v[18:19], 3, s[8:9]
	v_add_u32_e32 v18, -7, v16
	v_fmac_f64_e32 v[8:9], v[50:51], v[40:41]
	v_fmac_f64_e32 v[0:1], v[52:53], v[40:41]
	v_lshl_add_u64 v[40:41], v[18:19], 3, s[8:9]
	v_add_u32_e32 v18, -1, v16
	v_fmac_f64_e32 v[8:9], v[48:49], v[42:43]
	v_fmac_f64_e32 v[0:1], v[54:55], v[42:43]
	global_load_dwordx2 v[42:43], v[20:21], off
	global_load_dwordx2 v[48:49], v[40:41], off
	v_lshl_add_u64 v[20:21], v[18:19], 3, s[8:9]
	v_add_u32_e32 v18, -12, v16
	v_lshl_add_u64 v[40:41], v[18:19], 3, s[8:9]
	v_add_u32_e32 v18, -6, v16
	global_load_dwordx2 v[50:51], v[20:21], off
	global_load_dwordx2 v[52:53], v[40:41], off
	v_lshl_add_u64 v[20:21], v[18:19], 3, s[8:9]
	global_load_dwordx2 v[20:21], v[20:21], off
	v_add_u32_e32 v16, 0x300, v16
	s_waitcnt vmcnt(12)
	v_fmac_f64_e32 v[10:11], v[32:33], v[24:25]
	s_waitcnt vmcnt(11)
	v_fmac_f64_e32 v[12:13], v[44:45], v[24:25]
	s_waitcnt vmcnt(10)
	v_fmac_f64_e32 v[8:9], v[64:65], v[24:25]
	s_waitcnt vmcnt(9)
	v_fmac_f64_e32 v[0:1], v[66:67], v[24:25]
	v_fmac_f64_e32 v[10:11], v[34:35], v[26:27]
	s_waitcnt vmcnt(8)
	v_fmac_f64_e32 v[12:13], v[68:69], v[26:27]
	s_waitcnt vmcnt(7)
	v_fmac_f64_e32 v[8:9], v[70:71], v[26:27]
	s_waitcnt vmcnt(6)
	v_fmac_f64_e32 v[0:1], v[72:73], v[26:27]
	s_waitcnt vmcnt(5)
	v_fmac_f64_e32 v[10:11], v[28:29], v[36:37]
	v_fmac_f64_e32 v[10:11], v[30:31], v[38:39]
	;; [unrolled: 9-line block ×3, first 2 shown]
	s_waitcnt vmcnt(0)
	v_fmac_f64_e32 v[8:9], v[20:21], v[38:39]
	s_andn2_b64 exec, exec, s[2:3]
	s_cbranch_execnz .LBB60_15
; %bb.16:
	s_or_b64 exec, exec, s[2:3]
.LBB60_17:
	s_or_b64 exec, exec, s[4:5]
.LBB60_18:
	v_mov_b32_dpp v16, v12 row_shr:1 row_mask:0xf bank_mask:0xf
	v_mov_b32_dpp v17, v13 row_shr:1 row_mask:0xf bank_mask:0xf
	v_add_f64 v[12:13], v[12:13], v[16:17]
	v_mov_b32_dpp v14, v10 row_shr:1 row_mask:0xf bank_mask:0xf
	v_mov_b32_dpp v15, v11 row_shr:1 row_mask:0xf bank_mask:0xf
	;; [unrolled: 1-line block ×4, first 2 shown]
	v_add_f64 v[12:13], v[12:13], v[16:17]
	v_add_f64 v[10:11], v[10:11], v[14:15]
	v_cmp_eq_u32_e32 vcc, 31, v7
	v_mov_b32_dpp v16, v12 row_shr:4 row_mask:0xf bank_mask:0xe
	v_mov_b32_dpp v17, v13 row_shr:4 row_mask:0xf bank_mask:0xe
	v_add_f64 v[12:13], v[12:13], v[16:17]
	v_mov_b32_dpp v14, v10 row_shr:2 row_mask:0xf bank_mask:0xf
	v_mov_b32_dpp v15, v11 row_shr:2 row_mask:0xf bank_mask:0xf
	;; [unrolled: 1-line block ×4, first 2 shown]
	v_add_f64 v[16:17], v[12:13], v[16:17]
	v_mov_b32_dpp v12, v8 row_shr:1 row_mask:0xf bank_mask:0xf
	v_mov_b32_dpp v13, v9 row_shr:1 row_mask:0xf bank_mask:0xf
	v_add_f64 v[8:9], v[8:9], v[12:13]
	v_add_f64 v[10:11], v[10:11], v[14:15]
	v_mov_b32_dpp v18, v16 row_bcast:15 row_mask:0xa bank_mask:0xf
	v_mov_b32_dpp v12, v8 row_shr:2 row_mask:0xf bank_mask:0xf
	v_mov_b32_dpp v13, v9 row_shr:2 row_mask:0xf bank_mask:0xf
	v_add_f64 v[8:9], v[8:9], v[12:13]
	v_mov_b32_dpp v14, v10 row_shr:4 row_mask:0xf bank_mask:0xe
	v_mov_b32_dpp v15, v11 row_shr:4 row_mask:0xf bank_mask:0xe
	;; [unrolled: 1-line block ×4, first 2 shown]
	v_add_f64 v[8:9], v[8:9], v[12:13]
	v_add_f64 v[10:11], v[10:11], v[14:15]
	v_mov_b32_dpp v19, v17 row_bcast:15 row_mask:0xa bank_mask:0xf
	v_mov_b32_dpp v12, v8 row_shr:8 row_mask:0xf bank_mask:0xc
	v_mov_b32_dpp v13, v9 row_shr:8 row_mask:0xf bank_mask:0xc
	v_add_f64 v[8:9], v[8:9], v[12:13]
	v_mov_b32_dpp v12, v0 row_shr:1 row_mask:0xf bank_mask:0xf
	v_mov_b32_dpp v13, v1 row_shr:1 row_mask:0xf bank_mask:0xf
	v_add_f64 v[0:1], v[0:1], v[12:13]
	v_mov_b32_dpp v14, v10 row_shr:8 row_mask:0xf bank_mask:0xc
	v_mov_b32_dpp v15, v11 row_shr:8 row_mask:0xf bank_mask:0xc
	;; [unrolled: 1-line block ×4, first 2 shown]
	v_add_f64 v[0:1], v[0:1], v[12:13]
	v_add_f64 v[10:11], v[10:11], v[14:15]
	v_mov_b32_dpp v20, v8 row_bcast:15 row_mask:0xa bank_mask:0xf
	v_mov_b32_dpp v12, v0 row_shr:4 row_mask:0xf bank_mask:0xe
	v_mov_b32_dpp v13, v1 row_shr:4 row_mask:0xf bank_mask:0xe
	v_add_f64 v[0:1], v[0:1], v[12:13]
	v_mov_b32_dpp v14, v10 row_bcast:15 row_mask:0xa bank_mask:0xf
	v_mov_b32_dpp v15, v11 row_bcast:15 row_mask:0xa bank_mask:0xf
	v_mov_b32_dpp v12, v0 row_shr:8 row_mask:0xf bank_mask:0xc
	v_mov_b32_dpp v13, v1 row_shr:8 row_mask:0xf bank_mask:0xc
	v_add_f64 v[22:23], v[0:1], v[12:13]
	v_mov_b32_dpp v21, v9 row_bcast:15 row_mask:0xa bank_mask:0xf
	s_nop 0
	v_mov_b32_dpp v24, v22 row_bcast:15 row_mask:0xa bank_mask:0xf
	v_mov_b32_dpp v25, v23 row_bcast:15 row_mask:0xa bank_mask:0xf
	s_and_b64 exec, exec, vcc
	s_cbranch_execz .LBB60_23
; %bb.19:
	s_load_dwordx2 s[0:1], s[0:1], 0x38
	v_add_f64 v[12:13], v[10:11], v[14:15]
	v_add_f64 v[10:11], v[16:17], v[18:19]
	;; [unrolled: 1-line block ×4, first 2 shown]
	v_cmp_eq_f64_e32 vcc, 0, v[4:5]
	s_and_saveexec_b64 s[2:3], vcc
	s_xor_b64 s[2:3], exec, s[2:3]
	s_cbranch_execz .LBB60_21
; %bb.20:
	v_lshlrev_b32_e32 v6, 2, v6
	v_ashrrev_i32_e32 v7, 31, v6
	v_mul_f64 v[4:5], v[2:3], v[12:13]
	s_waitcnt lgkmcnt(0)
	v_lshl_add_u64 v[12:13], v[6:7], 3, s[0:1]
	v_mul_f64 v[6:7], v[2:3], v[10:11]
	v_mul_f64 v[0:1], v[2:3], v[0:1]
	;; [unrolled: 1-line block ×3, first 2 shown]
	global_store_dwordx4 v[12:13], v[4:7], off
	global_store_dwordx4 v[12:13], v[0:3], off offset:16
                                        ; implicit-def: $vgpr6
                                        ; implicit-def: $vgpr2_vgpr3
                                        ; implicit-def: $vgpr12_vgpr13
                                        ; implicit-def: $vgpr4_vgpr5
                                        ; implicit-def: $vgpr10_vgpr11
                                        ; implicit-def: $vgpr0_vgpr1
                                        ; implicit-def: $vgpr8_vgpr9
.LBB60_21:
	s_andn2_saveexec_b64 s[2:3], s[2:3]
	s_cbranch_execz .LBB60_23
; %bb.22:
	v_lshlrev_b32_e32 v6, 2, v6
	v_ashrrev_i32_e32 v7, 31, v6
	s_waitcnt lgkmcnt(0)
	v_lshl_add_u64 v[6:7], v[6:7], 3, s[0:1]
	global_load_dwordx4 v[14:17], v[6:7], off
	global_load_dwordx4 v[18:21], v[6:7], off offset:16
	v_mul_f64 v[22:23], v[2:3], v[12:13]
	v_mul_f64 v[24:25], v[2:3], v[10:11]
	;; [unrolled: 1-line block ×4, first 2 shown]
	s_waitcnt vmcnt(1)
	v_fmac_f64_e32 v[22:23], v[4:5], v[14:15]
	v_fmac_f64_e32 v[24:25], v[4:5], v[16:17]
	s_waitcnt vmcnt(0)
	v_fmac_f64_e32 v[0:1], v[4:5], v[18:19]
	v_fmac_f64_e32 v[2:3], v[4:5], v[20:21]
	global_store_dwordx4 v[6:7], v[22:25], off
	global_store_dwordx4 v[6:7], v[0:3], off offset:16
.LBB60_23:
	s_endpgm
	.section	.rodata,"a",@progbits
	.p2align	6, 0x0
	.amdhsa_kernel _ZN9rocsparseL19gebsrmvn_4xn_kernelILj128ELj6ELj32EdEEvi20rocsparse_direction_NS_24const_host_device_scalarIT2_EEPKiS6_PKS3_S8_S4_PS3_21rocsparse_index_base_b
		.amdhsa_group_segment_fixed_size 0
		.amdhsa_private_segment_fixed_size 0
		.amdhsa_kernarg_size 72
		.amdhsa_user_sgpr_count 2
		.amdhsa_user_sgpr_dispatch_ptr 0
		.amdhsa_user_sgpr_queue_ptr 0
		.amdhsa_user_sgpr_kernarg_segment_ptr 1
		.amdhsa_user_sgpr_dispatch_id 0
		.amdhsa_user_sgpr_kernarg_preload_length 0
		.amdhsa_user_sgpr_kernarg_preload_offset 0
		.amdhsa_user_sgpr_private_segment_size 0
		.amdhsa_uses_dynamic_stack 0
		.amdhsa_enable_private_segment 0
		.amdhsa_system_sgpr_workgroup_id_x 1
		.amdhsa_system_sgpr_workgroup_id_y 0
		.amdhsa_system_sgpr_workgroup_id_z 0
		.amdhsa_system_sgpr_workgroup_info 0
		.amdhsa_system_vgpr_workitem_id 0
		.amdhsa_next_free_vgpr 74
		.amdhsa_next_free_sgpr 16
		.amdhsa_accum_offset 76
		.amdhsa_reserve_vcc 1
		.amdhsa_float_round_mode_32 0
		.amdhsa_float_round_mode_16_64 0
		.amdhsa_float_denorm_mode_32 3
		.amdhsa_float_denorm_mode_16_64 3
		.amdhsa_dx10_clamp 1
		.amdhsa_ieee_mode 1
		.amdhsa_fp16_overflow 0
		.amdhsa_tg_split 0
		.amdhsa_exception_fp_ieee_invalid_op 0
		.amdhsa_exception_fp_denorm_src 0
		.amdhsa_exception_fp_ieee_div_zero 0
		.amdhsa_exception_fp_ieee_overflow 0
		.amdhsa_exception_fp_ieee_underflow 0
		.amdhsa_exception_fp_ieee_inexact 0
		.amdhsa_exception_int_div_zero 0
	.end_amdhsa_kernel
	.section	.text._ZN9rocsparseL19gebsrmvn_4xn_kernelILj128ELj6ELj32EdEEvi20rocsparse_direction_NS_24const_host_device_scalarIT2_EEPKiS6_PKS3_S8_S4_PS3_21rocsparse_index_base_b,"axG",@progbits,_ZN9rocsparseL19gebsrmvn_4xn_kernelILj128ELj6ELj32EdEEvi20rocsparse_direction_NS_24const_host_device_scalarIT2_EEPKiS6_PKS3_S8_S4_PS3_21rocsparse_index_base_b,comdat
.Lfunc_end60:
	.size	_ZN9rocsparseL19gebsrmvn_4xn_kernelILj128ELj6ELj32EdEEvi20rocsparse_direction_NS_24const_host_device_scalarIT2_EEPKiS6_PKS3_S8_S4_PS3_21rocsparse_index_base_b, .Lfunc_end60-_ZN9rocsparseL19gebsrmvn_4xn_kernelILj128ELj6ELj32EdEEvi20rocsparse_direction_NS_24const_host_device_scalarIT2_EEPKiS6_PKS3_S8_S4_PS3_21rocsparse_index_base_b
                                        ; -- End function
	.set _ZN9rocsparseL19gebsrmvn_4xn_kernelILj128ELj6ELj32EdEEvi20rocsparse_direction_NS_24const_host_device_scalarIT2_EEPKiS6_PKS3_S8_S4_PS3_21rocsparse_index_base_b.num_vgpr, 74
	.set _ZN9rocsparseL19gebsrmvn_4xn_kernelILj128ELj6ELj32EdEEvi20rocsparse_direction_NS_24const_host_device_scalarIT2_EEPKiS6_PKS3_S8_S4_PS3_21rocsparse_index_base_b.num_agpr, 0
	.set _ZN9rocsparseL19gebsrmvn_4xn_kernelILj128ELj6ELj32EdEEvi20rocsparse_direction_NS_24const_host_device_scalarIT2_EEPKiS6_PKS3_S8_S4_PS3_21rocsparse_index_base_b.numbered_sgpr, 16
	.set _ZN9rocsparseL19gebsrmvn_4xn_kernelILj128ELj6ELj32EdEEvi20rocsparse_direction_NS_24const_host_device_scalarIT2_EEPKiS6_PKS3_S8_S4_PS3_21rocsparse_index_base_b.num_named_barrier, 0
	.set _ZN9rocsparseL19gebsrmvn_4xn_kernelILj128ELj6ELj32EdEEvi20rocsparse_direction_NS_24const_host_device_scalarIT2_EEPKiS6_PKS3_S8_S4_PS3_21rocsparse_index_base_b.private_seg_size, 0
	.set _ZN9rocsparseL19gebsrmvn_4xn_kernelILj128ELj6ELj32EdEEvi20rocsparse_direction_NS_24const_host_device_scalarIT2_EEPKiS6_PKS3_S8_S4_PS3_21rocsparse_index_base_b.uses_vcc, 1
	.set _ZN9rocsparseL19gebsrmvn_4xn_kernelILj128ELj6ELj32EdEEvi20rocsparse_direction_NS_24const_host_device_scalarIT2_EEPKiS6_PKS3_S8_S4_PS3_21rocsparse_index_base_b.uses_flat_scratch, 0
	.set _ZN9rocsparseL19gebsrmvn_4xn_kernelILj128ELj6ELj32EdEEvi20rocsparse_direction_NS_24const_host_device_scalarIT2_EEPKiS6_PKS3_S8_S4_PS3_21rocsparse_index_base_b.has_dyn_sized_stack, 0
	.set _ZN9rocsparseL19gebsrmvn_4xn_kernelILj128ELj6ELj32EdEEvi20rocsparse_direction_NS_24const_host_device_scalarIT2_EEPKiS6_PKS3_S8_S4_PS3_21rocsparse_index_base_b.has_recursion, 0
	.set _ZN9rocsparseL19gebsrmvn_4xn_kernelILj128ELj6ELj32EdEEvi20rocsparse_direction_NS_24const_host_device_scalarIT2_EEPKiS6_PKS3_S8_S4_PS3_21rocsparse_index_base_b.has_indirect_call, 0
	.section	.AMDGPU.csdata,"",@progbits
; Kernel info:
; codeLenInByte = 2116
; TotalNumSgprs: 22
; NumVgprs: 74
; NumAgprs: 0
; TotalNumVgprs: 74
; ScratchSize: 0
; MemoryBound: 1
; FloatMode: 240
; IeeeMode: 1
; LDSByteSize: 0 bytes/workgroup (compile time only)
; SGPRBlocks: 2
; VGPRBlocks: 9
; NumSGPRsForWavesPerEU: 22
; NumVGPRsForWavesPerEU: 74
; AccumOffset: 76
; Occupancy: 6
; WaveLimiterHint : 1
; COMPUTE_PGM_RSRC2:SCRATCH_EN: 0
; COMPUTE_PGM_RSRC2:USER_SGPR: 2
; COMPUTE_PGM_RSRC2:TRAP_HANDLER: 0
; COMPUTE_PGM_RSRC2:TGID_X_EN: 1
; COMPUTE_PGM_RSRC2:TGID_Y_EN: 0
; COMPUTE_PGM_RSRC2:TGID_Z_EN: 0
; COMPUTE_PGM_RSRC2:TIDIG_COMP_CNT: 0
; COMPUTE_PGM_RSRC3_GFX90A:ACCUM_OFFSET: 18
; COMPUTE_PGM_RSRC3_GFX90A:TG_SPLIT: 0
	.section	.text._ZN9rocsparseL19gebsrmvn_4xn_kernelILj128ELj6ELj64EdEEvi20rocsparse_direction_NS_24const_host_device_scalarIT2_EEPKiS6_PKS3_S8_S4_PS3_21rocsparse_index_base_b,"axG",@progbits,_ZN9rocsparseL19gebsrmvn_4xn_kernelILj128ELj6ELj64EdEEvi20rocsparse_direction_NS_24const_host_device_scalarIT2_EEPKiS6_PKS3_S8_S4_PS3_21rocsparse_index_base_b,comdat
	.globl	_ZN9rocsparseL19gebsrmvn_4xn_kernelILj128ELj6ELj64EdEEvi20rocsparse_direction_NS_24const_host_device_scalarIT2_EEPKiS6_PKS3_S8_S4_PS3_21rocsparse_index_base_b ; -- Begin function _ZN9rocsparseL19gebsrmvn_4xn_kernelILj128ELj6ELj64EdEEvi20rocsparse_direction_NS_24const_host_device_scalarIT2_EEPKiS6_PKS3_S8_S4_PS3_21rocsparse_index_base_b
	.p2align	8
	.type	_ZN9rocsparseL19gebsrmvn_4xn_kernelILj128ELj6ELj64EdEEvi20rocsparse_direction_NS_24const_host_device_scalarIT2_EEPKiS6_PKS3_S8_S4_PS3_21rocsparse_index_base_b,@function
_ZN9rocsparseL19gebsrmvn_4xn_kernelILj128ELj6ELj64EdEEvi20rocsparse_direction_NS_24const_host_device_scalarIT2_EEPKiS6_PKS3_S8_S4_PS3_21rocsparse_index_base_b: ; @_ZN9rocsparseL19gebsrmvn_4xn_kernelILj128ELj6ELj64EdEEvi20rocsparse_direction_NS_24const_host_device_scalarIT2_EEPKiS6_PKS3_S8_S4_PS3_21rocsparse_index_base_b
; %bb.0:
	s_load_dwordx2 s[12:13], s[0:1], 0x40
	s_load_dwordx2 s[8:9], s[0:1], 0x8
	;; [unrolled: 1-line block ×3, first 2 shown]
	s_waitcnt lgkmcnt(0)
	s_bitcmp1_b32 s13, 0
	s_cselect_b64 s[10:11], -1, 0
	s_xor_b64 s[6:7], s[10:11], -1
	s_and_b64 vcc, exec, s[10:11]
	v_mov_b64_e32 v[2:3], s[8:9]
	s_cbranch_vccnz .LBB61_2
; %bb.1:
	v_mov_b64_e32 v[2:3], s[8:9]
	flat_load_dwordx2 v[2:3], v[2:3]
.LBB61_2:
	s_andn2_b64 vcc, exec, s[6:7]
	v_mov_b64_e32 v[4:5], s[4:5]
	s_cbranch_vccnz .LBB61_4
; %bb.3:
	v_mov_b64_e32 v[4:5], s[4:5]
	flat_load_dwordx2 v[4:5], v[4:5]
.LBB61_4:
	s_waitcnt vmcnt(0) lgkmcnt(0)
	v_cmp_neq_f64_e32 vcc, 0, v[2:3]
	v_cmp_neq_f64_e64 s[4:5], 1.0, v[4:5]
	s_or_b64 s[4:5], vcc, s[4:5]
	s_and_saveexec_b64 s[6:7], s[4:5]
	s_cbranch_execz .LBB61_23
; %bb.5:
	s_load_dwordx2 s[14:15], s[0:1], 0x0
	v_lshrrev_b32_e32 v1, 6, v0
	v_lshl_or_b32 v6, s2, 1, v1
	s_waitcnt lgkmcnt(0)
	v_cmp_gt_i32_e32 vcc, s14, v6
	s_and_b64 exec, exec, vcc
	s_cbranch_execz .LBB61_23
; %bb.6:
	s_load_dwordx8 s[4:11], s[0:1], 0x10
	v_ashrrev_i32_e32 v7, 31, v6
	s_cmp_lg_u32 s15, 0
	s_waitcnt lgkmcnt(0)
	v_lshl_add_u64 v[8:9], v[6:7], 2, s[4:5]
	global_load_dwordx2 v[8:9], v[8:9], off
	v_and_b32_e32 v7, 63, v0
	s_waitcnt vmcnt(0)
	v_subrev_u32_e32 v0, s12, v8
	v_subrev_u32_e32 v22, s12, v9
	v_add_u32_e32 v14, v0, v7
	v_cmp_lt_i32_e64 s[2:3], v14, v22
	s_cbranch_scc0 .LBB61_12
; %bb.7:
	v_mov_b64_e32 v[10:11], 0
	v_mov_b64_e32 v[0:1], 0
	v_mov_b64_e32 v[8:9], 0
	v_mov_b64_e32 v[12:13], 0
	s_and_saveexec_b64 s[4:5], s[2:3]
	s_cbranch_execz .LBB61_11
; %bb.8:
	v_mad_u64_u32 v[16:17], s[14:15], v14, 24, 20
	v_mov_b64_e32 v[10:11], 0
	s_mov_b64 s[14:15], 0
	v_mov_b32_e32 v19, 0
	v_mov_b32_e32 v20, v14
	v_mov_b64_e32 v[0:1], 0
	v_mov_b64_e32 v[8:9], 0
	;; [unrolled: 1-line block ×3, first 2 shown]
.LBB61_9:                               ; =>This Inner Loop Header: Depth=1
	v_ashrrev_i32_e32 v21, 31, v20
	v_subrev_u32_e32 v18, 20, v16
	v_lshl_add_u64 v[40:41], v[20:21], 2, s[6:7]
	v_lshl_add_u64 v[42:43], v[18:19], 3, s[8:9]
	global_load_dword v15, v[40:41], off
	global_load_dwordx4 v[24:27], v[42:43], off offset:48
	global_load_dwordx4 v[28:31], v[42:43], off offset:32
	;; [unrolled: 1-line block ×3, first 2 shown]
	global_load_dwordx4 v[36:39], v[42:43], off
	v_mov_b32_e32 v17, v19
	v_add_u32_e32 v18, -12, v16
	v_mov_b32_e32 v57, v19
	v_lshl_add_u64 v[60:61], v[16:17], 3, s[8:9]
	v_lshl_add_u64 v[52:53], v[18:19], 3, s[8:9]
	global_load_dwordx4 v[40:43], v[60:61], off
	global_load_dwordx4 v[44:47], v[52:53], off offset:16
	global_load_dwordx4 v[48:51], v[52:53], off
	v_add_u32_e32 v20, 64, v20
	v_cmp_ge_i32_e32 vcc, v20, v22
	s_or_b64 s[14:15], vcc, s[14:15]
	s_waitcnt vmcnt(7)
	v_subrev_u32_e32 v15, s12, v15
	v_mul_lo_u32 v56, v15, 6
	v_lshl_add_u64 v[52:53], v[56:57], 3, s[10:11]
	global_load_dwordx4 v[52:55], v[52:53], off
	v_add_u32_e32 v18, 2, v56
	v_lshl_add_u64 v[58:59], v[18:19], 3, s[10:11]
	v_add_u32_e32 v18, -8, v16
	s_waitcnt vmcnt(0)
	v_fmac_f64_e32 v[10:11], v[36:37], v[52:53]
	v_fmac_f64_e32 v[12:13], v[38:39], v[52:53]
	global_load_dwordx4 v[36:39], v[58:59], off
	v_lshl_add_u64 v[58:59], v[18:19], 3, s[8:9]
	v_add_u32_e32 v18, -4, v16
	v_fmac_f64_e32 v[8:9], v[32:33], v[52:53]
	v_fmac_f64_e32 v[0:1], v[34:35], v[52:53]
	global_load_dwordx4 v[32:35], v[58:59], off offset:16
	v_fmac_f64_e32 v[10:11], v[28:29], v[54:55]
	v_fmac_f64_e32 v[12:13], v[30:31], v[54:55]
	global_load_dwordx4 v[28:31], v[58:59], off
	v_lshl_add_u64 v[58:59], v[18:19], 3, s[8:9]
	v_add_u32_e32 v18, 4, v56
	v_lshl_add_u64 v[56:57], v[18:19], 3, s[10:11]
	v_fmac_f64_e32 v[8:9], v[24:25], v[54:55]
	v_fmac_f64_e32 v[0:1], v[26:27], v[54:55]
	global_load_dwordx4 v[24:27], v[58:59], off offset:16
	global_load_dwordx4 v[52:55], v[58:59], off
	v_add_u32_e32 v16, 0x600, v16
	global_load_dwordx4 v[56:59], v[56:57], off
	s_waitcnt vmcnt(5)
	v_fmac_f64_e32 v[10:11], v[48:49], v[36:37]
	v_fmac_f64_e32 v[12:13], v[50:51], v[36:37]
	global_load_dwordx4 v[48:51], v[60:61], off offset:16
	v_fmac_f64_e32 v[8:9], v[44:45], v[36:37]
	v_fmac_f64_e32 v[0:1], v[46:47], v[36:37]
	s_waitcnt vmcnt(5)
	v_fmac_f64_e32 v[8:9], v[32:33], v[38:39]
	v_fmac_f64_e32 v[0:1], v[34:35], v[38:39]
	s_waitcnt vmcnt(4)
	;; [unrolled: 3-line block ×3, first 2 shown]
	v_fmac_f64_e32 v[10:11], v[52:53], v[56:57]
	v_fmac_f64_e32 v[12:13], v[54:55], v[56:57]
	;; [unrolled: 1-line block ×6, first 2 shown]
	s_waitcnt vmcnt(0)
	v_fmac_f64_e32 v[8:9], v[48:49], v[58:59]
	v_fmac_f64_e32 v[0:1], v[50:51], v[58:59]
	s_andn2_b64 exec, exec, s[14:15]
	s_cbranch_execnz .LBB61_9
; %bb.10:
	s_or_b64 exec, exec, s[14:15]
.LBB61_11:
	s_or_b64 exec, exec, s[4:5]
	s_cbranch_execz .LBB61_13
	s_branch .LBB61_18
.LBB61_12:
                                        ; implicit-def: $vgpr10_vgpr11
                                        ; implicit-def: $vgpr0_vgpr1
                                        ; implicit-def: $vgpr8_vgpr9
                                        ; implicit-def: $vgpr12_vgpr13
.LBB61_13:
	v_mov_b64_e32 v[10:11], 0
	v_mov_b64_e32 v[0:1], 0
	;; [unrolled: 1-line block ×4, first 2 shown]
	s_and_saveexec_b64 s[4:5], s[2:3]
	s_cbranch_execz .LBB61_17
; %bb.14:
	v_mad_u64_u32 v[16:17], s[2:3], v14, 24, 23
	v_mov_b64_e32 v[10:11], 0
	s_mov_b64 s[2:3], 0
	v_mov_b32_e32 v19, 0
	v_mov_b64_e32 v[0:1], 0
	v_mov_b64_e32 v[8:9], 0
	;; [unrolled: 1-line block ×3, first 2 shown]
.LBB61_15:                              ; =>This Inner Loop Header: Depth=1
	v_ashrrev_i32_e32 v15, 31, v14
	v_subrev_u32_e32 v18, 23, v16
	v_add_u32_e32 v20, -11, v16
	v_add_u32_e32 v24, -5, v16
	v_mov_b32_e32 v21, v19
	v_mov_b32_e32 v25, v19
	v_lshl_add_u64 v[40:41], v[14:15], 2, s[6:7]
	v_lshl_add_u64 v[42:43], v[18:19], 3, s[8:9]
	;; [unrolled: 1-line block ×4, first 2 shown]
	global_load_dword v15, v[40:41], off
	global_load_dwordx4 v[24:27], v[42:43], off offset:48
	global_load_dwordx4 v[28:31], v[42:43], off offset:32
	;; [unrolled: 1-line block ×3, first 2 shown]
	global_load_dwordx4 v[36:39], v[42:43], off
	global_load_dwordx2 v[50:51], v[20:21], off
	global_load_dwordx2 v[52:53], v[46:47], off
	v_mov_b32_e32 v17, v19
	v_add_u32_e32 v18, -10, v16
	v_mov_b32_e32 v45, v19
	v_lshl_add_u64 v[48:49], v[16:17], 3, s[8:9]
	v_lshl_add_u64 v[20:21], v[18:19], 3, s[8:9]
	v_add_u32_e32 v18, -4, v16
	global_load_dwordx2 v[46:47], v[48:49], off
	v_lshl_add_u64 v[40:41], v[18:19], 3, s[8:9]
	global_load_dwordx2 v[48:49], v[20:21], off
	global_load_dwordx2 v[54:55], v[40:41], off
	v_add_u32_e32 v14, 64, v14
	v_cmp_ge_i32_e32 vcc, v14, v22
	s_or_b64 s[2:3], vcc, s[2:3]
	s_waitcnt vmcnt(9)
	v_subrev_u32_e32 v15, s12, v15
	v_mul_lo_u32 v44, v15, 6
	v_lshl_add_u64 v[20:21], v[44:45], 3, s[10:11]
	global_load_dwordx4 v[40:43], v[20:21], off
	v_add_u32_e32 v18, 2, v44
	v_lshl_add_u64 v[20:21], v[18:19], 3, s[10:11]
	v_add_u32_e32 v18, -15, v16
	v_lshl_add_u64 v[56:57], v[18:19], 3, s[8:9]
	v_add_u32_e32 v18, -9, v16
	;; [unrolled: 2-line block ×3, first 2 shown]
	s_waitcnt vmcnt(0)
	v_fmac_f64_e32 v[10:11], v[36:37], v[40:41]
	v_lshl_add_u64 v[36:37], v[18:19], 3, s[8:9]
	v_add_u32_e32 v18, -14, v16
	v_fmac_f64_e32 v[10:11], v[38:39], v[42:43]
	v_lshl_add_u64 v[38:39], v[18:19], 3, s[8:9]
	v_add_u32_e32 v18, -8, v16
	v_lshl_add_u64 v[60:61], v[18:19], 3, s[8:9]
	v_add_u32_e32 v18, -2, v16
	v_fmac_f64_e32 v[12:13], v[24:25], v[40:41]
	v_lshl_add_u64 v[62:63], v[18:19], 3, s[8:9]
	v_add_u32_e32 v18, 4, v44
	v_fmac_f64_e32 v[12:13], v[26:27], v[42:43]
	global_load_dwordx4 v[24:27], v[20:21], off
	global_load_dwordx2 v[44:45], v[56:57], off
	global_load_dwordx2 v[64:65], v[58:59], off
	global_load_dwordx2 v[66:67], v[36:37], off
	global_load_dwordx2 v[68:69], v[38:39], off
	global_load_dwordx2 v[70:71], v[60:61], off
	global_load_dwordx2 v[72:73], v[62:63], off
	v_lshl_add_u64 v[20:21], v[18:19], 3, s[10:11]
	v_add_u32_e32 v18, -13, v16
	global_load_dwordx4 v[36:39], v[20:21], off
	v_lshl_add_u64 v[20:21], v[18:19], 3, s[8:9]
	v_add_u32_e32 v18, -7, v16
	v_fmac_f64_e32 v[8:9], v[50:51], v[40:41]
	v_fmac_f64_e32 v[0:1], v[52:53], v[40:41]
	v_lshl_add_u64 v[40:41], v[18:19], 3, s[8:9]
	v_add_u32_e32 v18, -1, v16
	v_fmac_f64_e32 v[8:9], v[48:49], v[42:43]
	v_fmac_f64_e32 v[0:1], v[54:55], v[42:43]
	global_load_dwordx2 v[42:43], v[20:21], off
	global_load_dwordx2 v[48:49], v[40:41], off
	v_lshl_add_u64 v[20:21], v[18:19], 3, s[8:9]
	v_add_u32_e32 v18, -12, v16
	v_lshl_add_u64 v[40:41], v[18:19], 3, s[8:9]
	v_add_u32_e32 v18, -6, v16
	global_load_dwordx2 v[50:51], v[20:21], off
	global_load_dwordx2 v[52:53], v[40:41], off
	v_lshl_add_u64 v[20:21], v[18:19], 3, s[8:9]
	global_load_dwordx2 v[20:21], v[20:21], off
	v_add_u32_e32 v16, 0x600, v16
	s_waitcnt vmcnt(12)
	v_fmac_f64_e32 v[10:11], v[32:33], v[24:25]
	s_waitcnt vmcnt(11)
	v_fmac_f64_e32 v[12:13], v[44:45], v[24:25]
	s_waitcnt vmcnt(10)
	v_fmac_f64_e32 v[8:9], v[64:65], v[24:25]
	s_waitcnt vmcnt(9)
	v_fmac_f64_e32 v[0:1], v[66:67], v[24:25]
	v_fmac_f64_e32 v[10:11], v[34:35], v[26:27]
	s_waitcnt vmcnt(8)
	v_fmac_f64_e32 v[12:13], v[68:69], v[26:27]
	s_waitcnt vmcnt(7)
	v_fmac_f64_e32 v[8:9], v[70:71], v[26:27]
	s_waitcnt vmcnt(6)
	v_fmac_f64_e32 v[0:1], v[72:73], v[26:27]
	s_waitcnt vmcnt(5)
	v_fmac_f64_e32 v[10:11], v[28:29], v[36:37]
	v_fmac_f64_e32 v[10:11], v[30:31], v[38:39]
	;; [unrolled: 9-line block ×3, first 2 shown]
	s_waitcnt vmcnt(0)
	v_fmac_f64_e32 v[8:9], v[20:21], v[38:39]
	s_andn2_b64 exec, exec, s[2:3]
	s_cbranch_execnz .LBB61_15
; %bb.16:
	s_or_b64 exec, exec, s[2:3]
.LBB61_17:
	s_or_b64 exec, exec, s[4:5]
.LBB61_18:
	v_mov_b32_dpp v14, v10 row_shr:1 row_mask:0xf bank_mask:0xf
	v_mov_b32_dpp v15, v11 row_shr:1 row_mask:0xf bank_mask:0xf
	v_mov_b32_dpp v16, v12 row_shr:1 row_mask:0xf bank_mask:0xf
	v_mov_b32_dpp v17, v13 row_shr:1 row_mask:0xf bank_mask:0xf
	v_mov_b32_dpp v18, v8 row_shr:1 row_mask:0xf bank_mask:0xf
	v_mov_b32_dpp v19, v9 row_shr:1 row_mask:0xf bank_mask:0xf
	v_mov_b32_dpp v20, v0 row_shr:1 row_mask:0xf bank_mask:0xf
	v_mov_b32_dpp v21, v1 row_shr:1 row_mask:0xf bank_mask:0xf
	v_add_f64 v[10:11], v[10:11], v[14:15]
	v_add_f64 v[12:13], v[12:13], v[16:17]
	v_add_f64 v[8:9], v[8:9], v[18:19]
	v_add_f64 v[0:1], v[0:1], v[20:21]
	v_mov_b32_dpp v14, v10 row_shr:2 row_mask:0xf bank_mask:0xf
	v_mov_b32_dpp v15, v11 row_shr:2 row_mask:0xf bank_mask:0xf
	v_mov_b32_dpp v16, v12 row_shr:2 row_mask:0xf bank_mask:0xf
	v_mov_b32_dpp v17, v13 row_shr:2 row_mask:0xf bank_mask:0xf
	v_mov_b32_dpp v18, v8 row_shr:2 row_mask:0xf bank_mask:0xf
	v_mov_b32_dpp v19, v9 row_shr:2 row_mask:0xf bank_mask:0xf
	v_mov_b32_dpp v20, v0 row_shr:2 row_mask:0xf bank_mask:0xf
	v_mov_b32_dpp v21, v1 row_shr:2 row_mask:0xf bank_mask:0xf
	v_add_f64 v[10:11], v[10:11], v[14:15]
	v_add_f64 v[12:13], v[12:13], v[16:17]
	v_add_f64 v[8:9], v[8:9], v[18:19]
	v_add_f64 v[0:1], v[0:1], v[20:21]
	;; [unrolled: 12-line block ×4, first 2 shown]
	v_mov_b32_dpp v14, v10 row_bcast:15 row_mask:0xa bank_mask:0xf
	v_mov_b32_dpp v15, v11 row_bcast:15 row_mask:0xa bank_mask:0xf
	;; [unrolled: 1-line block ×8, first 2 shown]
	v_add_f64 v[10:11], v[10:11], v[14:15]
	v_add_f64 v[12:13], v[12:13], v[16:17]
	;; [unrolled: 1-line block ×4, first 2 shown]
	v_mov_b32_dpp v14, v10 row_bcast:31 row_mask:0xc bank_mask:0xf
	v_mov_b32_dpp v15, v11 row_bcast:31 row_mask:0xc bank_mask:0xf
	;; [unrolled: 1-line block ×8, first 2 shown]
	v_cmp_eq_u32_e32 vcc, 63, v7
	s_and_b64 exec, exec, vcc
	s_cbranch_execz .LBB61_23
; %bb.19:
	s_load_dwordx2 s[0:1], s[0:1], 0x38
	v_add_f64 v[14:15], v[10:11], v[14:15]
	v_add_f64 v[10:11], v[12:13], v[16:17]
	;; [unrolled: 1-line block ×4, first 2 shown]
	v_cmp_eq_f64_e32 vcc, 0, v[4:5]
	s_and_saveexec_b64 s[2:3], vcc
	s_xor_b64 s[2:3], exec, s[2:3]
	s_cbranch_execz .LBB61_21
; %bb.20:
	v_lshlrev_b32_e32 v6, 2, v6
	v_ashrrev_i32_e32 v7, 31, v6
	v_mul_f64 v[4:5], v[2:3], v[14:15]
	s_waitcnt lgkmcnt(0)
	v_lshl_add_u64 v[12:13], v[6:7], 3, s[0:1]
	v_mul_f64 v[6:7], v[2:3], v[10:11]
	v_mul_f64 v[0:1], v[2:3], v[0:1]
	;; [unrolled: 1-line block ×3, first 2 shown]
	global_store_dwordx4 v[12:13], v[4:7], off
	global_store_dwordx4 v[12:13], v[0:3], off offset:16
                                        ; implicit-def: $vgpr6
                                        ; implicit-def: $vgpr2_vgpr3
                                        ; implicit-def: $vgpr14_vgpr15
                                        ; implicit-def: $vgpr4_vgpr5
                                        ; implicit-def: $vgpr10_vgpr11
                                        ; implicit-def: $vgpr0_vgpr1
                                        ; implicit-def: $vgpr8_vgpr9
.LBB61_21:
	s_andn2_saveexec_b64 s[2:3], s[2:3]
	s_cbranch_execz .LBB61_23
; %bb.22:
	v_lshlrev_b32_e32 v6, 2, v6
	v_ashrrev_i32_e32 v7, 31, v6
	s_waitcnt lgkmcnt(0)
	v_lshl_add_u64 v[6:7], v[6:7], 3, s[0:1]
	global_load_dwordx4 v[16:19], v[6:7], off
	global_load_dwordx4 v[20:23], v[6:7], off offset:16
	v_mul_f64 v[12:13], v[2:3], v[14:15]
	v_mul_f64 v[14:15], v[2:3], v[10:11]
	;; [unrolled: 1-line block ×4, first 2 shown]
	s_waitcnt vmcnt(1)
	v_fmac_f64_e32 v[12:13], v[4:5], v[16:17]
	v_fmac_f64_e32 v[14:15], v[4:5], v[18:19]
	s_waitcnt vmcnt(0)
	v_fmac_f64_e32 v[0:1], v[4:5], v[20:21]
	v_fmac_f64_e32 v[2:3], v[4:5], v[22:23]
	global_store_dwordx4 v[6:7], v[12:15], off
	global_store_dwordx4 v[6:7], v[0:3], off offset:16
.LBB61_23:
	s_endpgm
	.section	.rodata,"a",@progbits
	.p2align	6, 0x0
	.amdhsa_kernel _ZN9rocsparseL19gebsrmvn_4xn_kernelILj128ELj6ELj64EdEEvi20rocsparse_direction_NS_24const_host_device_scalarIT2_EEPKiS6_PKS3_S8_S4_PS3_21rocsparse_index_base_b
		.amdhsa_group_segment_fixed_size 0
		.amdhsa_private_segment_fixed_size 0
		.amdhsa_kernarg_size 72
		.amdhsa_user_sgpr_count 2
		.amdhsa_user_sgpr_dispatch_ptr 0
		.amdhsa_user_sgpr_queue_ptr 0
		.amdhsa_user_sgpr_kernarg_segment_ptr 1
		.amdhsa_user_sgpr_dispatch_id 0
		.amdhsa_user_sgpr_kernarg_preload_length 0
		.amdhsa_user_sgpr_kernarg_preload_offset 0
		.amdhsa_user_sgpr_private_segment_size 0
		.amdhsa_uses_dynamic_stack 0
		.amdhsa_enable_private_segment 0
		.amdhsa_system_sgpr_workgroup_id_x 1
		.amdhsa_system_sgpr_workgroup_id_y 0
		.amdhsa_system_sgpr_workgroup_id_z 0
		.amdhsa_system_sgpr_workgroup_info 0
		.amdhsa_system_vgpr_workitem_id 0
		.amdhsa_next_free_vgpr 74
		.amdhsa_next_free_sgpr 16
		.amdhsa_accum_offset 76
		.amdhsa_reserve_vcc 1
		.amdhsa_float_round_mode_32 0
		.amdhsa_float_round_mode_16_64 0
		.amdhsa_float_denorm_mode_32 3
		.amdhsa_float_denorm_mode_16_64 3
		.amdhsa_dx10_clamp 1
		.amdhsa_ieee_mode 1
		.amdhsa_fp16_overflow 0
		.amdhsa_tg_split 0
		.amdhsa_exception_fp_ieee_invalid_op 0
		.amdhsa_exception_fp_denorm_src 0
		.amdhsa_exception_fp_ieee_div_zero 0
		.amdhsa_exception_fp_ieee_overflow 0
		.amdhsa_exception_fp_ieee_underflow 0
		.amdhsa_exception_fp_ieee_inexact 0
		.amdhsa_exception_int_div_zero 0
	.end_amdhsa_kernel
	.section	.text._ZN9rocsparseL19gebsrmvn_4xn_kernelILj128ELj6ELj64EdEEvi20rocsparse_direction_NS_24const_host_device_scalarIT2_EEPKiS6_PKS3_S8_S4_PS3_21rocsparse_index_base_b,"axG",@progbits,_ZN9rocsparseL19gebsrmvn_4xn_kernelILj128ELj6ELj64EdEEvi20rocsparse_direction_NS_24const_host_device_scalarIT2_EEPKiS6_PKS3_S8_S4_PS3_21rocsparse_index_base_b,comdat
.Lfunc_end61:
	.size	_ZN9rocsparseL19gebsrmvn_4xn_kernelILj128ELj6ELj64EdEEvi20rocsparse_direction_NS_24const_host_device_scalarIT2_EEPKiS6_PKS3_S8_S4_PS3_21rocsparse_index_base_b, .Lfunc_end61-_ZN9rocsparseL19gebsrmvn_4xn_kernelILj128ELj6ELj64EdEEvi20rocsparse_direction_NS_24const_host_device_scalarIT2_EEPKiS6_PKS3_S8_S4_PS3_21rocsparse_index_base_b
                                        ; -- End function
	.set _ZN9rocsparseL19gebsrmvn_4xn_kernelILj128ELj6ELj64EdEEvi20rocsparse_direction_NS_24const_host_device_scalarIT2_EEPKiS6_PKS3_S8_S4_PS3_21rocsparse_index_base_b.num_vgpr, 74
	.set _ZN9rocsparseL19gebsrmvn_4xn_kernelILj128ELj6ELj64EdEEvi20rocsparse_direction_NS_24const_host_device_scalarIT2_EEPKiS6_PKS3_S8_S4_PS3_21rocsparse_index_base_b.num_agpr, 0
	.set _ZN9rocsparseL19gebsrmvn_4xn_kernelILj128ELj6ELj64EdEEvi20rocsparse_direction_NS_24const_host_device_scalarIT2_EEPKiS6_PKS3_S8_S4_PS3_21rocsparse_index_base_b.numbered_sgpr, 16
	.set _ZN9rocsparseL19gebsrmvn_4xn_kernelILj128ELj6ELj64EdEEvi20rocsparse_direction_NS_24const_host_device_scalarIT2_EEPKiS6_PKS3_S8_S4_PS3_21rocsparse_index_base_b.num_named_barrier, 0
	.set _ZN9rocsparseL19gebsrmvn_4xn_kernelILj128ELj6ELj64EdEEvi20rocsparse_direction_NS_24const_host_device_scalarIT2_EEPKiS6_PKS3_S8_S4_PS3_21rocsparse_index_base_b.private_seg_size, 0
	.set _ZN9rocsparseL19gebsrmvn_4xn_kernelILj128ELj6ELj64EdEEvi20rocsparse_direction_NS_24const_host_device_scalarIT2_EEPKiS6_PKS3_S8_S4_PS3_21rocsparse_index_base_b.uses_vcc, 1
	.set _ZN9rocsparseL19gebsrmvn_4xn_kernelILj128ELj6ELj64EdEEvi20rocsparse_direction_NS_24const_host_device_scalarIT2_EEPKiS6_PKS3_S8_S4_PS3_21rocsparse_index_base_b.uses_flat_scratch, 0
	.set _ZN9rocsparseL19gebsrmvn_4xn_kernelILj128ELj6ELj64EdEEvi20rocsparse_direction_NS_24const_host_device_scalarIT2_EEPKiS6_PKS3_S8_S4_PS3_21rocsparse_index_base_b.has_dyn_sized_stack, 0
	.set _ZN9rocsparseL19gebsrmvn_4xn_kernelILj128ELj6ELj64EdEEvi20rocsparse_direction_NS_24const_host_device_scalarIT2_EEPKiS6_PKS3_S8_S4_PS3_21rocsparse_index_base_b.has_recursion, 0
	.set _ZN9rocsparseL19gebsrmvn_4xn_kernelILj128ELj6ELj64EdEEvi20rocsparse_direction_NS_24const_host_device_scalarIT2_EEPKiS6_PKS3_S8_S4_PS3_21rocsparse_index_base_b.has_indirect_call, 0
	.section	.AMDGPU.csdata,"",@progbits
; Kernel info:
; codeLenInByte = 2208
; TotalNumSgprs: 22
; NumVgprs: 74
; NumAgprs: 0
; TotalNumVgprs: 74
; ScratchSize: 0
; MemoryBound: 1
; FloatMode: 240
; IeeeMode: 1
; LDSByteSize: 0 bytes/workgroup (compile time only)
; SGPRBlocks: 2
; VGPRBlocks: 9
; NumSGPRsForWavesPerEU: 22
; NumVGPRsForWavesPerEU: 74
; AccumOffset: 76
; Occupancy: 6
; WaveLimiterHint : 1
; COMPUTE_PGM_RSRC2:SCRATCH_EN: 0
; COMPUTE_PGM_RSRC2:USER_SGPR: 2
; COMPUTE_PGM_RSRC2:TRAP_HANDLER: 0
; COMPUTE_PGM_RSRC2:TGID_X_EN: 1
; COMPUTE_PGM_RSRC2:TGID_Y_EN: 0
; COMPUTE_PGM_RSRC2:TGID_Z_EN: 0
; COMPUTE_PGM_RSRC2:TIDIG_COMP_CNT: 0
; COMPUTE_PGM_RSRC3_GFX90A:ACCUM_OFFSET: 18
; COMPUTE_PGM_RSRC3_GFX90A:TG_SPLIT: 0
	.section	.text._ZN9rocsparseL19gebsrmvn_4xn_kernelILj128ELj7ELj4EdEEvi20rocsparse_direction_NS_24const_host_device_scalarIT2_EEPKiS6_PKS3_S8_S4_PS3_21rocsparse_index_base_b,"axG",@progbits,_ZN9rocsparseL19gebsrmvn_4xn_kernelILj128ELj7ELj4EdEEvi20rocsparse_direction_NS_24const_host_device_scalarIT2_EEPKiS6_PKS3_S8_S4_PS3_21rocsparse_index_base_b,comdat
	.globl	_ZN9rocsparseL19gebsrmvn_4xn_kernelILj128ELj7ELj4EdEEvi20rocsparse_direction_NS_24const_host_device_scalarIT2_EEPKiS6_PKS3_S8_S4_PS3_21rocsparse_index_base_b ; -- Begin function _ZN9rocsparseL19gebsrmvn_4xn_kernelILj128ELj7ELj4EdEEvi20rocsparse_direction_NS_24const_host_device_scalarIT2_EEPKiS6_PKS3_S8_S4_PS3_21rocsparse_index_base_b
	.p2align	8
	.type	_ZN9rocsparseL19gebsrmvn_4xn_kernelILj128ELj7ELj4EdEEvi20rocsparse_direction_NS_24const_host_device_scalarIT2_EEPKiS6_PKS3_S8_S4_PS3_21rocsparse_index_base_b,@function
_ZN9rocsparseL19gebsrmvn_4xn_kernelILj128ELj7ELj4EdEEvi20rocsparse_direction_NS_24const_host_device_scalarIT2_EEPKiS6_PKS3_S8_S4_PS3_21rocsparse_index_base_b: ; @_ZN9rocsparseL19gebsrmvn_4xn_kernelILj128ELj7ELj4EdEEvi20rocsparse_direction_NS_24const_host_device_scalarIT2_EEPKiS6_PKS3_S8_S4_PS3_21rocsparse_index_base_b
; %bb.0:
	s_load_dwordx2 s[12:13], s[0:1], 0x40
	s_load_dwordx2 s[8:9], s[0:1], 0x8
	;; [unrolled: 1-line block ×3, first 2 shown]
	s_waitcnt lgkmcnt(0)
	s_bitcmp1_b32 s13, 0
	s_cselect_b64 s[10:11], -1, 0
	s_xor_b64 s[6:7], s[10:11], -1
	s_and_b64 vcc, exec, s[10:11]
	v_mov_b64_e32 v[2:3], s[8:9]
	s_cbranch_vccnz .LBB62_2
; %bb.1:
	v_mov_b64_e32 v[2:3], s[8:9]
	flat_load_dwordx2 v[2:3], v[2:3]
.LBB62_2:
	s_andn2_b64 vcc, exec, s[6:7]
	v_mov_b64_e32 v[4:5], s[4:5]
	s_cbranch_vccnz .LBB62_4
; %bb.3:
	v_mov_b64_e32 v[4:5], s[4:5]
	flat_load_dwordx2 v[4:5], v[4:5]
.LBB62_4:
	s_waitcnt vmcnt(0) lgkmcnt(0)
	v_cmp_neq_f64_e32 vcc, 0, v[2:3]
	v_cmp_neq_f64_e64 s[4:5], 1.0, v[4:5]
	s_or_b64 s[4:5], vcc, s[4:5]
	s_and_saveexec_b64 s[6:7], s[4:5]
	s_cbranch_execz .LBB62_23
; %bb.5:
	s_load_dwordx2 s[14:15], s[0:1], 0x0
	v_lshrrev_b32_e32 v1, 2, v0
	v_lshl_or_b32 v6, s2, 5, v1
	s_waitcnt lgkmcnt(0)
	v_cmp_gt_i32_e32 vcc, s14, v6
	s_and_b64 exec, exec, vcc
	s_cbranch_execz .LBB62_23
; %bb.6:
	s_load_dwordx8 s[4:11], s[0:1], 0x10
	v_ashrrev_i32_e32 v7, 31, v6
	s_cmp_lg_u32 s15, 0
	s_waitcnt lgkmcnt(0)
	v_lshl_add_u64 v[8:9], v[6:7], 2, s[4:5]
	global_load_dwordx2 v[8:9], v[8:9], off
	v_and_b32_e32 v7, 3, v0
	s_waitcnt vmcnt(0)
	v_subrev_u32_e32 v0, s12, v8
	v_subrev_u32_e32 v24, s12, v9
	v_add_u32_e32 v12, v0, v7
	v_cmp_lt_i32_e64 s[2:3], v12, v24
	s_cbranch_scc0 .LBB62_12
; %bb.7:
	v_mov_b64_e32 v[8:9], 0
	v_mov_b64_e32 v[0:1], 0
	;; [unrolled: 1-line block ×4, first 2 shown]
	s_and_saveexec_b64 s[4:5], s[2:3]
	s_cbranch_execz .LBB62_11
; %bb.8:
	v_mad_u64_u32 v[16:17], s[14:15], v12, 28, 24
	v_mov_b64_e32 v[8:9], 0
	s_mov_b64 s[14:15], 0
	v_mov_b32_e32 v19, 0
	v_mov_b32_e32 v20, v12
	v_mov_b64_e32 v[0:1], 0
	v_mov_b64_e32 v[10:11], 0
	;; [unrolled: 1-line block ×3, first 2 shown]
.LBB62_9:                               ; =>This Inner Loop Header: Depth=1
	v_ashrrev_i32_e32 v21, 31, v20
	v_subrev_u32_e32 v18, 24, v16
	v_lshl_add_u64 v[34:35], v[20:21], 2, s[6:7]
	v_lshl_add_u64 v[36:37], v[18:19], 3, s[8:9]
	global_load_dword v13, v[34:35], off
	global_load_dwordx4 v[26:29], v[36:37], off offset:16
	global_load_dwordx4 v[30:33], v[36:37], off
	v_mov_b32_e32 v17, v19
	v_mov_b32_e32 v23, v19
	v_subrev_u32_e32 v18, 20, v16
	v_lshl_add_u64 v[50:51], v[16:17], 3, s[8:9]
	v_lshl_add_u64 v[52:53], v[18:19], 3, s[8:9]
	global_load_dwordx4 v[34:37], v[50:51], off offset:16
	global_load_dwordx4 v[38:41], v[50:51], off
	global_load_dwordx4 v[42:45], v[52:53], off offset:16
	global_load_dwordx4 v[46:49], v[52:53], off
	v_add_u32_e32 v20, 4, v20
	v_cmp_ge_i32_e32 vcc, v20, v24
	s_or_b64 s[14:15], vcc, s[14:15]
	s_waitcnt vmcnt(6)
	v_subrev_u32_e32 v13, s12, v13
	v_mul_lo_u32 v22, v13, 7
	v_lshl_add_u64 v[50:51], v[22:23], 3, s[10:11]
	global_load_dwordx2 v[58:59], v[50:51], off
	v_add_u32_e32 v18, 1, v22
	v_lshl_add_u64 v[50:51], v[18:19], 3, s[10:11]
	global_load_dwordx2 v[60:61], v[50:51], off
	v_add_u32_e32 v18, -16, v16
	v_lshl_add_u64 v[62:63], v[18:19], 3, s[8:9]
	v_add_u32_e32 v18, 2, v22
	global_load_dwordx4 v[50:53], v[62:63], off offset:16
	global_load_dwordx4 v[54:57], v[62:63], off
	s_waitcnt vmcnt(3)
	v_fmac_f64_e32 v[8:9], v[30:31], v[58:59]
	v_lshl_add_u64 v[30:31], v[18:19], 3, s[10:11]
	v_add_u32_e32 v18, -12, v16
	global_load_dwordx2 v[62:63], v[30:31], off
	v_lshl_add_u64 v[64:65], v[18:19], 3, s[8:9]
	v_add_u32_e32 v18, 3, v22
	s_waitcnt vmcnt(3)
	v_fmac_f64_e32 v[8:9], v[46:47], v[60:61]
	v_lshl_add_u64 v[46:47], v[18:19], 3, s[10:11]
	v_fmac_f64_e32 v[14:15], v[32:33], v[58:59]
	v_fmac_f64_e32 v[10:11], v[26:27], v[58:59]
	;; [unrolled: 1-line block ×3, first 2 shown]
	global_load_dwordx4 v[26:29], v[64:65], off offset:16
	global_load_dwordx4 v[30:33], v[64:65], off
	global_load_dwordx2 v[58:59], v[46:47], off
	v_add_u32_e32 v18, -8, v16
	v_lshl_add_u64 v[64:65], v[18:19], 3, s[8:9]
	v_add_u32_e32 v18, 4, v22
	v_fmac_f64_e32 v[14:15], v[48:49], v[60:61]
	v_fmac_f64_e32 v[10:11], v[42:43], v[60:61]
	;; [unrolled: 1-line block ×3, first 2 shown]
	global_load_dwordx4 v[42:45], v[64:65], off offset:16
	global_load_dwordx4 v[46:49], v[64:65], off
	s_waitcnt vmcnt(5)
	v_fmac_f64_e32 v[8:9], v[54:55], v[62:63]
	v_lshl_add_u64 v[54:55], v[18:19], 3, s[10:11]
	v_add_u32_e32 v18, -4, v16
	v_lshl_add_u64 v[64:65], v[18:19], 3, s[8:9]
	v_add_u32_e32 v18, 5, v22
	v_fmac_f64_e32 v[14:15], v[56:57], v[62:63]
	global_load_dwordx2 v[60:61], v[54:55], off
	v_fmac_f64_e32 v[10:11], v[50:51], v[62:63]
	v_fmac_f64_e32 v[0:1], v[52:53], v[62:63]
	v_lshl_add_u64 v[62:63], v[18:19], 3, s[10:11]
	v_add_u32_e32 v18, 6, v22
	global_load_dwordx4 v[50:53], v[64:65], off offset:16
	global_load_dwordx4 v[54:57], v[64:65], off
	global_load_dwordx2 v[22:23], v[62:63], off
	s_waitcnt vmcnt(6)
	v_fmac_f64_e32 v[8:9], v[30:31], v[58:59]
	v_lshl_add_u64 v[30:31], v[18:19], 3, s[10:11]
	global_load_dwordx2 v[30:31], v[30:31], off
	v_fmac_f64_e32 v[14:15], v[32:33], v[58:59]
	v_fmac_f64_e32 v[10:11], v[26:27], v[58:59]
	;; [unrolled: 1-line block ×3, first 2 shown]
	v_add_u32_e32 v16, 0x70, v16
	s_waitcnt vmcnt(4)
	v_fmac_f64_e32 v[8:9], v[46:47], v[60:61]
	v_fmac_f64_e32 v[14:15], v[48:49], v[60:61]
	v_fmac_f64_e32 v[10:11], v[42:43], v[60:61]
	v_fmac_f64_e32 v[0:1], v[44:45], v[60:61]
	s_waitcnt vmcnt(1)
	v_fmac_f64_e32 v[8:9], v[54:55], v[22:23]
	v_fmac_f64_e32 v[14:15], v[56:57], v[22:23]
	v_fmac_f64_e32 v[10:11], v[50:51], v[22:23]
	v_fmac_f64_e32 v[0:1], v[52:53], v[22:23]
	;; [unrolled: 5-line block ×3, first 2 shown]
	s_andn2_b64 exec, exec, s[14:15]
	s_cbranch_execnz .LBB62_9
; %bb.10:
	s_or_b64 exec, exec, s[14:15]
.LBB62_11:
	s_or_b64 exec, exec, s[4:5]
	s_cbranch_execz .LBB62_13
	s_branch .LBB62_18
.LBB62_12:
                                        ; implicit-def: $vgpr8_vgpr9
                                        ; implicit-def: $vgpr0_vgpr1
                                        ; implicit-def: $vgpr10_vgpr11
                                        ; implicit-def: $vgpr14_vgpr15
.LBB62_13:
	v_mov_b64_e32 v[8:9], 0
	v_mov_b64_e32 v[0:1], 0
	;; [unrolled: 1-line block ×4, first 2 shown]
	s_and_saveexec_b64 s[4:5], s[2:3]
	s_cbranch_execz .LBB62_17
; %bb.14:
	v_mad_u64_u32 v[16:17], s[2:3], v12, 28, 27
	v_mov_b64_e32 v[8:9], 0
	s_mov_b64 s[2:3], 0
	v_mov_b32_e32 v19, 0
	v_mov_b64_e32 v[0:1], 0
	v_mov_b64_e32 v[10:11], 0
	v_mov_b64_e32 v[14:15], 0
.LBB62_15:                              ; =>This Inner Loop Header: Depth=1
	v_ashrrev_i32_e32 v13, 31, v12
	v_subrev_u32_e32 v18, 27, v16
	v_subrev_u32_e32 v22, 20, v16
	v_add_u32_e32 v26, -13, v16
	v_add_u32_e32 v28, -6, v16
	v_mov_b32_e32 v23, v19
	v_mov_b32_e32 v27, v19
	;; [unrolled: 1-line block ×3, first 2 shown]
	v_lshl_add_u64 v[30:31], v[12:13], 2, s[6:7]
	v_lshl_add_u64 v[32:33], v[18:19], 3, s[8:9]
	;; [unrolled: 1-line block ×5, first 2 shown]
	global_load_dword v13, v[30:31], off
	global_load_dwordx4 v[26:29], v[32:33], off
	global_load_dwordx2 v[38:39], v[22:23], off
	global_load_dwordx2 v[40:41], v[34:35], off
	;; [unrolled: 1-line block ×3, first 2 shown]
	v_mov_b32_e32 v21, v19
	v_mov_b32_e32 v17, v19
	v_add_u32_e32 v12, 4, v12
	v_cmp_ge_i32_e32 vcc, v12, v24
	s_or_b64 s[2:3], vcc, s[2:3]
	s_waitcnt vmcnt(4)
	v_subrev_u32_e32 v13, s12, v13
	v_mul_lo_u32 v20, v13, 7
	v_lshl_add_u64 v[22:23], v[20:21], 3, s[10:11]
	global_load_dwordx2 v[22:23], v[22:23], off
	v_add_u32_e32 v18, 1, v20
	v_lshl_add_u64 v[30:31], v[18:19], 3, s[10:11]
	v_subrev_u32_e32 v18, 19, v16
	global_load_dwordx2 v[30:31], v[30:31], off
	v_lshl_add_u64 v[34:35], v[18:19], 3, s[8:9]
	v_add_u32_e32 v18, -12, v16
	global_load_dwordx2 v[34:35], v[34:35], off
	v_lshl_add_u64 v[36:37], v[18:19], 3, s[8:9]
	v_add_u32_e32 v18, -5, v16
	global_load_dwordx2 v[36:37], v[36:37], off
	v_lshl_add_u64 v[44:45], v[18:19], 3, s[8:9]
	global_load_dwordx2 v[44:45], v[44:45], off
	v_add_u32_e32 v18, 2, v20
	v_lshl_add_u64 v[46:47], v[18:19], 3, s[10:11]
	v_subrev_u32_e32 v18, 18, v16
	v_lshl_add_u64 v[48:49], v[18:19], 3, s[8:9]
	v_add_u32_e32 v18, -11, v16
	v_lshl_add_u64 v[50:51], v[18:19], 3, s[8:9]
	v_add_u32_e32 v18, -4, v16
	v_lshl_add_u64 v[52:53], v[18:19], 3, s[8:9]
	v_add_u32_e32 v18, 3, v20
	v_lshl_add_u64 v[54:55], v[18:19], 3, s[10:11]
	v_subrev_u32_e32 v18, 17, v16
	v_lshl_add_u64 v[56:57], v[18:19], 3, s[8:9]
	v_add_u32_e32 v18, -10, v16
	v_lshl_add_u64 v[58:59], v[18:19], 3, s[8:9]
	v_add_u32_e32 v18, -3, v16
	s_waitcnt vmcnt(4)
	v_fmac_f64_e32 v[14:15], v[38:39], v[22:23]
	v_lshl_add_u64 v[38:39], v[18:19], 3, s[8:9]
	v_subrev_u32_e32 v18, 23, v16
	v_fmac_f64_e32 v[10:11], v[40:41], v[22:23]
	v_lshl_add_u64 v[40:41], v[18:19], 3, s[8:9]
	v_add_u32_e32 v18, 4, v20
	v_fmac_f64_e32 v[0:1], v[42:43], v[22:23]
	v_lshl_add_u64 v[42:43], v[18:19], 3, s[10:11]
	v_add_u32_e32 v18, -16, v16
	v_fmac_f64_e32 v[8:9], v[26:27], v[22:23]
	v_lshl_add_u64 v[26:27], v[18:19], 3, s[8:9]
	v_add_u32_e32 v18, -9, v16
	s_waitcnt vmcnt(3)
	v_fmac_f64_e32 v[8:9], v[28:29], v[30:31]
	v_lshl_add_u64 v[28:29], v[18:19], 3, s[8:9]
	v_add_u32_e32 v18, -2, v16
	v_lshl_add_u64 v[60:61], v[18:19], 3, s[8:9]
	v_subrev_u32_e32 v18, 22, v16
	s_waitcnt vmcnt(2)
	v_fmac_f64_e32 v[14:15], v[34:35], v[30:31]
	v_lshl_add_u64 v[34:35], v[18:19], 3, s[8:9]
	v_add_u32_e32 v18, 5, v20
	s_waitcnt vmcnt(1)
	v_fmac_f64_e32 v[10:11], v[36:37], v[30:31]
	v_lshl_add_u64 v[36:37], v[18:19], 3, s[10:11]
	v_add_u32_e32 v18, -15, v16
	s_waitcnt vmcnt(0)
	v_fmac_f64_e32 v[0:1], v[44:45], v[30:31]
	v_lshl_add_u64 v[30:31], v[18:19], 3, s[8:9]
	v_add_u32_e32 v18, -8, v16
	v_lshl_add_u64 v[44:45], v[18:19], 3, s[8:9]
	v_add_u32_e32 v18, -1, v16
	v_lshl_add_u64 v[62:63], v[18:19], 3, s[8:9]
	v_subrev_u32_e32 v18, 21, v16
	v_lshl_add_u64 v[64:65], v[18:19], 3, s[8:9]
	v_add_u32_e32 v18, 6, v20
	global_load_dwordx2 v[66:67], v[46:47], off
	global_load_dwordx2 v[20:21], v[48:49], off
	v_lshl_add_u64 v[46:47], v[16:17], 3, s[8:9]
	s_waitcnt vmcnt(0)
	v_fmac_f64_e32 v[14:15], v[20:21], v[66:67]
	global_load_dwordx2 v[20:21], v[50:51], off
	s_waitcnt vmcnt(0)
	v_fmac_f64_e32 v[10:11], v[20:21], v[66:67]
	global_load_dwordx2 v[20:21], v[52:53], off
	s_waitcnt vmcnt(0)
	v_fmac_f64_e32 v[0:1], v[20:21], v[66:67]
	global_load_dwordx4 v[20:23], v[32:33], off offset:16
	global_load_dwordx2 v[48:49], v[46:47], off
	global_load_dwordx2 v[50:51], v[54:55], off
	;; [unrolled: 1-line block ×14, first 2 shown]
                                        ; kill: killed $vgpr42_vgpr43
                                        ; kill: killed $vgpr36_vgpr37
                                        ; kill: killed $vgpr40_vgpr41
                                        ; kill: killed $vgpr34_vgpr35
                                        ; kill: killed $vgpr46_vgpr47
                                        ; kill: killed $vgpr38_vgpr39
                                        ; kill: killed $vgpr60_vgpr61
                                        ; kill: killed $vgpr56_vgpr57
                                        ; kill: killed $vgpr26_vgpr27
                                        ; kill: killed $vgpr54_vgpr55
                                        ; kill: killed $vgpr30_vgpr31
                                        ; kill: killed $vgpr32_vgpr33
                                        ; kill: killed $vgpr58_vgpr59
                                        ; kill: killed $vgpr28_vgpr29
                                        ; kill: killed $vgpr44_vgpr45
	global_load_dwordx2 v[26:27], v[62:63], off
	global_load_dwordx2 v[28:29], v[64:65], off
	s_waitcnt vmcnt(16)
	v_fmac_f64_e32 v[8:9], v[20:21], v[66:67]
	v_lshl_add_u64 v[20:21], v[18:19], 3, s[10:11]
	v_add_u32_e32 v18, -14, v16
	s_waitcnt vmcnt(14)
	v_fmac_f64_e32 v[8:9], v[22:23], v[50:51]
	v_lshl_add_u64 v[22:23], v[18:19], 3, s[8:9]
	v_add_u32_e32 v18, -7, v16
	global_load_dwordx2 v[20:21], v[20:21], off
	v_lshl_add_u64 v[30:31], v[18:19], 3, s[8:9]
	global_load_dwordx2 v[32:33], v[22:23], off
	global_load_dwordx2 v[34:35], v[30:31], off
	s_waitcnt vmcnt(16)
	v_fmac_f64_e32 v[14:15], v[52:53], v[50:51]
	s_waitcnt vmcnt(15)
	v_fmac_f64_e32 v[10:11], v[68:69], v[50:51]
	;; [unrolled: 2-line block ×10, first 2 shown]
	v_add_u32_e32 v16, 0x70, v16
	s_waitcnt vmcnt(4)
	v_fmac_f64_e32 v[0:1], v[26:27], v[84:85]
	s_waitcnt vmcnt(2)
	v_fmac_f64_e32 v[8:9], v[28:29], v[20:21]
	v_fmac_f64_e32 v[0:1], v[48:49], v[20:21]
	s_waitcnt vmcnt(1)
	v_fmac_f64_e32 v[14:15], v[32:33], v[20:21]
	s_waitcnt vmcnt(0)
	v_fmac_f64_e32 v[10:11], v[34:35], v[20:21]
	s_andn2_b64 exec, exec, s[2:3]
	s_cbranch_execnz .LBB62_15
; %bb.16:
	s_or_b64 exec, exec, s[2:3]
.LBB62_17:
	s_or_b64 exec, exec, s[4:5]
.LBB62_18:
	v_mov_b32_dpp v18, v10 row_shr:1 row_mask:0xf bank_mask:0xf
	v_mov_b32_dpp v19, v11 row_shr:1 row_mask:0xf bank_mask:0xf
	;; [unrolled: 1-line block ×6, first 2 shown]
	v_add_f64 v[18:19], v[10:11], v[18:19]
	v_mov_b32_dpp v10, v0 row_shr:1 row_mask:0xf bank_mask:0xf
	v_mov_b32_dpp v11, v1 row_shr:1 row_mask:0xf bank_mask:0xf
	v_add_f64 v[8:9], v[8:9], v[12:13]
	v_add_f64 v[14:15], v[14:15], v[16:17]
	;; [unrolled: 1-line block ×3, first 2 shown]
	v_mov_b32_dpp v12, v8 row_shr:2 row_mask:0xf bank_mask:0xf
	v_mov_b32_dpp v13, v9 row_shr:2 row_mask:0xf bank_mask:0xf
	;; [unrolled: 1-line block ×8, first 2 shown]
	v_cmp_eq_u32_e32 vcc, 3, v7
	s_and_b64 exec, exec, vcc
	s_cbranch_execz .LBB62_23
; %bb.19:
	s_load_dwordx2 s[0:1], s[0:1], 0x38
	v_add_f64 v[12:13], v[8:9], v[12:13]
	v_add_f64 v[10:11], v[14:15], v[16:17]
	;; [unrolled: 1-line block ×4, first 2 shown]
	v_cmp_eq_f64_e32 vcc, 0, v[4:5]
	s_and_saveexec_b64 s[2:3], vcc
	s_xor_b64 s[2:3], exec, s[2:3]
	s_cbranch_execz .LBB62_21
; %bb.20:
	v_lshlrev_b32_e32 v6, 2, v6
	v_ashrrev_i32_e32 v7, 31, v6
	v_mul_f64 v[4:5], v[2:3], v[12:13]
	s_waitcnt lgkmcnt(0)
	v_lshl_add_u64 v[12:13], v[6:7], 3, s[0:1]
	v_mul_f64 v[6:7], v[2:3], v[10:11]
	v_mul_f64 v[0:1], v[2:3], v[0:1]
	;; [unrolled: 1-line block ×3, first 2 shown]
	global_store_dwordx4 v[12:13], v[4:7], off
	global_store_dwordx4 v[12:13], v[0:3], off offset:16
                                        ; implicit-def: $vgpr6
                                        ; implicit-def: $vgpr2_vgpr3
                                        ; implicit-def: $vgpr12_vgpr13
                                        ; implicit-def: $vgpr4_vgpr5
                                        ; implicit-def: $vgpr10_vgpr11
                                        ; implicit-def: $vgpr0_vgpr1
                                        ; implicit-def: $vgpr8_vgpr9
.LBB62_21:
	s_andn2_saveexec_b64 s[2:3], s[2:3]
	s_cbranch_execz .LBB62_23
; %bb.22:
	v_lshlrev_b32_e32 v6, 2, v6
	v_ashrrev_i32_e32 v7, 31, v6
	s_waitcnt lgkmcnt(0)
	v_lshl_add_u64 v[6:7], v[6:7], 3, s[0:1]
	global_load_dwordx4 v[14:17], v[6:7], off
	global_load_dwordx4 v[18:21], v[6:7], off offset:16
	v_mul_f64 v[22:23], v[2:3], v[12:13]
	v_mul_f64 v[24:25], v[2:3], v[10:11]
	;; [unrolled: 1-line block ×4, first 2 shown]
	s_waitcnt vmcnt(1)
	v_fmac_f64_e32 v[22:23], v[4:5], v[14:15]
	v_fmac_f64_e32 v[24:25], v[4:5], v[16:17]
	s_waitcnt vmcnt(0)
	v_fmac_f64_e32 v[0:1], v[4:5], v[18:19]
	v_fmac_f64_e32 v[2:3], v[4:5], v[20:21]
	global_store_dwordx4 v[6:7], v[22:25], off
	global_store_dwordx4 v[6:7], v[0:3], off offset:16
.LBB62_23:
	s_endpgm
	.section	.rodata,"a",@progbits
	.p2align	6, 0x0
	.amdhsa_kernel _ZN9rocsparseL19gebsrmvn_4xn_kernelILj128ELj7ELj4EdEEvi20rocsparse_direction_NS_24const_host_device_scalarIT2_EEPKiS6_PKS3_S8_S4_PS3_21rocsparse_index_base_b
		.amdhsa_group_segment_fixed_size 0
		.amdhsa_private_segment_fixed_size 0
		.amdhsa_kernarg_size 72
		.amdhsa_user_sgpr_count 2
		.amdhsa_user_sgpr_dispatch_ptr 0
		.amdhsa_user_sgpr_queue_ptr 0
		.amdhsa_user_sgpr_kernarg_segment_ptr 1
		.amdhsa_user_sgpr_dispatch_id 0
		.amdhsa_user_sgpr_kernarg_preload_length 0
		.amdhsa_user_sgpr_kernarg_preload_offset 0
		.amdhsa_user_sgpr_private_segment_size 0
		.amdhsa_uses_dynamic_stack 0
		.amdhsa_enable_private_segment 0
		.amdhsa_system_sgpr_workgroup_id_x 1
		.amdhsa_system_sgpr_workgroup_id_y 0
		.amdhsa_system_sgpr_workgroup_id_z 0
		.amdhsa_system_sgpr_workgroup_info 0
		.amdhsa_system_vgpr_workitem_id 0
		.amdhsa_next_free_vgpr 90
		.amdhsa_next_free_sgpr 16
		.amdhsa_accum_offset 92
		.amdhsa_reserve_vcc 1
		.amdhsa_float_round_mode_32 0
		.amdhsa_float_round_mode_16_64 0
		.amdhsa_float_denorm_mode_32 3
		.amdhsa_float_denorm_mode_16_64 3
		.amdhsa_dx10_clamp 1
		.amdhsa_ieee_mode 1
		.amdhsa_fp16_overflow 0
		.amdhsa_tg_split 0
		.amdhsa_exception_fp_ieee_invalid_op 0
		.amdhsa_exception_fp_denorm_src 0
		.amdhsa_exception_fp_ieee_div_zero 0
		.amdhsa_exception_fp_ieee_overflow 0
		.amdhsa_exception_fp_ieee_underflow 0
		.amdhsa_exception_fp_ieee_inexact 0
		.amdhsa_exception_int_div_zero 0
	.end_amdhsa_kernel
	.section	.text._ZN9rocsparseL19gebsrmvn_4xn_kernelILj128ELj7ELj4EdEEvi20rocsparse_direction_NS_24const_host_device_scalarIT2_EEPKiS6_PKS3_S8_S4_PS3_21rocsparse_index_base_b,"axG",@progbits,_ZN9rocsparseL19gebsrmvn_4xn_kernelILj128ELj7ELj4EdEEvi20rocsparse_direction_NS_24const_host_device_scalarIT2_EEPKiS6_PKS3_S8_S4_PS3_21rocsparse_index_base_b,comdat
.Lfunc_end62:
	.size	_ZN9rocsparseL19gebsrmvn_4xn_kernelILj128ELj7ELj4EdEEvi20rocsparse_direction_NS_24const_host_device_scalarIT2_EEPKiS6_PKS3_S8_S4_PS3_21rocsparse_index_base_b, .Lfunc_end62-_ZN9rocsparseL19gebsrmvn_4xn_kernelILj128ELj7ELj4EdEEvi20rocsparse_direction_NS_24const_host_device_scalarIT2_EEPKiS6_PKS3_S8_S4_PS3_21rocsparse_index_base_b
                                        ; -- End function
	.set _ZN9rocsparseL19gebsrmvn_4xn_kernelILj128ELj7ELj4EdEEvi20rocsparse_direction_NS_24const_host_device_scalarIT2_EEPKiS6_PKS3_S8_S4_PS3_21rocsparse_index_base_b.num_vgpr, 90
	.set _ZN9rocsparseL19gebsrmvn_4xn_kernelILj128ELj7ELj4EdEEvi20rocsparse_direction_NS_24const_host_device_scalarIT2_EEPKiS6_PKS3_S8_S4_PS3_21rocsparse_index_base_b.num_agpr, 0
	.set _ZN9rocsparseL19gebsrmvn_4xn_kernelILj128ELj7ELj4EdEEvi20rocsparse_direction_NS_24const_host_device_scalarIT2_EEPKiS6_PKS3_S8_S4_PS3_21rocsparse_index_base_b.numbered_sgpr, 16
	.set _ZN9rocsparseL19gebsrmvn_4xn_kernelILj128ELj7ELj4EdEEvi20rocsparse_direction_NS_24const_host_device_scalarIT2_EEPKiS6_PKS3_S8_S4_PS3_21rocsparse_index_base_b.num_named_barrier, 0
	.set _ZN9rocsparseL19gebsrmvn_4xn_kernelILj128ELj7ELj4EdEEvi20rocsparse_direction_NS_24const_host_device_scalarIT2_EEPKiS6_PKS3_S8_S4_PS3_21rocsparse_index_base_b.private_seg_size, 0
	.set _ZN9rocsparseL19gebsrmvn_4xn_kernelILj128ELj7ELj4EdEEvi20rocsparse_direction_NS_24const_host_device_scalarIT2_EEPKiS6_PKS3_S8_S4_PS3_21rocsparse_index_base_b.uses_vcc, 1
	.set _ZN9rocsparseL19gebsrmvn_4xn_kernelILj128ELj7ELj4EdEEvi20rocsparse_direction_NS_24const_host_device_scalarIT2_EEPKiS6_PKS3_S8_S4_PS3_21rocsparse_index_base_b.uses_flat_scratch, 0
	.set _ZN9rocsparseL19gebsrmvn_4xn_kernelILj128ELj7ELj4EdEEvi20rocsparse_direction_NS_24const_host_device_scalarIT2_EEPKiS6_PKS3_S8_S4_PS3_21rocsparse_index_base_b.has_dyn_sized_stack, 0
	.set _ZN9rocsparseL19gebsrmvn_4xn_kernelILj128ELj7ELj4EdEEvi20rocsparse_direction_NS_24const_host_device_scalarIT2_EEPKiS6_PKS3_S8_S4_PS3_21rocsparse_index_base_b.has_recursion, 0
	.set _ZN9rocsparseL19gebsrmvn_4xn_kernelILj128ELj7ELj4EdEEvi20rocsparse_direction_NS_24const_host_device_scalarIT2_EEPKiS6_PKS3_S8_S4_PS3_21rocsparse_index_base_b.has_indirect_call, 0
	.section	.AMDGPU.csdata,"",@progbits
; Kernel info:
; codeLenInByte = 2248
; TotalNumSgprs: 22
; NumVgprs: 90
; NumAgprs: 0
; TotalNumVgprs: 90
; ScratchSize: 0
; MemoryBound: 1
; FloatMode: 240
; IeeeMode: 1
; LDSByteSize: 0 bytes/workgroup (compile time only)
; SGPRBlocks: 2
; VGPRBlocks: 11
; NumSGPRsForWavesPerEU: 22
; NumVGPRsForWavesPerEU: 90
; AccumOffset: 92
; Occupancy: 5
; WaveLimiterHint : 1
; COMPUTE_PGM_RSRC2:SCRATCH_EN: 0
; COMPUTE_PGM_RSRC2:USER_SGPR: 2
; COMPUTE_PGM_RSRC2:TRAP_HANDLER: 0
; COMPUTE_PGM_RSRC2:TGID_X_EN: 1
; COMPUTE_PGM_RSRC2:TGID_Y_EN: 0
; COMPUTE_PGM_RSRC2:TGID_Z_EN: 0
; COMPUTE_PGM_RSRC2:TIDIG_COMP_CNT: 0
; COMPUTE_PGM_RSRC3_GFX90A:ACCUM_OFFSET: 22
; COMPUTE_PGM_RSRC3_GFX90A:TG_SPLIT: 0
	.section	.text._ZN9rocsparseL19gebsrmvn_4xn_kernelILj128ELj7ELj8EdEEvi20rocsparse_direction_NS_24const_host_device_scalarIT2_EEPKiS6_PKS3_S8_S4_PS3_21rocsparse_index_base_b,"axG",@progbits,_ZN9rocsparseL19gebsrmvn_4xn_kernelILj128ELj7ELj8EdEEvi20rocsparse_direction_NS_24const_host_device_scalarIT2_EEPKiS6_PKS3_S8_S4_PS3_21rocsparse_index_base_b,comdat
	.globl	_ZN9rocsparseL19gebsrmvn_4xn_kernelILj128ELj7ELj8EdEEvi20rocsparse_direction_NS_24const_host_device_scalarIT2_EEPKiS6_PKS3_S8_S4_PS3_21rocsparse_index_base_b ; -- Begin function _ZN9rocsparseL19gebsrmvn_4xn_kernelILj128ELj7ELj8EdEEvi20rocsparse_direction_NS_24const_host_device_scalarIT2_EEPKiS6_PKS3_S8_S4_PS3_21rocsparse_index_base_b
	.p2align	8
	.type	_ZN9rocsparseL19gebsrmvn_4xn_kernelILj128ELj7ELj8EdEEvi20rocsparse_direction_NS_24const_host_device_scalarIT2_EEPKiS6_PKS3_S8_S4_PS3_21rocsparse_index_base_b,@function
_ZN9rocsparseL19gebsrmvn_4xn_kernelILj128ELj7ELj8EdEEvi20rocsparse_direction_NS_24const_host_device_scalarIT2_EEPKiS6_PKS3_S8_S4_PS3_21rocsparse_index_base_b: ; @_ZN9rocsparseL19gebsrmvn_4xn_kernelILj128ELj7ELj8EdEEvi20rocsparse_direction_NS_24const_host_device_scalarIT2_EEPKiS6_PKS3_S8_S4_PS3_21rocsparse_index_base_b
; %bb.0:
	s_load_dwordx2 s[12:13], s[0:1], 0x40
	s_load_dwordx2 s[8:9], s[0:1], 0x8
	;; [unrolled: 1-line block ×3, first 2 shown]
	s_waitcnt lgkmcnt(0)
	s_bitcmp1_b32 s13, 0
	s_cselect_b64 s[10:11], -1, 0
	s_xor_b64 s[6:7], s[10:11], -1
	s_and_b64 vcc, exec, s[10:11]
	v_mov_b64_e32 v[2:3], s[8:9]
	s_cbranch_vccnz .LBB63_2
; %bb.1:
	v_mov_b64_e32 v[2:3], s[8:9]
	flat_load_dwordx2 v[2:3], v[2:3]
.LBB63_2:
	s_andn2_b64 vcc, exec, s[6:7]
	v_mov_b64_e32 v[4:5], s[4:5]
	s_cbranch_vccnz .LBB63_4
; %bb.3:
	v_mov_b64_e32 v[4:5], s[4:5]
	flat_load_dwordx2 v[4:5], v[4:5]
.LBB63_4:
	s_waitcnt vmcnt(0) lgkmcnt(0)
	v_cmp_neq_f64_e32 vcc, 0, v[2:3]
	v_cmp_neq_f64_e64 s[4:5], 1.0, v[4:5]
	s_or_b64 s[4:5], vcc, s[4:5]
	s_and_saveexec_b64 s[6:7], s[4:5]
	s_cbranch_execz .LBB63_23
; %bb.5:
	s_load_dwordx2 s[14:15], s[0:1], 0x0
	v_lshrrev_b32_e32 v1, 3, v0
	v_lshl_or_b32 v6, s2, 4, v1
	s_waitcnt lgkmcnt(0)
	v_cmp_gt_i32_e32 vcc, s14, v6
	s_and_b64 exec, exec, vcc
	s_cbranch_execz .LBB63_23
; %bb.6:
	s_load_dwordx8 s[4:11], s[0:1], 0x10
	v_ashrrev_i32_e32 v7, 31, v6
	s_cmp_lg_u32 s15, 0
	s_waitcnt lgkmcnt(0)
	v_lshl_add_u64 v[8:9], v[6:7], 2, s[4:5]
	global_load_dwordx2 v[8:9], v[8:9], off
	v_and_b32_e32 v7, 7, v0
	s_waitcnt vmcnt(0)
	v_subrev_u32_e32 v0, s12, v8
	v_subrev_u32_e32 v24, s12, v9
	v_add_u32_e32 v12, v0, v7
	v_cmp_lt_i32_e64 s[2:3], v12, v24
	s_cbranch_scc0 .LBB63_12
; %bb.7:
	v_mov_b64_e32 v[8:9], 0
	v_mov_b64_e32 v[0:1], 0
	;; [unrolled: 1-line block ×4, first 2 shown]
	s_and_saveexec_b64 s[4:5], s[2:3]
	s_cbranch_execz .LBB63_11
; %bb.8:
	v_mad_u64_u32 v[16:17], s[14:15], v12, 28, 24
	v_mov_b64_e32 v[8:9], 0
	s_mov_b64 s[14:15], 0
	v_mov_b32_e32 v19, 0
	v_mov_b32_e32 v20, v12
	v_mov_b64_e32 v[0:1], 0
	v_mov_b64_e32 v[10:11], 0
	;; [unrolled: 1-line block ×3, first 2 shown]
.LBB63_9:                               ; =>This Inner Loop Header: Depth=1
	v_ashrrev_i32_e32 v21, 31, v20
	v_subrev_u32_e32 v18, 24, v16
	v_lshl_add_u64 v[34:35], v[20:21], 2, s[6:7]
	v_lshl_add_u64 v[36:37], v[18:19], 3, s[8:9]
	global_load_dword v13, v[34:35], off
	global_load_dwordx4 v[26:29], v[36:37], off offset:16
	global_load_dwordx4 v[30:33], v[36:37], off
	v_mov_b32_e32 v17, v19
	v_mov_b32_e32 v23, v19
	v_subrev_u32_e32 v18, 20, v16
	v_lshl_add_u64 v[50:51], v[16:17], 3, s[8:9]
	v_lshl_add_u64 v[52:53], v[18:19], 3, s[8:9]
	global_load_dwordx4 v[34:37], v[50:51], off offset:16
	global_load_dwordx4 v[38:41], v[50:51], off
	global_load_dwordx4 v[42:45], v[52:53], off offset:16
	global_load_dwordx4 v[46:49], v[52:53], off
	v_add_u32_e32 v20, 8, v20
	v_cmp_ge_i32_e32 vcc, v20, v24
	s_or_b64 s[14:15], vcc, s[14:15]
	s_waitcnt vmcnt(6)
	v_subrev_u32_e32 v13, s12, v13
	v_mul_lo_u32 v22, v13, 7
	v_lshl_add_u64 v[50:51], v[22:23], 3, s[10:11]
	global_load_dwordx2 v[58:59], v[50:51], off
	v_add_u32_e32 v18, 1, v22
	v_lshl_add_u64 v[50:51], v[18:19], 3, s[10:11]
	global_load_dwordx2 v[60:61], v[50:51], off
	v_add_u32_e32 v18, -16, v16
	v_lshl_add_u64 v[62:63], v[18:19], 3, s[8:9]
	v_add_u32_e32 v18, 2, v22
	global_load_dwordx4 v[50:53], v[62:63], off offset:16
	global_load_dwordx4 v[54:57], v[62:63], off
	s_waitcnt vmcnt(3)
	v_fmac_f64_e32 v[8:9], v[30:31], v[58:59]
	v_lshl_add_u64 v[30:31], v[18:19], 3, s[10:11]
	v_add_u32_e32 v18, -12, v16
	global_load_dwordx2 v[62:63], v[30:31], off
	v_lshl_add_u64 v[64:65], v[18:19], 3, s[8:9]
	v_add_u32_e32 v18, 3, v22
	s_waitcnt vmcnt(3)
	v_fmac_f64_e32 v[8:9], v[46:47], v[60:61]
	v_lshl_add_u64 v[46:47], v[18:19], 3, s[10:11]
	v_fmac_f64_e32 v[14:15], v[32:33], v[58:59]
	v_fmac_f64_e32 v[10:11], v[26:27], v[58:59]
	;; [unrolled: 1-line block ×3, first 2 shown]
	global_load_dwordx4 v[26:29], v[64:65], off offset:16
	global_load_dwordx4 v[30:33], v[64:65], off
	global_load_dwordx2 v[58:59], v[46:47], off
	v_add_u32_e32 v18, -8, v16
	v_lshl_add_u64 v[64:65], v[18:19], 3, s[8:9]
	v_add_u32_e32 v18, 4, v22
	v_fmac_f64_e32 v[14:15], v[48:49], v[60:61]
	v_fmac_f64_e32 v[10:11], v[42:43], v[60:61]
	;; [unrolled: 1-line block ×3, first 2 shown]
	global_load_dwordx4 v[42:45], v[64:65], off offset:16
	global_load_dwordx4 v[46:49], v[64:65], off
	s_waitcnt vmcnt(5)
	v_fmac_f64_e32 v[8:9], v[54:55], v[62:63]
	v_lshl_add_u64 v[54:55], v[18:19], 3, s[10:11]
	v_add_u32_e32 v18, -4, v16
	v_lshl_add_u64 v[64:65], v[18:19], 3, s[8:9]
	v_add_u32_e32 v18, 5, v22
	v_fmac_f64_e32 v[14:15], v[56:57], v[62:63]
	global_load_dwordx2 v[60:61], v[54:55], off
	v_fmac_f64_e32 v[10:11], v[50:51], v[62:63]
	v_fmac_f64_e32 v[0:1], v[52:53], v[62:63]
	v_lshl_add_u64 v[62:63], v[18:19], 3, s[10:11]
	v_add_u32_e32 v18, 6, v22
	global_load_dwordx4 v[50:53], v[64:65], off offset:16
	global_load_dwordx4 v[54:57], v[64:65], off
	global_load_dwordx2 v[22:23], v[62:63], off
	s_waitcnt vmcnt(6)
	v_fmac_f64_e32 v[8:9], v[30:31], v[58:59]
	v_lshl_add_u64 v[30:31], v[18:19], 3, s[10:11]
	global_load_dwordx2 v[30:31], v[30:31], off
	v_fmac_f64_e32 v[14:15], v[32:33], v[58:59]
	v_fmac_f64_e32 v[10:11], v[26:27], v[58:59]
	;; [unrolled: 1-line block ×3, first 2 shown]
	v_add_u32_e32 v16, 0xe0, v16
	s_waitcnt vmcnt(4)
	v_fmac_f64_e32 v[8:9], v[46:47], v[60:61]
	v_fmac_f64_e32 v[14:15], v[48:49], v[60:61]
	v_fmac_f64_e32 v[10:11], v[42:43], v[60:61]
	v_fmac_f64_e32 v[0:1], v[44:45], v[60:61]
	s_waitcnt vmcnt(1)
	v_fmac_f64_e32 v[8:9], v[54:55], v[22:23]
	v_fmac_f64_e32 v[14:15], v[56:57], v[22:23]
	v_fmac_f64_e32 v[10:11], v[50:51], v[22:23]
	v_fmac_f64_e32 v[0:1], v[52:53], v[22:23]
	;; [unrolled: 5-line block ×3, first 2 shown]
	s_andn2_b64 exec, exec, s[14:15]
	s_cbranch_execnz .LBB63_9
; %bb.10:
	s_or_b64 exec, exec, s[14:15]
.LBB63_11:
	s_or_b64 exec, exec, s[4:5]
	s_cbranch_execz .LBB63_13
	s_branch .LBB63_18
.LBB63_12:
                                        ; implicit-def: $vgpr8_vgpr9
                                        ; implicit-def: $vgpr0_vgpr1
                                        ; implicit-def: $vgpr10_vgpr11
                                        ; implicit-def: $vgpr14_vgpr15
.LBB63_13:
	v_mov_b64_e32 v[8:9], 0
	v_mov_b64_e32 v[0:1], 0
	;; [unrolled: 1-line block ×4, first 2 shown]
	s_and_saveexec_b64 s[4:5], s[2:3]
	s_cbranch_execz .LBB63_17
; %bb.14:
	v_mad_u64_u32 v[16:17], s[2:3], v12, 28, 27
	v_mov_b64_e32 v[8:9], 0
	s_mov_b64 s[2:3], 0
	v_mov_b32_e32 v19, 0
	v_mov_b64_e32 v[0:1], 0
	v_mov_b64_e32 v[10:11], 0
	;; [unrolled: 1-line block ×3, first 2 shown]
.LBB63_15:                              ; =>This Inner Loop Header: Depth=1
	v_ashrrev_i32_e32 v13, 31, v12
	v_subrev_u32_e32 v18, 27, v16
	v_subrev_u32_e32 v22, 20, v16
	v_add_u32_e32 v26, -13, v16
	v_add_u32_e32 v28, -6, v16
	v_mov_b32_e32 v23, v19
	v_mov_b32_e32 v27, v19
	;; [unrolled: 1-line block ×3, first 2 shown]
	v_lshl_add_u64 v[30:31], v[12:13], 2, s[6:7]
	v_lshl_add_u64 v[32:33], v[18:19], 3, s[8:9]
	;; [unrolled: 1-line block ×5, first 2 shown]
	global_load_dword v13, v[30:31], off
	global_load_dwordx4 v[26:29], v[32:33], off
	global_load_dwordx2 v[38:39], v[22:23], off
	global_load_dwordx2 v[40:41], v[34:35], off
	;; [unrolled: 1-line block ×3, first 2 shown]
	v_mov_b32_e32 v21, v19
	v_mov_b32_e32 v17, v19
	v_add_u32_e32 v12, 8, v12
	v_cmp_ge_i32_e32 vcc, v12, v24
	s_or_b64 s[2:3], vcc, s[2:3]
	s_waitcnt vmcnt(4)
	v_subrev_u32_e32 v13, s12, v13
	v_mul_lo_u32 v20, v13, 7
	v_lshl_add_u64 v[22:23], v[20:21], 3, s[10:11]
	global_load_dwordx2 v[22:23], v[22:23], off
	v_add_u32_e32 v18, 1, v20
	v_lshl_add_u64 v[30:31], v[18:19], 3, s[10:11]
	v_subrev_u32_e32 v18, 19, v16
	global_load_dwordx2 v[30:31], v[30:31], off
	v_lshl_add_u64 v[34:35], v[18:19], 3, s[8:9]
	v_add_u32_e32 v18, -12, v16
	global_load_dwordx2 v[34:35], v[34:35], off
	v_lshl_add_u64 v[36:37], v[18:19], 3, s[8:9]
	v_add_u32_e32 v18, -5, v16
	global_load_dwordx2 v[36:37], v[36:37], off
	v_lshl_add_u64 v[44:45], v[18:19], 3, s[8:9]
	global_load_dwordx2 v[44:45], v[44:45], off
	v_add_u32_e32 v18, 2, v20
	v_lshl_add_u64 v[46:47], v[18:19], 3, s[10:11]
	v_subrev_u32_e32 v18, 18, v16
	v_lshl_add_u64 v[48:49], v[18:19], 3, s[8:9]
	v_add_u32_e32 v18, -11, v16
	v_lshl_add_u64 v[50:51], v[18:19], 3, s[8:9]
	v_add_u32_e32 v18, -4, v16
	v_lshl_add_u64 v[52:53], v[18:19], 3, s[8:9]
	v_add_u32_e32 v18, 3, v20
	v_lshl_add_u64 v[54:55], v[18:19], 3, s[10:11]
	v_subrev_u32_e32 v18, 17, v16
	v_lshl_add_u64 v[56:57], v[18:19], 3, s[8:9]
	v_add_u32_e32 v18, -10, v16
	v_lshl_add_u64 v[58:59], v[18:19], 3, s[8:9]
	v_add_u32_e32 v18, -3, v16
	s_waitcnt vmcnt(4)
	v_fmac_f64_e32 v[14:15], v[38:39], v[22:23]
	v_lshl_add_u64 v[38:39], v[18:19], 3, s[8:9]
	v_subrev_u32_e32 v18, 23, v16
	v_fmac_f64_e32 v[10:11], v[40:41], v[22:23]
	v_lshl_add_u64 v[40:41], v[18:19], 3, s[8:9]
	v_add_u32_e32 v18, 4, v20
	v_fmac_f64_e32 v[0:1], v[42:43], v[22:23]
	v_lshl_add_u64 v[42:43], v[18:19], 3, s[10:11]
	v_add_u32_e32 v18, -16, v16
	v_fmac_f64_e32 v[8:9], v[26:27], v[22:23]
	v_lshl_add_u64 v[26:27], v[18:19], 3, s[8:9]
	v_add_u32_e32 v18, -9, v16
	s_waitcnt vmcnt(3)
	v_fmac_f64_e32 v[8:9], v[28:29], v[30:31]
	v_lshl_add_u64 v[28:29], v[18:19], 3, s[8:9]
	v_add_u32_e32 v18, -2, v16
	v_lshl_add_u64 v[60:61], v[18:19], 3, s[8:9]
	v_subrev_u32_e32 v18, 22, v16
	s_waitcnt vmcnt(2)
	v_fmac_f64_e32 v[14:15], v[34:35], v[30:31]
	v_lshl_add_u64 v[34:35], v[18:19], 3, s[8:9]
	v_add_u32_e32 v18, 5, v20
	s_waitcnt vmcnt(1)
	v_fmac_f64_e32 v[10:11], v[36:37], v[30:31]
	v_lshl_add_u64 v[36:37], v[18:19], 3, s[10:11]
	v_add_u32_e32 v18, -15, v16
	s_waitcnt vmcnt(0)
	v_fmac_f64_e32 v[0:1], v[44:45], v[30:31]
	v_lshl_add_u64 v[30:31], v[18:19], 3, s[8:9]
	v_add_u32_e32 v18, -8, v16
	v_lshl_add_u64 v[44:45], v[18:19], 3, s[8:9]
	v_add_u32_e32 v18, -1, v16
	v_lshl_add_u64 v[62:63], v[18:19], 3, s[8:9]
	v_subrev_u32_e32 v18, 21, v16
	v_lshl_add_u64 v[64:65], v[18:19], 3, s[8:9]
	v_add_u32_e32 v18, 6, v20
	global_load_dwordx2 v[66:67], v[46:47], off
	global_load_dwordx2 v[20:21], v[48:49], off
	v_lshl_add_u64 v[46:47], v[16:17], 3, s[8:9]
	s_waitcnt vmcnt(0)
	v_fmac_f64_e32 v[14:15], v[20:21], v[66:67]
	global_load_dwordx2 v[20:21], v[50:51], off
	s_waitcnt vmcnt(0)
	v_fmac_f64_e32 v[10:11], v[20:21], v[66:67]
	global_load_dwordx2 v[20:21], v[52:53], off
	s_waitcnt vmcnt(0)
	v_fmac_f64_e32 v[0:1], v[20:21], v[66:67]
	global_load_dwordx4 v[20:23], v[32:33], off offset:16
	global_load_dwordx2 v[48:49], v[46:47], off
	global_load_dwordx2 v[50:51], v[54:55], off
	;; [unrolled: 1-line block ×14, first 2 shown]
                                        ; kill: killed $vgpr30_vgpr31
                                        ; kill: killed $vgpr32_vgpr33
                                        ; kill: killed $vgpr58_vgpr59
                                        ; kill: killed $vgpr28_vgpr29
                                        ; kill: killed $vgpr44_vgpr45
                                        ; kill: killed $vgpr42_vgpr43
                                        ; kill: killed $vgpr36_vgpr37
                                        ; kill: killed $vgpr40_vgpr41
                                        ; kill: killed $vgpr34_vgpr35
                                        ; kill: killed $vgpr46_vgpr47
                                        ; kill: killed $vgpr38_vgpr39
                                        ; kill: killed $vgpr60_vgpr61
                                        ; kill: killed $vgpr56_vgpr57
                                        ; kill: killed $vgpr26_vgpr27
                                        ; kill: killed $vgpr54_vgpr55
	global_load_dwordx2 v[26:27], v[62:63], off
	global_load_dwordx2 v[28:29], v[64:65], off
	s_waitcnt vmcnt(16)
	v_fmac_f64_e32 v[8:9], v[20:21], v[66:67]
	v_lshl_add_u64 v[20:21], v[18:19], 3, s[10:11]
	v_add_u32_e32 v18, -14, v16
	s_waitcnt vmcnt(14)
	v_fmac_f64_e32 v[8:9], v[22:23], v[50:51]
	v_lshl_add_u64 v[22:23], v[18:19], 3, s[8:9]
	v_add_u32_e32 v18, -7, v16
	global_load_dwordx2 v[20:21], v[20:21], off
	v_lshl_add_u64 v[30:31], v[18:19], 3, s[8:9]
	global_load_dwordx2 v[32:33], v[22:23], off
	global_load_dwordx2 v[34:35], v[30:31], off
	s_waitcnt vmcnt(16)
	v_fmac_f64_e32 v[14:15], v[52:53], v[50:51]
	s_waitcnt vmcnt(15)
	v_fmac_f64_e32 v[10:11], v[68:69], v[50:51]
	;; [unrolled: 2-line block ×10, first 2 shown]
	v_add_u32_e32 v16, 0xe0, v16
	s_waitcnt vmcnt(4)
	v_fmac_f64_e32 v[0:1], v[26:27], v[84:85]
	s_waitcnt vmcnt(2)
	v_fmac_f64_e32 v[8:9], v[28:29], v[20:21]
	v_fmac_f64_e32 v[0:1], v[48:49], v[20:21]
	s_waitcnt vmcnt(1)
	v_fmac_f64_e32 v[14:15], v[32:33], v[20:21]
	s_waitcnt vmcnt(0)
	v_fmac_f64_e32 v[10:11], v[34:35], v[20:21]
	s_andn2_b64 exec, exec, s[2:3]
	s_cbranch_execnz .LBB63_15
; %bb.16:
	s_or_b64 exec, exec, s[2:3]
.LBB63_17:
	s_or_b64 exec, exec, s[4:5]
.LBB63_18:
	v_mov_b32_dpp v18, v10 row_shr:1 row_mask:0xf bank_mask:0xf
	v_mov_b32_dpp v19, v11 row_shr:1 row_mask:0xf bank_mask:0xf
	v_add_f64 v[10:11], v[10:11], v[18:19]
	v_mov_b32_dpp v12, v8 row_shr:1 row_mask:0xf bank_mask:0xf
	v_mov_b32_dpp v13, v9 row_shr:1 row_mask:0xf bank_mask:0xf
	;; [unrolled: 1-line block ×6, first 2 shown]
	v_add_f64 v[18:19], v[10:11], v[18:19]
	v_mov_b32_dpp v10, v0 row_shr:1 row_mask:0xf bank_mask:0xf
	v_mov_b32_dpp v11, v1 row_shr:1 row_mask:0xf bank_mask:0xf
	v_add_f64 v[8:9], v[8:9], v[12:13]
	v_add_f64 v[14:15], v[14:15], v[16:17]
	;; [unrolled: 1-line block ×3, first 2 shown]
	v_mov_b32_dpp v12, v8 row_shr:2 row_mask:0xf bank_mask:0xf
	v_mov_b32_dpp v13, v9 row_shr:2 row_mask:0xf bank_mask:0xf
	;; [unrolled: 1-line block ×6, first 2 shown]
	v_add_f64 v[8:9], v[8:9], v[12:13]
	v_add_f64 v[14:15], v[14:15], v[16:17]
	;; [unrolled: 1-line block ×3, first 2 shown]
	v_mov_b32_dpp v12, v8 row_shr:4 row_mask:0xf bank_mask:0xe
	v_mov_b32_dpp v13, v9 row_shr:4 row_mask:0xf bank_mask:0xe
	;; [unrolled: 1-line block ×8, first 2 shown]
	v_cmp_eq_u32_e32 vcc, 7, v7
	s_and_b64 exec, exec, vcc
	s_cbranch_execz .LBB63_23
; %bb.19:
	s_load_dwordx2 s[0:1], s[0:1], 0x38
	v_add_f64 v[12:13], v[8:9], v[12:13]
	v_add_f64 v[10:11], v[14:15], v[16:17]
	;; [unrolled: 1-line block ×4, first 2 shown]
	v_cmp_eq_f64_e32 vcc, 0, v[4:5]
	s_and_saveexec_b64 s[2:3], vcc
	s_xor_b64 s[2:3], exec, s[2:3]
	s_cbranch_execz .LBB63_21
; %bb.20:
	v_lshlrev_b32_e32 v6, 2, v6
	v_ashrrev_i32_e32 v7, 31, v6
	v_mul_f64 v[4:5], v[2:3], v[12:13]
	s_waitcnt lgkmcnt(0)
	v_lshl_add_u64 v[12:13], v[6:7], 3, s[0:1]
	v_mul_f64 v[6:7], v[2:3], v[10:11]
	v_mul_f64 v[0:1], v[2:3], v[0:1]
	;; [unrolled: 1-line block ×3, first 2 shown]
	global_store_dwordx4 v[12:13], v[4:7], off
	global_store_dwordx4 v[12:13], v[0:3], off offset:16
                                        ; implicit-def: $vgpr6
                                        ; implicit-def: $vgpr2_vgpr3
                                        ; implicit-def: $vgpr12_vgpr13
                                        ; implicit-def: $vgpr4_vgpr5
                                        ; implicit-def: $vgpr10_vgpr11
                                        ; implicit-def: $vgpr0_vgpr1
                                        ; implicit-def: $vgpr8_vgpr9
.LBB63_21:
	s_andn2_saveexec_b64 s[2:3], s[2:3]
	s_cbranch_execz .LBB63_23
; %bb.22:
	v_lshlrev_b32_e32 v6, 2, v6
	v_ashrrev_i32_e32 v7, 31, v6
	s_waitcnt lgkmcnt(0)
	v_lshl_add_u64 v[6:7], v[6:7], 3, s[0:1]
	global_load_dwordx4 v[14:17], v[6:7], off
	global_load_dwordx4 v[18:21], v[6:7], off offset:16
	v_mul_f64 v[22:23], v[2:3], v[12:13]
	v_mul_f64 v[24:25], v[2:3], v[10:11]
	;; [unrolled: 1-line block ×4, first 2 shown]
	s_waitcnt vmcnt(1)
	v_fmac_f64_e32 v[22:23], v[4:5], v[14:15]
	v_fmac_f64_e32 v[24:25], v[4:5], v[16:17]
	s_waitcnt vmcnt(0)
	v_fmac_f64_e32 v[0:1], v[4:5], v[18:19]
	v_fmac_f64_e32 v[2:3], v[4:5], v[20:21]
	global_store_dwordx4 v[6:7], v[22:25], off
	global_store_dwordx4 v[6:7], v[0:3], off offset:16
.LBB63_23:
	s_endpgm
	.section	.rodata,"a",@progbits
	.p2align	6, 0x0
	.amdhsa_kernel _ZN9rocsparseL19gebsrmvn_4xn_kernelILj128ELj7ELj8EdEEvi20rocsparse_direction_NS_24const_host_device_scalarIT2_EEPKiS6_PKS3_S8_S4_PS3_21rocsparse_index_base_b
		.amdhsa_group_segment_fixed_size 0
		.amdhsa_private_segment_fixed_size 0
		.amdhsa_kernarg_size 72
		.amdhsa_user_sgpr_count 2
		.amdhsa_user_sgpr_dispatch_ptr 0
		.amdhsa_user_sgpr_queue_ptr 0
		.amdhsa_user_sgpr_kernarg_segment_ptr 1
		.amdhsa_user_sgpr_dispatch_id 0
		.amdhsa_user_sgpr_kernarg_preload_length 0
		.amdhsa_user_sgpr_kernarg_preload_offset 0
		.amdhsa_user_sgpr_private_segment_size 0
		.amdhsa_uses_dynamic_stack 0
		.amdhsa_enable_private_segment 0
		.amdhsa_system_sgpr_workgroup_id_x 1
		.amdhsa_system_sgpr_workgroup_id_y 0
		.amdhsa_system_sgpr_workgroup_id_z 0
		.amdhsa_system_sgpr_workgroup_info 0
		.amdhsa_system_vgpr_workitem_id 0
		.amdhsa_next_free_vgpr 90
		.amdhsa_next_free_sgpr 16
		.amdhsa_accum_offset 92
		.amdhsa_reserve_vcc 1
		.amdhsa_float_round_mode_32 0
		.amdhsa_float_round_mode_16_64 0
		.amdhsa_float_denorm_mode_32 3
		.amdhsa_float_denorm_mode_16_64 3
		.amdhsa_dx10_clamp 1
		.amdhsa_ieee_mode 1
		.amdhsa_fp16_overflow 0
		.amdhsa_tg_split 0
		.amdhsa_exception_fp_ieee_invalid_op 0
		.amdhsa_exception_fp_denorm_src 0
		.amdhsa_exception_fp_ieee_div_zero 0
		.amdhsa_exception_fp_ieee_overflow 0
		.amdhsa_exception_fp_ieee_underflow 0
		.amdhsa_exception_fp_ieee_inexact 0
		.amdhsa_exception_int_div_zero 0
	.end_amdhsa_kernel
	.section	.text._ZN9rocsparseL19gebsrmvn_4xn_kernelILj128ELj7ELj8EdEEvi20rocsparse_direction_NS_24const_host_device_scalarIT2_EEPKiS6_PKS3_S8_S4_PS3_21rocsparse_index_base_b,"axG",@progbits,_ZN9rocsparseL19gebsrmvn_4xn_kernelILj128ELj7ELj8EdEEvi20rocsparse_direction_NS_24const_host_device_scalarIT2_EEPKiS6_PKS3_S8_S4_PS3_21rocsparse_index_base_b,comdat
.Lfunc_end63:
	.size	_ZN9rocsparseL19gebsrmvn_4xn_kernelILj128ELj7ELj8EdEEvi20rocsparse_direction_NS_24const_host_device_scalarIT2_EEPKiS6_PKS3_S8_S4_PS3_21rocsparse_index_base_b, .Lfunc_end63-_ZN9rocsparseL19gebsrmvn_4xn_kernelILj128ELj7ELj8EdEEvi20rocsparse_direction_NS_24const_host_device_scalarIT2_EEPKiS6_PKS3_S8_S4_PS3_21rocsparse_index_base_b
                                        ; -- End function
	.set _ZN9rocsparseL19gebsrmvn_4xn_kernelILj128ELj7ELj8EdEEvi20rocsparse_direction_NS_24const_host_device_scalarIT2_EEPKiS6_PKS3_S8_S4_PS3_21rocsparse_index_base_b.num_vgpr, 90
	.set _ZN9rocsparseL19gebsrmvn_4xn_kernelILj128ELj7ELj8EdEEvi20rocsparse_direction_NS_24const_host_device_scalarIT2_EEPKiS6_PKS3_S8_S4_PS3_21rocsparse_index_base_b.num_agpr, 0
	.set _ZN9rocsparseL19gebsrmvn_4xn_kernelILj128ELj7ELj8EdEEvi20rocsparse_direction_NS_24const_host_device_scalarIT2_EEPKiS6_PKS3_S8_S4_PS3_21rocsparse_index_base_b.numbered_sgpr, 16
	.set _ZN9rocsparseL19gebsrmvn_4xn_kernelILj128ELj7ELj8EdEEvi20rocsparse_direction_NS_24const_host_device_scalarIT2_EEPKiS6_PKS3_S8_S4_PS3_21rocsparse_index_base_b.num_named_barrier, 0
	.set _ZN9rocsparseL19gebsrmvn_4xn_kernelILj128ELj7ELj8EdEEvi20rocsparse_direction_NS_24const_host_device_scalarIT2_EEPKiS6_PKS3_S8_S4_PS3_21rocsparse_index_base_b.private_seg_size, 0
	.set _ZN9rocsparseL19gebsrmvn_4xn_kernelILj128ELj7ELj8EdEEvi20rocsparse_direction_NS_24const_host_device_scalarIT2_EEPKiS6_PKS3_S8_S4_PS3_21rocsparse_index_base_b.uses_vcc, 1
	.set _ZN9rocsparseL19gebsrmvn_4xn_kernelILj128ELj7ELj8EdEEvi20rocsparse_direction_NS_24const_host_device_scalarIT2_EEPKiS6_PKS3_S8_S4_PS3_21rocsparse_index_base_b.uses_flat_scratch, 0
	.set _ZN9rocsparseL19gebsrmvn_4xn_kernelILj128ELj7ELj8EdEEvi20rocsparse_direction_NS_24const_host_device_scalarIT2_EEPKiS6_PKS3_S8_S4_PS3_21rocsparse_index_base_b.has_dyn_sized_stack, 0
	.set _ZN9rocsparseL19gebsrmvn_4xn_kernelILj128ELj7ELj8EdEEvi20rocsparse_direction_NS_24const_host_device_scalarIT2_EEPKiS6_PKS3_S8_S4_PS3_21rocsparse_index_base_b.has_recursion, 0
	.set _ZN9rocsparseL19gebsrmvn_4xn_kernelILj128ELj7ELj8EdEEvi20rocsparse_direction_NS_24const_host_device_scalarIT2_EEPKiS6_PKS3_S8_S4_PS3_21rocsparse_index_base_b.has_indirect_call, 0
	.section	.AMDGPU.csdata,"",@progbits
; Kernel info:
; codeLenInByte = 2344
; TotalNumSgprs: 22
; NumVgprs: 90
; NumAgprs: 0
; TotalNumVgprs: 90
; ScratchSize: 0
; MemoryBound: 1
; FloatMode: 240
; IeeeMode: 1
; LDSByteSize: 0 bytes/workgroup (compile time only)
; SGPRBlocks: 2
; VGPRBlocks: 11
; NumSGPRsForWavesPerEU: 22
; NumVGPRsForWavesPerEU: 90
; AccumOffset: 92
; Occupancy: 5
; WaveLimiterHint : 1
; COMPUTE_PGM_RSRC2:SCRATCH_EN: 0
; COMPUTE_PGM_RSRC2:USER_SGPR: 2
; COMPUTE_PGM_RSRC2:TRAP_HANDLER: 0
; COMPUTE_PGM_RSRC2:TGID_X_EN: 1
; COMPUTE_PGM_RSRC2:TGID_Y_EN: 0
; COMPUTE_PGM_RSRC2:TGID_Z_EN: 0
; COMPUTE_PGM_RSRC2:TIDIG_COMP_CNT: 0
; COMPUTE_PGM_RSRC3_GFX90A:ACCUM_OFFSET: 22
; COMPUTE_PGM_RSRC3_GFX90A:TG_SPLIT: 0
	.section	.text._ZN9rocsparseL19gebsrmvn_4xn_kernelILj128ELj7ELj16EdEEvi20rocsparse_direction_NS_24const_host_device_scalarIT2_EEPKiS6_PKS3_S8_S4_PS3_21rocsparse_index_base_b,"axG",@progbits,_ZN9rocsparseL19gebsrmvn_4xn_kernelILj128ELj7ELj16EdEEvi20rocsparse_direction_NS_24const_host_device_scalarIT2_EEPKiS6_PKS3_S8_S4_PS3_21rocsparse_index_base_b,comdat
	.globl	_ZN9rocsparseL19gebsrmvn_4xn_kernelILj128ELj7ELj16EdEEvi20rocsparse_direction_NS_24const_host_device_scalarIT2_EEPKiS6_PKS3_S8_S4_PS3_21rocsparse_index_base_b ; -- Begin function _ZN9rocsparseL19gebsrmvn_4xn_kernelILj128ELj7ELj16EdEEvi20rocsparse_direction_NS_24const_host_device_scalarIT2_EEPKiS6_PKS3_S8_S4_PS3_21rocsparse_index_base_b
	.p2align	8
	.type	_ZN9rocsparseL19gebsrmvn_4xn_kernelILj128ELj7ELj16EdEEvi20rocsparse_direction_NS_24const_host_device_scalarIT2_EEPKiS6_PKS3_S8_S4_PS3_21rocsparse_index_base_b,@function
_ZN9rocsparseL19gebsrmvn_4xn_kernelILj128ELj7ELj16EdEEvi20rocsparse_direction_NS_24const_host_device_scalarIT2_EEPKiS6_PKS3_S8_S4_PS3_21rocsparse_index_base_b: ; @_ZN9rocsparseL19gebsrmvn_4xn_kernelILj128ELj7ELj16EdEEvi20rocsparse_direction_NS_24const_host_device_scalarIT2_EEPKiS6_PKS3_S8_S4_PS3_21rocsparse_index_base_b
; %bb.0:
	s_load_dwordx2 s[12:13], s[0:1], 0x40
	s_load_dwordx2 s[8:9], s[0:1], 0x8
	;; [unrolled: 1-line block ×3, first 2 shown]
	s_waitcnt lgkmcnt(0)
	s_bitcmp1_b32 s13, 0
	s_cselect_b64 s[10:11], -1, 0
	s_xor_b64 s[6:7], s[10:11], -1
	s_and_b64 vcc, exec, s[10:11]
	v_mov_b64_e32 v[2:3], s[8:9]
	s_cbranch_vccnz .LBB64_2
; %bb.1:
	v_mov_b64_e32 v[2:3], s[8:9]
	flat_load_dwordx2 v[2:3], v[2:3]
.LBB64_2:
	s_andn2_b64 vcc, exec, s[6:7]
	v_mov_b64_e32 v[4:5], s[4:5]
	s_cbranch_vccnz .LBB64_4
; %bb.3:
	v_mov_b64_e32 v[4:5], s[4:5]
	flat_load_dwordx2 v[4:5], v[4:5]
.LBB64_4:
	s_waitcnt vmcnt(0) lgkmcnt(0)
	v_cmp_neq_f64_e32 vcc, 0, v[2:3]
	v_cmp_neq_f64_e64 s[4:5], 1.0, v[4:5]
	s_or_b64 s[4:5], vcc, s[4:5]
	s_and_saveexec_b64 s[6:7], s[4:5]
	s_cbranch_execz .LBB64_23
; %bb.5:
	s_load_dwordx2 s[14:15], s[0:1], 0x0
	v_lshrrev_b32_e32 v1, 4, v0
	v_lshl_or_b32 v6, s2, 3, v1
	s_waitcnt lgkmcnt(0)
	v_cmp_gt_i32_e32 vcc, s14, v6
	s_and_b64 exec, exec, vcc
	s_cbranch_execz .LBB64_23
; %bb.6:
	s_load_dwordx8 s[4:11], s[0:1], 0x10
	v_ashrrev_i32_e32 v7, 31, v6
	s_cmp_lg_u32 s15, 0
	s_waitcnt lgkmcnt(0)
	v_lshl_add_u64 v[8:9], v[6:7], 2, s[4:5]
	global_load_dwordx2 v[8:9], v[8:9], off
	v_and_b32_e32 v7, 15, v0
	s_waitcnt vmcnt(0)
	v_subrev_u32_e32 v0, s12, v8
	v_subrev_u32_e32 v24, s12, v9
	v_add_u32_e32 v14, v0, v7
	v_cmp_lt_i32_e64 s[2:3], v14, v24
	s_cbranch_scc0 .LBB64_12
; %bb.7:
	v_mov_b64_e32 v[10:11], 0
	v_mov_b64_e32 v[0:1], 0
	v_mov_b64_e32 v[8:9], 0
	v_mov_b64_e32 v[12:13], 0
	s_and_saveexec_b64 s[4:5], s[2:3]
	s_cbranch_execz .LBB64_11
; %bb.8:
	v_mad_u64_u32 v[16:17], s[14:15], v14, 28, 24
	v_mov_b64_e32 v[10:11], 0
	s_mov_b64 s[14:15], 0
	v_mov_b32_e32 v19, 0
	v_mov_b32_e32 v20, v14
	v_mov_b64_e32 v[0:1], 0
	v_mov_b64_e32 v[8:9], 0
	v_mov_b64_e32 v[12:13], 0
.LBB64_9:                               ; =>This Inner Loop Header: Depth=1
	v_ashrrev_i32_e32 v21, 31, v20
	v_subrev_u32_e32 v18, 24, v16
	v_lshl_add_u64 v[34:35], v[20:21], 2, s[6:7]
	v_lshl_add_u64 v[36:37], v[18:19], 3, s[8:9]
	global_load_dword v15, v[34:35], off
	global_load_dwordx4 v[26:29], v[36:37], off offset:16
	global_load_dwordx4 v[30:33], v[36:37], off
	v_mov_b32_e32 v17, v19
	v_mov_b32_e32 v23, v19
	v_subrev_u32_e32 v18, 20, v16
	v_lshl_add_u64 v[50:51], v[16:17], 3, s[8:9]
	v_lshl_add_u64 v[52:53], v[18:19], 3, s[8:9]
	global_load_dwordx4 v[34:37], v[50:51], off offset:16
	global_load_dwordx4 v[38:41], v[50:51], off
	global_load_dwordx4 v[42:45], v[52:53], off offset:16
	global_load_dwordx4 v[46:49], v[52:53], off
	v_add_u32_e32 v20, 16, v20
	v_cmp_ge_i32_e32 vcc, v20, v24
	s_or_b64 s[14:15], vcc, s[14:15]
	s_waitcnt vmcnt(6)
	v_subrev_u32_e32 v15, s12, v15
	v_mul_lo_u32 v22, v15, 7
	v_lshl_add_u64 v[50:51], v[22:23], 3, s[10:11]
	global_load_dwordx2 v[58:59], v[50:51], off
	v_add_u32_e32 v18, 1, v22
	v_lshl_add_u64 v[50:51], v[18:19], 3, s[10:11]
	global_load_dwordx2 v[60:61], v[50:51], off
	v_add_u32_e32 v18, -16, v16
	v_lshl_add_u64 v[62:63], v[18:19], 3, s[8:9]
	v_add_u32_e32 v18, 2, v22
	global_load_dwordx4 v[50:53], v[62:63], off offset:16
	global_load_dwordx4 v[54:57], v[62:63], off
	s_waitcnt vmcnt(3)
	v_fmac_f64_e32 v[10:11], v[30:31], v[58:59]
	v_lshl_add_u64 v[30:31], v[18:19], 3, s[10:11]
	v_add_u32_e32 v18, -12, v16
	global_load_dwordx2 v[62:63], v[30:31], off
	v_lshl_add_u64 v[64:65], v[18:19], 3, s[8:9]
	v_add_u32_e32 v18, 3, v22
	s_waitcnt vmcnt(3)
	v_fmac_f64_e32 v[10:11], v[46:47], v[60:61]
	v_lshl_add_u64 v[46:47], v[18:19], 3, s[10:11]
	v_fmac_f64_e32 v[12:13], v[32:33], v[58:59]
	v_fmac_f64_e32 v[8:9], v[26:27], v[58:59]
	;; [unrolled: 1-line block ×3, first 2 shown]
	global_load_dwordx4 v[26:29], v[64:65], off offset:16
	global_load_dwordx4 v[30:33], v[64:65], off
	global_load_dwordx2 v[58:59], v[46:47], off
	v_add_u32_e32 v18, -8, v16
	v_lshl_add_u64 v[64:65], v[18:19], 3, s[8:9]
	v_add_u32_e32 v18, 4, v22
	v_fmac_f64_e32 v[12:13], v[48:49], v[60:61]
	v_fmac_f64_e32 v[8:9], v[42:43], v[60:61]
	;; [unrolled: 1-line block ×3, first 2 shown]
	global_load_dwordx4 v[42:45], v[64:65], off offset:16
	global_load_dwordx4 v[46:49], v[64:65], off
	s_waitcnt vmcnt(5)
	v_fmac_f64_e32 v[10:11], v[54:55], v[62:63]
	v_lshl_add_u64 v[54:55], v[18:19], 3, s[10:11]
	v_add_u32_e32 v18, -4, v16
	v_lshl_add_u64 v[64:65], v[18:19], 3, s[8:9]
	v_add_u32_e32 v18, 5, v22
	v_fmac_f64_e32 v[12:13], v[56:57], v[62:63]
	global_load_dwordx2 v[60:61], v[54:55], off
	v_fmac_f64_e32 v[8:9], v[50:51], v[62:63]
	v_fmac_f64_e32 v[0:1], v[52:53], v[62:63]
	v_lshl_add_u64 v[62:63], v[18:19], 3, s[10:11]
	v_add_u32_e32 v18, 6, v22
	global_load_dwordx4 v[50:53], v[64:65], off offset:16
	global_load_dwordx4 v[54:57], v[64:65], off
	global_load_dwordx2 v[22:23], v[62:63], off
	s_waitcnt vmcnt(6)
	v_fmac_f64_e32 v[10:11], v[30:31], v[58:59]
	v_lshl_add_u64 v[30:31], v[18:19], 3, s[10:11]
	global_load_dwordx2 v[30:31], v[30:31], off
	v_fmac_f64_e32 v[12:13], v[32:33], v[58:59]
	v_fmac_f64_e32 v[8:9], v[26:27], v[58:59]
	;; [unrolled: 1-line block ×3, first 2 shown]
	v_add_u32_e32 v16, 0x1c0, v16
	s_waitcnt vmcnt(4)
	v_fmac_f64_e32 v[10:11], v[46:47], v[60:61]
	v_fmac_f64_e32 v[12:13], v[48:49], v[60:61]
	v_fmac_f64_e32 v[8:9], v[42:43], v[60:61]
	v_fmac_f64_e32 v[0:1], v[44:45], v[60:61]
	s_waitcnt vmcnt(1)
	v_fmac_f64_e32 v[10:11], v[54:55], v[22:23]
	v_fmac_f64_e32 v[12:13], v[56:57], v[22:23]
	v_fmac_f64_e32 v[8:9], v[50:51], v[22:23]
	v_fmac_f64_e32 v[0:1], v[52:53], v[22:23]
	;; [unrolled: 5-line block ×3, first 2 shown]
	s_andn2_b64 exec, exec, s[14:15]
	s_cbranch_execnz .LBB64_9
; %bb.10:
	s_or_b64 exec, exec, s[14:15]
.LBB64_11:
	s_or_b64 exec, exec, s[4:5]
	s_cbranch_execz .LBB64_13
	s_branch .LBB64_18
.LBB64_12:
                                        ; implicit-def: $vgpr10_vgpr11
                                        ; implicit-def: $vgpr0_vgpr1
                                        ; implicit-def: $vgpr8_vgpr9
                                        ; implicit-def: $vgpr12_vgpr13
.LBB64_13:
	v_mov_b64_e32 v[10:11], 0
	v_mov_b64_e32 v[0:1], 0
	;; [unrolled: 1-line block ×4, first 2 shown]
	s_and_saveexec_b64 s[4:5], s[2:3]
	s_cbranch_execz .LBB64_17
; %bb.14:
	v_mad_u64_u32 v[16:17], s[2:3], v14, 28, 27
	v_mov_b64_e32 v[10:11], 0
	s_mov_b64 s[2:3], 0
	v_mov_b32_e32 v19, 0
	v_mov_b64_e32 v[0:1], 0
	v_mov_b64_e32 v[8:9], 0
	;; [unrolled: 1-line block ×3, first 2 shown]
.LBB64_15:                              ; =>This Inner Loop Header: Depth=1
	v_ashrrev_i32_e32 v15, 31, v14
	v_subrev_u32_e32 v18, 27, v16
	v_subrev_u32_e32 v22, 20, v16
	v_add_u32_e32 v26, -13, v16
	v_add_u32_e32 v28, -6, v16
	v_mov_b32_e32 v23, v19
	v_mov_b32_e32 v27, v19
	;; [unrolled: 1-line block ×3, first 2 shown]
	v_lshl_add_u64 v[30:31], v[14:15], 2, s[6:7]
	v_lshl_add_u64 v[32:33], v[18:19], 3, s[8:9]
	;; [unrolled: 1-line block ×5, first 2 shown]
	global_load_dword v15, v[30:31], off
	global_load_dwordx4 v[26:29], v[32:33], off
	global_load_dwordx2 v[38:39], v[22:23], off
	global_load_dwordx2 v[40:41], v[34:35], off
	;; [unrolled: 1-line block ×3, first 2 shown]
	v_mov_b32_e32 v21, v19
	v_mov_b32_e32 v17, v19
	v_add_u32_e32 v14, 16, v14
	v_cmp_ge_i32_e32 vcc, v14, v24
	s_or_b64 s[2:3], vcc, s[2:3]
	s_waitcnt vmcnt(4)
	v_subrev_u32_e32 v15, s12, v15
	v_mul_lo_u32 v20, v15, 7
	v_lshl_add_u64 v[22:23], v[20:21], 3, s[10:11]
	global_load_dwordx2 v[22:23], v[22:23], off
	v_add_u32_e32 v18, 1, v20
	v_lshl_add_u64 v[30:31], v[18:19], 3, s[10:11]
	v_subrev_u32_e32 v18, 19, v16
	global_load_dwordx2 v[30:31], v[30:31], off
	v_lshl_add_u64 v[34:35], v[18:19], 3, s[8:9]
	v_add_u32_e32 v18, -12, v16
	global_load_dwordx2 v[34:35], v[34:35], off
	v_lshl_add_u64 v[36:37], v[18:19], 3, s[8:9]
	v_add_u32_e32 v18, -5, v16
	global_load_dwordx2 v[36:37], v[36:37], off
	v_lshl_add_u64 v[44:45], v[18:19], 3, s[8:9]
	global_load_dwordx2 v[44:45], v[44:45], off
	v_add_u32_e32 v18, 2, v20
	v_lshl_add_u64 v[46:47], v[18:19], 3, s[10:11]
	v_subrev_u32_e32 v18, 18, v16
	v_lshl_add_u64 v[48:49], v[18:19], 3, s[8:9]
	v_add_u32_e32 v18, -11, v16
	v_lshl_add_u64 v[50:51], v[18:19], 3, s[8:9]
	v_add_u32_e32 v18, -4, v16
	v_lshl_add_u64 v[52:53], v[18:19], 3, s[8:9]
	v_add_u32_e32 v18, 3, v20
	v_lshl_add_u64 v[54:55], v[18:19], 3, s[10:11]
	v_subrev_u32_e32 v18, 17, v16
	v_lshl_add_u64 v[56:57], v[18:19], 3, s[8:9]
	v_add_u32_e32 v18, -10, v16
	v_lshl_add_u64 v[58:59], v[18:19], 3, s[8:9]
	v_add_u32_e32 v18, -3, v16
	s_waitcnt vmcnt(4)
	v_fmac_f64_e32 v[12:13], v[38:39], v[22:23]
	v_lshl_add_u64 v[38:39], v[18:19], 3, s[8:9]
	v_subrev_u32_e32 v18, 23, v16
	v_fmac_f64_e32 v[8:9], v[40:41], v[22:23]
	v_lshl_add_u64 v[40:41], v[18:19], 3, s[8:9]
	v_add_u32_e32 v18, 4, v20
	v_fmac_f64_e32 v[0:1], v[42:43], v[22:23]
	v_lshl_add_u64 v[42:43], v[18:19], 3, s[10:11]
	v_add_u32_e32 v18, -16, v16
	v_fmac_f64_e32 v[10:11], v[26:27], v[22:23]
	v_lshl_add_u64 v[26:27], v[18:19], 3, s[8:9]
	v_add_u32_e32 v18, -9, v16
	s_waitcnt vmcnt(3)
	v_fmac_f64_e32 v[10:11], v[28:29], v[30:31]
	v_lshl_add_u64 v[28:29], v[18:19], 3, s[8:9]
	v_add_u32_e32 v18, -2, v16
	v_lshl_add_u64 v[60:61], v[18:19], 3, s[8:9]
	v_subrev_u32_e32 v18, 22, v16
	s_waitcnt vmcnt(2)
	v_fmac_f64_e32 v[12:13], v[34:35], v[30:31]
	v_lshl_add_u64 v[34:35], v[18:19], 3, s[8:9]
	v_add_u32_e32 v18, 5, v20
	s_waitcnt vmcnt(1)
	v_fmac_f64_e32 v[8:9], v[36:37], v[30:31]
	v_lshl_add_u64 v[36:37], v[18:19], 3, s[10:11]
	v_add_u32_e32 v18, -15, v16
	s_waitcnt vmcnt(0)
	v_fmac_f64_e32 v[0:1], v[44:45], v[30:31]
	v_lshl_add_u64 v[30:31], v[18:19], 3, s[8:9]
	v_add_u32_e32 v18, -8, v16
	v_lshl_add_u64 v[44:45], v[18:19], 3, s[8:9]
	v_add_u32_e32 v18, -1, v16
	v_lshl_add_u64 v[62:63], v[18:19], 3, s[8:9]
	v_subrev_u32_e32 v18, 21, v16
	v_lshl_add_u64 v[64:65], v[18:19], 3, s[8:9]
	v_add_u32_e32 v18, 6, v20
	global_load_dwordx2 v[66:67], v[46:47], off
	global_load_dwordx2 v[20:21], v[48:49], off
	v_lshl_add_u64 v[46:47], v[16:17], 3, s[8:9]
	s_waitcnt vmcnt(0)
	v_fmac_f64_e32 v[12:13], v[20:21], v[66:67]
	global_load_dwordx2 v[20:21], v[50:51], off
	s_waitcnt vmcnt(0)
	v_fmac_f64_e32 v[8:9], v[20:21], v[66:67]
	global_load_dwordx2 v[20:21], v[52:53], off
	s_waitcnt vmcnt(0)
	v_fmac_f64_e32 v[0:1], v[20:21], v[66:67]
	global_load_dwordx4 v[20:23], v[32:33], off offset:16
	global_load_dwordx2 v[48:49], v[46:47], off
	global_load_dwordx2 v[50:51], v[54:55], off
	;; [unrolled: 1-line block ×14, first 2 shown]
                                        ; kill: killed $vgpr30_vgpr31
                                        ; kill: killed $vgpr32_vgpr33
                                        ; kill: killed $vgpr58_vgpr59
                                        ; kill: killed $vgpr28_vgpr29
                                        ; kill: killed $vgpr44_vgpr45
                                        ; kill: killed $vgpr42_vgpr43
                                        ; kill: killed $vgpr36_vgpr37
                                        ; kill: killed $vgpr40_vgpr41
                                        ; kill: killed $vgpr34_vgpr35
                                        ; kill: killed $vgpr46_vgpr47
                                        ; kill: killed $vgpr38_vgpr39
                                        ; kill: killed $vgpr60_vgpr61
                                        ; kill: killed $vgpr56_vgpr57
                                        ; kill: killed $vgpr26_vgpr27
                                        ; kill: killed $vgpr54_vgpr55
	global_load_dwordx2 v[26:27], v[62:63], off
	global_load_dwordx2 v[28:29], v[64:65], off
	s_waitcnt vmcnt(16)
	v_fmac_f64_e32 v[10:11], v[20:21], v[66:67]
	v_lshl_add_u64 v[20:21], v[18:19], 3, s[10:11]
	v_add_u32_e32 v18, -14, v16
	s_waitcnt vmcnt(14)
	v_fmac_f64_e32 v[10:11], v[22:23], v[50:51]
	v_lshl_add_u64 v[22:23], v[18:19], 3, s[8:9]
	v_add_u32_e32 v18, -7, v16
	global_load_dwordx2 v[20:21], v[20:21], off
	v_lshl_add_u64 v[30:31], v[18:19], 3, s[8:9]
	global_load_dwordx2 v[32:33], v[22:23], off
	global_load_dwordx2 v[34:35], v[30:31], off
	s_waitcnt vmcnt(16)
	v_fmac_f64_e32 v[12:13], v[52:53], v[50:51]
	s_waitcnt vmcnt(15)
	v_fmac_f64_e32 v[8:9], v[68:69], v[50:51]
	;; [unrolled: 2-line block ×10, first 2 shown]
	v_add_u32_e32 v16, 0x1c0, v16
	s_waitcnt vmcnt(4)
	v_fmac_f64_e32 v[0:1], v[26:27], v[84:85]
	s_waitcnt vmcnt(2)
	v_fmac_f64_e32 v[10:11], v[28:29], v[20:21]
	v_fmac_f64_e32 v[0:1], v[48:49], v[20:21]
	s_waitcnt vmcnt(1)
	v_fmac_f64_e32 v[12:13], v[32:33], v[20:21]
	s_waitcnt vmcnt(0)
	v_fmac_f64_e32 v[8:9], v[34:35], v[20:21]
	s_andn2_b64 exec, exec, s[2:3]
	s_cbranch_execnz .LBB64_15
; %bb.16:
	s_or_b64 exec, exec, s[2:3]
.LBB64_17:
	s_or_b64 exec, exec, s[4:5]
.LBB64_18:
	v_mov_b32_dpp v16, v12 row_shr:1 row_mask:0xf bank_mask:0xf
	v_mov_b32_dpp v17, v13 row_shr:1 row_mask:0xf bank_mask:0xf
	v_add_f64 v[12:13], v[12:13], v[16:17]
	v_mov_b32_dpp v14, v10 row_shr:1 row_mask:0xf bank_mask:0xf
	v_mov_b32_dpp v15, v11 row_shr:1 row_mask:0xf bank_mask:0xf
	;; [unrolled: 1-line block ×4, first 2 shown]
	v_add_f64 v[12:13], v[12:13], v[16:17]
	v_add_f64 v[10:11], v[10:11], v[14:15]
	v_cmp_eq_u32_e32 vcc, 15, v7
	v_mov_b32_dpp v16, v12 row_shr:4 row_mask:0xf bank_mask:0xe
	v_mov_b32_dpp v17, v13 row_shr:4 row_mask:0xf bank_mask:0xe
	v_add_f64 v[16:17], v[12:13], v[16:17]
	v_mov_b32_dpp v12, v8 row_shr:1 row_mask:0xf bank_mask:0xf
	v_mov_b32_dpp v13, v9 row_shr:1 row_mask:0xf bank_mask:0xf
	v_add_f64 v[8:9], v[8:9], v[12:13]
	v_mov_b32_dpp v14, v10 row_shr:2 row_mask:0xf bank_mask:0xf
	v_mov_b32_dpp v15, v11 row_shr:2 row_mask:0xf bank_mask:0xf
	;; [unrolled: 1-line block ×4, first 2 shown]
	v_add_f64 v[8:9], v[8:9], v[12:13]
	v_add_f64 v[10:11], v[10:11], v[14:15]
	v_mov_b32_dpp v18, v16 row_shr:8 row_mask:0xf bank_mask:0xc
	v_mov_b32_dpp v12, v8 row_shr:4 row_mask:0xf bank_mask:0xe
	;; [unrolled: 1-line block ×3, first 2 shown]
	v_add_f64 v[8:9], v[8:9], v[12:13]
	v_mov_b32_dpp v12, v0 row_shr:1 row_mask:0xf bank_mask:0xf
	v_mov_b32_dpp v13, v1 row_shr:1 row_mask:0xf bank_mask:0xf
	v_add_f64 v[0:1], v[0:1], v[12:13]
	v_mov_b32_dpp v14, v10 row_shr:4 row_mask:0xf bank_mask:0xe
	v_mov_b32_dpp v15, v11 row_shr:4 row_mask:0xf bank_mask:0xe
	;; [unrolled: 1-line block ×4, first 2 shown]
	v_add_f64 v[0:1], v[0:1], v[12:13]
	v_add_f64 v[10:11], v[10:11], v[14:15]
	v_mov_b32_dpp v19, v17 row_shr:8 row_mask:0xf bank_mask:0xc
	v_mov_b32_dpp v12, v0 row_shr:4 row_mask:0xf bank_mask:0xe
	;; [unrolled: 1-line block ×3, first 2 shown]
	v_add_f64 v[22:23], v[0:1], v[12:13]
	v_mov_b32_dpp v14, v10 row_shr:8 row_mask:0xf bank_mask:0xc
	v_mov_b32_dpp v15, v11 row_shr:8 row_mask:0xf bank_mask:0xc
	;; [unrolled: 1-line block ×6, first 2 shown]
	s_and_b64 exec, exec, vcc
	s_cbranch_execz .LBB64_23
; %bb.19:
	s_load_dwordx2 s[0:1], s[0:1], 0x38
	v_add_f64 v[12:13], v[10:11], v[14:15]
	v_add_f64 v[10:11], v[16:17], v[18:19]
	;; [unrolled: 1-line block ×4, first 2 shown]
	v_cmp_eq_f64_e32 vcc, 0, v[4:5]
	s_and_saveexec_b64 s[2:3], vcc
	s_xor_b64 s[2:3], exec, s[2:3]
	s_cbranch_execz .LBB64_21
; %bb.20:
	v_lshlrev_b32_e32 v6, 2, v6
	v_ashrrev_i32_e32 v7, 31, v6
	v_mul_f64 v[4:5], v[2:3], v[12:13]
	s_waitcnt lgkmcnt(0)
	v_lshl_add_u64 v[12:13], v[6:7], 3, s[0:1]
	v_mul_f64 v[6:7], v[2:3], v[10:11]
	v_mul_f64 v[0:1], v[2:3], v[0:1]
	;; [unrolled: 1-line block ×3, first 2 shown]
	global_store_dwordx4 v[12:13], v[4:7], off
	global_store_dwordx4 v[12:13], v[0:3], off offset:16
                                        ; implicit-def: $vgpr6
                                        ; implicit-def: $vgpr2_vgpr3
                                        ; implicit-def: $vgpr12_vgpr13
                                        ; implicit-def: $vgpr4_vgpr5
                                        ; implicit-def: $vgpr10_vgpr11
                                        ; implicit-def: $vgpr0_vgpr1
                                        ; implicit-def: $vgpr8_vgpr9
.LBB64_21:
	s_andn2_saveexec_b64 s[2:3], s[2:3]
	s_cbranch_execz .LBB64_23
; %bb.22:
	v_lshlrev_b32_e32 v6, 2, v6
	v_ashrrev_i32_e32 v7, 31, v6
	s_waitcnt lgkmcnt(0)
	v_lshl_add_u64 v[6:7], v[6:7], 3, s[0:1]
	global_load_dwordx4 v[14:17], v[6:7], off
	global_load_dwordx4 v[18:21], v[6:7], off offset:16
	v_mul_f64 v[22:23], v[2:3], v[12:13]
	v_mul_f64 v[24:25], v[2:3], v[10:11]
	;; [unrolled: 1-line block ×4, first 2 shown]
	s_waitcnt vmcnt(1)
	v_fmac_f64_e32 v[22:23], v[4:5], v[14:15]
	v_fmac_f64_e32 v[24:25], v[4:5], v[16:17]
	s_waitcnt vmcnt(0)
	v_fmac_f64_e32 v[0:1], v[4:5], v[18:19]
	v_fmac_f64_e32 v[2:3], v[4:5], v[20:21]
	global_store_dwordx4 v[6:7], v[22:25], off
	global_store_dwordx4 v[6:7], v[0:3], off offset:16
.LBB64_23:
	s_endpgm
	.section	.rodata,"a",@progbits
	.p2align	6, 0x0
	.amdhsa_kernel _ZN9rocsparseL19gebsrmvn_4xn_kernelILj128ELj7ELj16EdEEvi20rocsparse_direction_NS_24const_host_device_scalarIT2_EEPKiS6_PKS3_S8_S4_PS3_21rocsparse_index_base_b
		.amdhsa_group_segment_fixed_size 0
		.amdhsa_private_segment_fixed_size 0
		.amdhsa_kernarg_size 72
		.amdhsa_user_sgpr_count 2
		.amdhsa_user_sgpr_dispatch_ptr 0
		.amdhsa_user_sgpr_queue_ptr 0
		.amdhsa_user_sgpr_kernarg_segment_ptr 1
		.amdhsa_user_sgpr_dispatch_id 0
		.amdhsa_user_sgpr_kernarg_preload_length 0
		.amdhsa_user_sgpr_kernarg_preload_offset 0
		.amdhsa_user_sgpr_private_segment_size 0
		.amdhsa_uses_dynamic_stack 0
		.amdhsa_enable_private_segment 0
		.amdhsa_system_sgpr_workgroup_id_x 1
		.amdhsa_system_sgpr_workgroup_id_y 0
		.amdhsa_system_sgpr_workgroup_id_z 0
		.amdhsa_system_sgpr_workgroup_info 0
		.amdhsa_system_vgpr_workitem_id 0
		.amdhsa_next_free_vgpr 90
		.amdhsa_next_free_sgpr 16
		.amdhsa_accum_offset 92
		.amdhsa_reserve_vcc 1
		.amdhsa_float_round_mode_32 0
		.amdhsa_float_round_mode_16_64 0
		.amdhsa_float_denorm_mode_32 3
		.amdhsa_float_denorm_mode_16_64 3
		.amdhsa_dx10_clamp 1
		.amdhsa_ieee_mode 1
		.amdhsa_fp16_overflow 0
		.amdhsa_tg_split 0
		.amdhsa_exception_fp_ieee_invalid_op 0
		.amdhsa_exception_fp_denorm_src 0
		.amdhsa_exception_fp_ieee_div_zero 0
		.amdhsa_exception_fp_ieee_overflow 0
		.amdhsa_exception_fp_ieee_underflow 0
		.amdhsa_exception_fp_ieee_inexact 0
		.amdhsa_exception_int_div_zero 0
	.end_amdhsa_kernel
	.section	.text._ZN9rocsparseL19gebsrmvn_4xn_kernelILj128ELj7ELj16EdEEvi20rocsparse_direction_NS_24const_host_device_scalarIT2_EEPKiS6_PKS3_S8_S4_PS3_21rocsparse_index_base_b,"axG",@progbits,_ZN9rocsparseL19gebsrmvn_4xn_kernelILj128ELj7ELj16EdEEvi20rocsparse_direction_NS_24const_host_device_scalarIT2_EEPKiS6_PKS3_S8_S4_PS3_21rocsparse_index_base_b,comdat
.Lfunc_end64:
	.size	_ZN9rocsparseL19gebsrmvn_4xn_kernelILj128ELj7ELj16EdEEvi20rocsparse_direction_NS_24const_host_device_scalarIT2_EEPKiS6_PKS3_S8_S4_PS3_21rocsparse_index_base_b, .Lfunc_end64-_ZN9rocsparseL19gebsrmvn_4xn_kernelILj128ELj7ELj16EdEEvi20rocsparse_direction_NS_24const_host_device_scalarIT2_EEPKiS6_PKS3_S8_S4_PS3_21rocsparse_index_base_b
                                        ; -- End function
	.set _ZN9rocsparseL19gebsrmvn_4xn_kernelILj128ELj7ELj16EdEEvi20rocsparse_direction_NS_24const_host_device_scalarIT2_EEPKiS6_PKS3_S8_S4_PS3_21rocsparse_index_base_b.num_vgpr, 90
	.set _ZN9rocsparseL19gebsrmvn_4xn_kernelILj128ELj7ELj16EdEEvi20rocsparse_direction_NS_24const_host_device_scalarIT2_EEPKiS6_PKS3_S8_S4_PS3_21rocsparse_index_base_b.num_agpr, 0
	.set _ZN9rocsparseL19gebsrmvn_4xn_kernelILj128ELj7ELj16EdEEvi20rocsparse_direction_NS_24const_host_device_scalarIT2_EEPKiS6_PKS3_S8_S4_PS3_21rocsparse_index_base_b.numbered_sgpr, 16
	.set _ZN9rocsparseL19gebsrmvn_4xn_kernelILj128ELj7ELj16EdEEvi20rocsparse_direction_NS_24const_host_device_scalarIT2_EEPKiS6_PKS3_S8_S4_PS3_21rocsparse_index_base_b.num_named_barrier, 0
	.set _ZN9rocsparseL19gebsrmvn_4xn_kernelILj128ELj7ELj16EdEEvi20rocsparse_direction_NS_24const_host_device_scalarIT2_EEPKiS6_PKS3_S8_S4_PS3_21rocsparse_index_base_b.private_seg_size, 0
	.set _ZN9rocsparseL19gebsrmvn_4xn_kernelILj128ELj7ELj16EdEEvi20rocsparse_direction_NS_24const_host_device_scalarIT2_EEPKiS6_PKS3_S8_S4_PS3_21rocsparse_index_base_b.uses_vcc, 1
	.set _ZN9rocsparseL19gebsrmvn_4xn_kernelILj128ELj7ELj16EdEEvi20rocsparse_direction_NS_24const_host_device_scalarIT2_EEPKiS6_PKS3_S8_S4_PS3_21rocsparse_index_base_b.uses_flat_scratch, 0
	.set _ZN9rocsparseL19gebsrmvn_4xn_kernelILj128ELj7ELj16EdEEvi20rocsparse_direction_NS_24const_host_device_scalarIT2_EEPKiS6_PKS3_S8_S4_PS3_21rocsparse_index_base_b.has_dyn_sized_stack, 0
	.set _ZN9rocsparseL19gebsrmvn_4xn_kernelILj128ELj7ELj16EdEEvi20rocsparse_direction_NS_24const_host_device_scalarIT2_EEPKiS6_PKS3_S8_S4_PS3_21rocsparse_index_base_b.has_recursion, 0
	.set _ZN9rocsparseL19gebsrmvn_4xn_kernelILj128ELj7ELj16EdEEvi20rocsparse_direction_NS_24const_host_device_scalarIT2_EEPKiS6_PKS3_S8_S4_PS3_21rocsparse_index_base_b.has_indirect_call, 0
	.section	.AMDGPU.csdata,"",@progbits
; Kernel info:
; codeLenInByte = 2440
; TotalNumSgprs: 22
; NumVgprs: 90
; NumAgprs: 0
; TotalNumVgprs: 90
; ScratchSize: 0
; MemoryBound: 1
; FloatMode: 240
; IeeeMode: 1
; LDSByteSize: 0 bytes/workgroup (compile time only)
; SGPRBlocks: 2
; VGPRBlocks: 11
; NumSGPRsForWavesPerEU: 22
; NumVGPRsForWavesPerEU: 90
; AccumOffset: 92
; Occupancy: 5
; WaveLimiterHint : 1
; COMPUTE_PGM_RSRC2:SCRATCH_EN: 0
; COMPUTE_PGM_RSRC2:USER_SGPR: 2
; COMPUTE_PGM_RSRC2:TRAP_HANDLER: 0
; COMPUTE_PGM_RSRC2:TGID_X_EN: 1
; COMPUTE_PGM_RSRC2:TGID_Y_EN: 0
; COMPUTE_PGM_RSRC2:TGID_Z_EN: 0
; COMPUTE_PGM_RSRC2:TIDIG_COMP_CNT: 0
; COMPUTE_PGM_RSRC3_GFX90A:ACCUM_OFFSET: 22
; COMPUTE_PGM_RSRC3_GFX90A:TG_SPLIT: 0
	.section	.text._ZN9rocsparseL19gebsrmvn_4xn_kernelILj128ELj7ELj32EdEEvi20rocsparse_direction_NS_24const_host_device_scalarIT2_EEPKiS6_PKS3_S8_S4_PS3_21rocsparse_index_base_b,"axG",@progbits,_ZN9rocsparseL19gebsrmvn_4xn_kernelILj128ELj7ELj32EdEEvi20rocsparse_direction_NS_24const_host_device_scalarIT2_EEPKiS6_PKS3_S8_S4_PS3_21rocsparse_index_base_b,comdat
	.globl	_ZN9rocsparseL19gebsrmvn_4xn_kernelILj128ELj7ELj32EdEEvi20rocsparse_direction_NS_24const_host_device_scalarIT2_EEPKiS6_PKS3_S8_S4_PS3_21rocsparse_index_base_b ; -- Begin function _ZN9rocsparseL19gebsrmvn_4xn_kernelILj128ELj7ELj32EdEEvi20rocsparse_direction_NS_24const_host_device_scalarIT2_EEPKiS6_PKS3_S8_S4_PS3_21rocsparse_index_base_b
	.p2align	8
	.type	_ZN9rocsparseL19gebsrmvn_4xn_kernelILj128ELj7ELj32EdEEvi20rocsparse_direction_NS_24const_host_device_scalarIT2_EEPKiS6_PKS3_S8_S4_PS3_21rocsparse_index_base_b,@function
_ZN9rocsparseL19gebsrmvn_4xn_kernelILj128ELj7ELj32EdEEvi20rocsparse_direction_NS_24const_host_device_scalarIT2_EEPKiS6_PKS3_S8_S4_PS3_21rocsparse_index_base_b: ; @_ZN9rocsparseL19gebsrmvn_4xn_kernelILj128ELj7ELj32EdEEvi20rocsparse_direction_NS_24const_host_device_scalarIT2_EEPKiS6_PKS3_S8_S4_PS3_21rocsparse_index_base_b
; %bb.0:
	s_load_dwordx2 s[12:13], s[0:1], 0x40
	s_load_dwordx2 s[8:9], s[0:1], 0x8
	;; [unrolled: 1-line block ×3, first 2 shown]
	s_waitcnt lgkmcnt(0)
	s_bitcmp1_b32 s13, 0
	s_cselect_b64 s[10:11], -1, 0
	s_xor_b64 s[6:7], s[10:11], -1
	s_and_b64 vcc, exec, s[10:11]
	v_mov_b64_e32 v[2:3], s[8:9]
	s_cbranch_vccnz .LBB65_2
; %bb.1:
	v_mov_b64_e32 v[2:3], s[8:9]
	flat_load_dwordx2 v[2:3], v[2:3]
.LBB65_2:
	s_andn2_b64 vcc, exec, s[6:7]
	v_mov_b64_e32 v[4:5], s[4:5]
	s_cbranch_vccnz .LBB65_4
; %bb.3:
	v_mov_b64_e32 v[4:5], s[4:5]
	flat_load_dwordx2 v[4:5], v[4:5]
.LBB65_4:
	s_waitcnt vmcnt(0) lgkmcnt(0)
	v_cmp_neq_f64_e32 vcc, 0, v[2:3]
	v_cmp_neq_f64_e64 s[4:5], 1.0, v[4:5]
	s_or_b64 s[4:5], vcc, s[4:5]
	s_and_saveexec_b64 s[6:7], s[4:5]
	s_cbranch_execz .LBB65_23
; %bb.5:
	s_load_dwordx2 s[14:15], s[0:1], 0x0
	v_lshrrev_b32_e32 v1, 5, v0
	v_lshl_or_b32 v6, s2, 2, v1
	s_waitcnt lgkmcnt(0)
	v_cmp_gt_i32_e32 vcc, s14, v6
	s_and_b64 exec, exec, vcc
	s_cbranch_execz .LBB65_23
; %bb.6:
	s_load_dwordx8 s[4:11], s[0:1], 0x10
	v_ashrrev_i32_e32 v7, 31, v6
	s_cmp_lg_u32 s15, 0
	s_waitcnt lgkmcnt(0)
	v_lshl_add_u64 v[8:9], v[6:7], 2, s[4:5]
	global_load_dwordx2 v[8:9], v[8:9], off
	v_and_b32_e32 v7, 31, v0
	s_waitcnt vmcnt(0)
	v_subrev_u32_e32 v0, s12, v8
	v_subrev_u32_e32 v24, s12, v9
	v_add_u32_e32 v14, v0, v7
	v_cmp_lt_i32_e64 s[2:3], v14, v24
	s_cbranch_scc0 .LBB65_12
; %bb.7:
	v_mov_b64_e32 v[10:11], 0
	v_mov_b64_e32 v[0:1], 0
	;; [unrolled: 1-line block ×4, first 2 shown]
	s_and_saveexec_b64 s[4:5], s[2:3]
	s_cbranch_execz .LBB65_11
; %bb.8:
	v_mad_u64_u32 v[16:17], s[14:15], v14, 28, 24
	v_mov_b64_e32 v[10:11], 0
	s_mov_b64 s[14:15], 0
	v_mov_b32_e32 v19, 0
	v_mov_b32_e32 v20, v14
	v_mov_b64_e32 v[0:1], 0
	v_mov_b64_e32 v[8:9], 0
	;; [unrolled: 1-line block ×3, first 2 shown]
.LBB65_9:                               ; =>This Inner Loop Header: Depth=1
	v_ashrrev_i32_e32 v21, 31, v20
	v_subrev_u32_e32 v18, 24, v16
	v_lshl_add_u64 v[34:35], v[20:21], 2, s[6:7]
	v_lshl_add_u64 v[36:37], v[18:19], 3, s[8:9]
	global_load_dword v15, v[34:35], off
	global_load_dwordx4 v[26:29], v[36:37], off offset:16
	global_load_dwordx4 v[30:33], v[36:37], off
	v_mov_b32_e32 v17, v19
	v_mov_b32_e32 v23, v19
	v_subrev_u32_e32 v18, 20, v16
	v_lshl_add_u64 v[50:51], v[16:17], 3, s[8:9]
	v_lshl_add_u64 v[52:53], v[18:19], 3, s[8:9]
	global_load_dwordx4 v[34:37], v[50:51], off offset:16
	global_load_dwordx4 v[38:41], v[50:51], off
	global_load_dwordx4 v[42:45], v[52:53], off offset:16
	global_load_dwordx4 v[46:49], v[52:53], off
	v_add_u32_e32 v20, 32, v20
	v_cmp_ge_i32_e32 vcc, v20, v24
	s_or_b64 s[14:15], vcc, s[14:15]
	s_waitcnt vmcnt(6)
	v_subrev_u32_e32 v15, s12, v15
	v_mul_lo_u32 v22, v15, 7
	v_lshl_add_u64 v[50:51], v[22:23], 3, s[10:11]
	global_load_dwordx2 v[58:59], v[50:51], off
	v_add_u32_e32 v18, 1, v22
	v_lshl_add_u64 v[50:51], v[18:19], 3, s[10:11]
	global_load_dwordx2 v[60:61], v[50:51], off
	v_add_u32_e32 v18, -16, v16
	v_lshl_add_u64 v[62:63], v[18:19], 3, s[8:9]
	v_add_u32_e32 v18, 2, v22
	global_load_dwordx4 v[50:53], v[62:63], off offset:16
	global_load_dwordx4 v[54:57], v[62:63], off
	s_waitcnt vmcnt(3)
	v_fmac_f64_e32 v[10:11], v[30:31], v[58:59]
	v_lshl_add_u64 v[30:31], v[18:19], 3, s[10:11]
	v_add_u32_e32 v18, -12, v16
	global_load_dwordx2 v[62:63], v[30:31], off
	v_lshl_add_u64 v[64:65], v[18:19], 3, s[8:9]
	v_add_u32_e32 v18, 3, v22
	s_waitcnt vmcnt(3)
	v_fmac_f64_e32 v[10:11], v[46:47], v[60:61]
	v_lshl_add_u64 v[46:47], v[18:19], 3, s[10:11]
	v_fmac_f64_e32 v[12:13], v[32:33], v[58:59]
	v_fmac_f64_e32 v[8:9], v[26:27], v[58:59]
	;; [unrolled: 1-line block ×3, first 2 shown]
	global_load_dwordx4 v[26:29], v[64:65], off offset:16
	global_load_dwordx4 v[30:33], v[64:65], off
	global_load_dwordx2 v[58:59], v[46:47], off
	v_add_u32_e32 v18, -8, v16
	v_lshl_add_u64 v[64:65], v[18:19], 3, s[8:9]
	v_add_u32_e32 v18, 4, v22
	v_fmac_f64_e32 v[12:13], v[48:49], v[60:61]
	v_fmac_f64_e32 v[8:9], v[42:43], v[60:61]
	;; [unrolled: 1-line block ×3, first 2 shown]
	global_load_dwordx4 v[42:45], v[64:65], off offset:16
	global_load_dwordx4 v[46:49], v[64:65], off
	s_waitcnt vmcnt(5)
	v_fmac_f64_e32 v[10:11], v[54:55], v[62:63]
	v_lshl_add_u64 v[54:55], v[18:19], 3, s[10:11]
	v_add_u32_e32 v18, -4, v16
	v_lshl_add_u64 v[64:65], v[18:19], 3, s[8:9]
	v_add_u32_e32 v18, 5, v22
	v_fmac_f64_e32 v[12:13], v[56:57], v[62:63]
	global_load_dwordx2 v[60:61], v[54:55], off
	v_fmac_f64_e32 v[8:9], v[50:51], v[62:63]
	v_fmac_f64_e32 v[0:1], v[52:53], v[62:63]
	v_lshl_add_u64 v[62:63], v[18:19], 3, s[10:11]
	v_add_u32_e32 v18, 6, v22
	global_load_dwordx4 v[50:53], v[64:65], off offset:16
	global_load_dwordx4 v[54:57], v[64:65], off
	global_load_dwordx2 v[22:23], v[62:63], off
	s_waitcnt vmcnt(6)
	v_fmac_f64_e32 v[10:11], v[30:31], v[58:59]
	v_lshl_add_u64 v[30:31], v[18:19], 3, s[10:11]
	global_load_dwordx2 v[30:31], v[30:31], off
	v_fmac_f64_e32 v[12:13], v[32:33], v[58:59]
	v_fmac_f64_e32 v[8:9], v[26:27], v[58:59]
	;; [unrolled: 1-line block ×3, first 2 shown]
	v_add_u32_e32 v16, 0x380, v16
	s_waitcnt vmcnt(4)
	v_fmac_f64_e32 v[10:11], v[46:47], v[60:61]
	v_fmac_f64_e32 v[12:13], v[48:49], v[60:61]
	v_fmac_f64_e32 v[8:9], v[42:43], v[60:61]
	v_fmac_f64_e32 v[0:1], v[44:45], v[60:61]
	s_waitcnt vmcnt(1)
	v_fmac_f64_e32 v[10:11], v[54:55], v[22:23]
	v_fmac_f64_e32 v[12:13], v[56:57], v[22:23]
	v_fmac_f64_e32 v[8:9], v[50:51], v[22:23]
	v_fmac_f64_e32 v[0:1], v[52:53], v[22:23]
	;; [unrolled: 5-line block ×3, first 2 shown]
	s_andn2_b64 exec, exec, s[14:15]
	s_cbranch_execnz .LBB65_9
; %bb.10:
	s_or_b64 exec, exec, s[14:15]
.LBB65_11:
	s_or_b64 exec, exec, s[4:5]
	s_cbranch_execz .LBB65_13
	s_branch .LBB65_18
.LBB65_12:
                                        ; implicit-def: $vgpr10_vgpr11
                                        ; implicit-def: $vgpr0_vgpr1
                                        ; implicit-def: $vgpr8_vgpr9
                                        ; implicit-def: $vgpr12_vgpr13
.LBB65_13:
	v_mov_b64_e32 v[10:11], 0
	v_mov_b64_e32 v[0:1], 0
	;; [unrolled: 1-line block ×4, first 2 shown]
	s_and_saveexec_b64 s[4:5], s[2:3]
	s_cbranch_execz .LBB65_17
; %bb.14:
	v_mad_u64_u32 v[16:17], s[2:3], v14, 28, 27
	v_mov_b64_e32 v[10:11], 0
	s_mov_b64 s[2:3], 0
	v_mov_b32_e32 v19, 0
	v_mov_b64_e32 v[0:1], 0
	v_mov_b64_e32 v[8:9], 0
	;; [unrolled: 1-line block ×3, first 2 shown]
.LBB65_15:                              ; =>This Inner Loop Header: Depth=1
	v_ashrrev_i32_e32 v15, 31, v14
	v_subrev_u32_e32 v18, 27, v16
	v_subrev_u32_e32 v22, 20, v16
	v_add_u32_e32 v26, -13, v16
	v_add_u32_e32 v28, -6, v16
	v_mov_b32_e32 v23, v19
	v_mov_b32_e32 v27, v19
	;; [unrolled: 1-line block ×3, first 2 shown]
	v_lshl_add_u64 v[30:31], v[14:15], 2, s[6:7]
	v_lshl_add_u64 v[32:33], v[18:19], 3, s[8:9]
	;; [unrolled: 1-line block ×5, first 2 shown]
	global_load_dword v15, v[30:31], off
	global_load_dwordx4 v[26:29], v[32:33], off
	global_load_dwordx2 v[38:39], v[22:23], off
	global_load_dwordx2 v[40:41], v[34:35], off
	;; [unrolled: 1-line block ×3, first 2 shown]
	v_mov_b32_e32 v21, v19
	v_mov_b32_e32 v17, v19
	v_add_u32_e32 v14, 32, v14
	v_cmp_ge_i32_e32 vcc, v14, v24
	s_or_b64 s[2:3], vcc, s[2:3]
	s_waitcnt vmcnt(4)
	v_subrev_u32_e32 v15, s12, v15
	v_mul_lo_u32 v20, v15, 7
	v_lshl_add_u64 v[22:23], v[20:21], 3, s[10:11]
	global_load_dwordx2 v[22:23], v[22:23], off
	v_add_u32_e32 v18, 1, v20
	v_lshl_add_u64 v[30:31], v[18:19], 3, s[10:11]
	v_subrev_u32_e32 v18, 19, v16
	global_load_dwordx2 v[30:31], v[30:31], off
	v_lshl_add_u64 v[34:35], v[18:19], 3, s[8:9]
	v_add_u32_e32 v18, -12, v16
	global_load_dwordx2 v[34:35], v[34:35], off
	v_lshl_add_u64 v[36:37], v[18:19], 3, s[8:9]
	v_add_u32_e32 v18, -5, v16
	global_load_dwordx2 v[36:37], v[36:37], off
	v_lshl_add_u64 v[44:45], v[18:19], 3, s[8:9]
	global_load_dwordx2 v[44:45], v[44:45], off
	v_add_u32_e32 v18, 2, v20
	v_lshl_add_u64 v[46:47], v[18:19], 3, s[10:11]
	v_subrev_u32_e32 v18, 18, v16
	v_lshl_add_u64 v[48:49], v[18:19], 3, s[8:9]
	v_add_u32_e32 v18, -11, v16
	v_lshl_add_u64 v[50:51], v[18:19], 3, s[8:9]
	v_add_u32_e32 v18, -4, v16
	v_lshl_add_u64 v[52:53], v[18:19], 3, s[8:9]
	v_add_u32_e32 v18, 3, v20
	v_lshl_add_u64 v[54:55], v[18:19], 3, s[10:11]
	v_subrev_u32_e32 v18, 17, v16
	v_lshl_add_u64 v[56:57], v[18:19], 3, s[8:9]
	v_add_u32_e32 v18, -10, v16
	v_lshl_add_u64 v[58:59], v[18:19], 3, s[8:9]
	v_add_u32_e32 v18, -3, v16
	s_waitcnt vmcnt(4)
	v_fmac_f64_e32 v[12:13], v[38:39], v[22:23]
	v_lshl_add_u64 v[38:39], v[18:19], 3, s[8:9]
	v_subrev_u32_e32 v18, 23, v16
	v_fmac_f64_e32 v[8:9], v[40:41], v[22:23]
	v_lshl_add_u64 v[40:41], v[18:19], 3, s[8:9]
	v_add_u32_e32 v18, 4, v20
	v_fmac_f64_e32 v[0:1], v[42:43], v[22:23]
	v_lshl_add_u64 v[42:43], v[18:19], 3, s[10:11]
	v_add_u32_e32 v18, -16, v16
	v_fmac_f64_e32 v[10:11], v[26:27], v[22:23]
	v_lshl_add_u64 v[26:27], v[18:19], 3, s[8:9]
	v_add_u32_e32 v18, -9, v16
	s_waitcnt vmcnt(3)
	v_fmac_f64_e32 v[10:11], v[28:29], v[30:31]
	v_lshl_add_u64 v[28:29], v[18:19], 3, s[8:9]
	v_add_u32_e32 v18, -2, v16
	v_lshl_add_u64 v[60:61], v[18:19], 3, s[8:9]
	v_subrev_u32_e32 v18, 22, v16
	s_waitcnt vmcnt(2)
	v_fmac_f64_e32 v[12:13], v[34:35], v[30:31]
	v_lshl_add_u64 v[34:35], v[18:19], 3, s[8:9]
	v_add_u32_e32 v18, 5, v20
	s_waitcnt vmcnt(1)
	v_fmac_f64_e32 v[8:9], v[36:37], v[30:31]
	v_lshl_add_u64 v[36:37], v[18:19], 3, s[10:11]
	v_add_u32_e32 v18, -15, v16
	s_waitcnt vmcnt(0)
	v_fmac_f64_e32 v[0:1], v[44:45], v[30:31]
	v_lshl_add_u64 v[30:31], v[18:19], 3, s[8:9]
	v_add_u32_e32 v18, -8, v16
	v_lshl_add_u64 v[44:45], v[18:19], 3, s[8:9]
	v_add_u32_e32 v18, -1, v16
	v_lshl_add_u64 v[62:63], v[18:19], 3, s[8:9]
	v_subrev_u32_e32 v18, 21, v16
	v_lshl_add_u64 v[64:65], v[18:19], 3, s[8:9]
	v_add_u32_e32 v18, 6, v20
	global_load_dwordx2 v[66:67], v[46:47], off
	global_load_dwordx2 v[20:21], v[48:49], off
	v_lshl_add_u64 v[46:47], v[16:17], 3, s[8:9]
	s_waitcnt vmcnt(0)
	v_fmac_f64_e32 v[12:13], v[20:21], v[66:67]
	global_load_dwordx2 v[20:21], v[50:51], off
	s_waitcnt vmcnt(0)
	v_fmac_f64_e32 v[8:9], v[20:21], v[66:67]
	global_load_dwordx2 v[20:21], v[52:53], off
	s_waitcnt vmcnt(0)
	v_fmac_f64_e32 v[0:1], v[20:21], v[66:67]
	global_load_dwordx4 v[20:23], v[32:33], off offset:16
	global_load_dwordx2 v[48:49], v[46:47], off
	global_load_dwordx2 v[50:51], v[54:55], off
	;; [unrolled: 1-line block ×14, first 2 shown]
                                        ; kill: killed $vgpr30_vgpr31
                                        ; kill: killed $vgpr32_vgpr33
                                        ; kill: killed $vgpr58_vgpr59
                                        ; kill: killed $vgpr28_vgpr29
                                        ; kill: killed $vgpr44_vgpr45
                                        ; kill: killed $vgpr42_vgpr43
                                        ; kill: killed $vgpr36_vgpr37
                                        ; kill: killed $vgpr40_vgpr41
                                        ; kill: killed $vgpr34_vgpr35
                                        ; kill: killed $vgpr46_vgpr47
                                        ; kill: killed $vgpr38_vgpr39
                                        ; kill: killed $vgpr60_vgpr61
                                        ; kill: killed $vgpr56_vgpr57
                                        ; kill: killed $vgpr26_vgpr27
                                        ; kill: killed $vgpr54_vgpr55
	global_load_dwordx2 v[26:27], v[62:63], off
	global_load_dwordx2 v[28:29], v[64:65], off
	s_waitcnt vmcnt(16)
	v_fmac_f64_e32 v[10:11], v[20:21], v[66:67]
	v_lshl_add_u64 v[20:21], v[18:19], 3, s[10:11]
	v_add_u32_e32 v18, -14, v16
	s_waitcnt vmcnt(14)
	v_fmac_f64_e32 v[10:11], v[22:23], v[50:51]
	v_lshl_add_u64 v[22:23], v[18:19], 3, s[8:9]
	v_add_u32_e32 v18, -7, v16
	global_load_dwordx2 v[20:21], v[20:21], off
	v_lshl_add_u64 v[30:31], v[18:19], 3, s[8:9]
	global_load_dwordx2 v[32:33], v[22:23], off
	global_load_dwordx2 v[34:35], v[30:31], off
	s_waitcnt vmcnt(16)
	v_fmac_f64_e32 v[12:13], v[52:53], v[50:51]
	s_waitcnt vmcnt(15)
	v_fmac_f64_e32 v[8:9], v[68:69], v[50:51]
	;; [unrolled: 2-line block ×10, first 2 shown]
	v_add_u32_e32 v16, 0x380, v16
	s_waitcnt vmcnt(4)
	v_fmac_f64_e32 v[0:1], v[26:27], v[84:85]
	s_waitcnt vmcnt(2)
	v_fmac_f64_e32 v[10:11], v[28:29], v[20:21]
	v_fmac_f64_e32 v[0:1], v[48:49], v[20:21]
	s_waitcnt vmcnt(1)
	v_fmac_f64_e32 v[12:13], v[32:33], v[20:21]
	s_waitcnt vmcnt(0)
	v_fmac_f64_e32 v[8:9], v[34:35], v[20:21]
	s_andn2_b64 exec, exec, s[2:3]
	s_cbranch_execnz .LBB65_15
; %bb.16:
	s_or_b64 exec, exec, s[2:3]
.LBB65_17:
	s_or_b64 exec, exec, s[4:5]
.LBB65_18:
	v_mov_b32_dpp v16, v12 row_shr:1 row_mask:0xf bank_mask:0xf
	v_mov_b32_dpp v17, v13 row_shr:1 row_mask:0xf bank_mask:0xf
	v_add_f64 v[12:13], v[12:13], v[16:17]
	v_mov_b32_dpp v14, v10 row_shr:1 row_mask:0xf bank_mask:0xf
	v_mov_b32_dpp v15, v11 row_shr:1 row_mask:0xf bank_mask:0xf
	;; [unrolled: 1-line block ×4, first 2 shown]
	v_add_f64 v[12:13], v[12:13], v[16:17]
	v_add_f64 v[10:11], v[10:11], v[14:15]
	v_cmp_eq_u32_e32 vcc, 31, v7
	v_mov_b32_dpp v16, v12 row_shr:4 row_mask:0xf bank_mask:0xe
	v_mov_b32_dpp v17, v13 row_shr:4 row_mask:0xf bank_mask:0xe
	v_add_f64 v[12:13], v[12:13], v[16:17]
	v_mov_b32_dpp v14, v10 row_shr:2 row_mask:0xf bank_mask:0xf
	v_mov_b32_dpp v15, v11 row_shr:2 row_mask:0xf bank_mask:0xf
	;; [unrolled: 1-line block ×4, first 2 shown]
	v_add_f64 v[16:17], v[12:13], v[16:17]
	v_mov_b32_dpp v12, v8 row_shr:1 row_mask:0xf bank_mask:0xf
	v_mov_b32_dpp v13, v9 row_shr:1 row_mask:0xf bank_mask:0xf
	v_add_f64 v[8:9], v[8:9], v[12:13]
	v_add_f64 v[10:11], v[10:11], v[14:15]
	v_mov_b32_dpp v18, v16 row_bcast:15 row_mask:0xa bank_mask:0xf
	v_mov_b32_dpp v12, v8 row_shr:2 row_mask:0xf bank_mask:0xf
	v_mov_b32_dpp v13, v9 row_shr:2 row_mask:0xf bank_mask:0xf
	v_add_f64 v[8:9], v[8:9], v[12:13]
	v_mov_b32_dpp v14, v10 row_shr:4 row_mask:0xf bank_mask:0xe
	v_mov_b32_dpp v15, v11 row_shr:4 row_mask:0xf bank_mask:0xe
	;; [unrolled: 1-line block ×4, first 2 shown]
	v_add_f64 v[8:9], v[8:9], v[12:13]
	v_add_f64 v[10:11], v[10:11], v[14:15]
	v_mov_b32_dpp v19, v17 row_bcast:15 row_mask:0xa bank_mask:0xf
	v_mov_b32_dpp v12, v8 row_shr:8 row_mask:0xf bank_mask:0xc
	v_mov_b32_dpp v13, v9 row_shr:8 row_mask:0xf bank_mask:0xc
	v_add_f64 v[8:9], v[8:9], v[12:13]
	v_mov_b32_dpp v12, v0 row_shr:1 row_mask:0xf bank_mask:0xf
	v_mov_b32_dpp v13, v1 row_shr:1 row_mask:0xf bank_mask:0xf
	v_add_f64 v[0:1], v[0:1], v[12:13]
	v_mov_b32_dpp v14, v10 row_shr:8 row_mask:0xf bank_mask:0xc
	v_mov_b32_dpp v15, v11 row_shr:8 row_mask:0xf bank_mask:0xc
	;; [unrolled: 1-line block ×4, first 2 shown]
	v_add_f64 v[0:1], v[0:1], v[12:13]
	v_add_f64 v[10:11], v[10:11], v[14:15]
	v_mov_b32_dpp v20, v8 row_bcast:15 row_mask:0xa bank_mask:0xf
	v_mov_b32_dpp v12, v0 row_shr:4 row_mask:0xf bank_mask:0xe
	v_mov_b32_dpp v13, v1 row_shr:4 row_mask:0xf bank_mask:0xe
	v_add_f64 v[0:1], v[0:1], v[12:13]
	v_mov_b32_dpp v14, v10 row_bcast:15 row_mask:0xa bank_mask:0xf
	v_mov_b32_dpp v15, v11 row_bcast:15 row_mask:0xa bank_mask:0xf
	v_mov_b32_dpp v12, v0 row_shr:8 row_mask:0xf bank_mask:0xc
	v_mov_b32_dpp v13, v1 row_shr:8 row_mask:0xf bank_mask:0xc
	v_add_f64 v[22:23], v[0:1], v[12:13]
	v_mov_b32_dpp v21, v9 row_bcast:15 row_mask:0xa bank_mask:0xf
	s_nop 0
	v_mov_b32_dpp v24, v22 row_bcast:15 row_mask:0xa bank_mask:0xf
	v_mov_b32_dpp v25, v23 row_bcast:15 row_mask:0xa bank_mask:0xf
	s_and_b64 exec, exec, vcc
	s_cbranch_execz .LBB65_23
; %bb.19:
	s_load_dwordx2 s[0:1], s[0:1], 0x38
	v_add_f64 v[12:13], v[10:11], v[14:15]
	v_add_f64 v[10:11], v[16:17], v[18:19]
	;; [unrolled: 1-line block ×4, first 2 shown]
	v_cmp_eq_f64_e32 vcc, 0, v[4:5]
	s_and_saveexec_b64 s[2:3], vcc
	s_xor_b64 s[2:3], exec, s[2:3]
	s_cbranch_execz .LBB65_21
; %bb.20:
	v_lshlrev_b32_e32 v6, 2, v6
	v_ashrrev_i32_e32 v7, 31, v6
	v_mul_f64 v[4:5], v[2:3], v[12:13]
	s_waitcnt lgkmcnt(0)
	v_lshl_add_u64 v[12:13], v[6:7], 3, s[0:1]
	v_mul_f64 v[6:7], v[2:3], v[10:11]
	v_mul_f64 v[0:1], v[2:3], v[0:1]
	;; [unrolled: 1-line block ×3, first 2 shown]
	global_store_dwordx4 v[12:13], v[4:7], off
	global_store_dwordx4 v[12:13], v[0:3], off offset:16
                                        ; implicit-def: $vgpr6
                                        ; implicit-def: $vgpr2_vgpr3
                                        ; implicit-def: $vgpr12_vgpr13
                                        ; implicit-def: $vgpr4_vgpr5
                                        ; implicit-def: $vgpr10_vgpr11
                                        ; implicit-def: $vgpr0_vgpr1
                                        ; implicit-def: $vgpr8_vgpr9
.LBB65_21:
	s_andn2_saveexec_b64 s[2:3], s[2:3]
	s_cbranch_execz .LBB65_23
; %bb.22:
	v_lshlrev_b32_e32 v6, 2, v6
	v_ashrrev_i32_e32 v7, 31, v6
	s_waitcnt lgkmcnt(0)
	v_lshl_add_u64 v[6:7], v[6:7], 3, s[0:1]
	global_load_dwordx4 v[14:17], v[6:7], off
	global_load_dwordx4 v[18:21], v[6:7], off offset:16
	v_mul_f64 v[22:23], v[2:3], v[12:13]
	v_mul_f64 v[24:25], v[2:3], v[10:11]
	;; [unrolled: 1-line block ×4, first 2 shown]
	s_waitcnt vmcnt(1)
	v_fmac_f64_e32 v[22:23], v[4:5], v[14:15]
	v_fmac_f64_e32 v[24:25], v[4:5], v[16:17]
	s_waitcnt vmcnt(0)
	v_fmac_f64_e32 v[0:1], v[4:5], v[18:19]
	v_fmac_f64_e32 v[2:3], v[4:5], v[20:21]
	global_store_dwordx4 v[6:7], v[22:25], off
	global_store_dwordx4 v[6:7], v[0:3], off offset:16
.LBB65_23:
	s_endpgm
	.section	.rodata,"a",@progbits
	.p2align	6, 0x0
	.amdhsa_kernel _ZN9rocsparseL19gebsrmvn_4xn_kernelILj128ELj7ELj32EdEEvi20rocsparse_direction_NS_24const_host_device_scalarIT2_EEPKiS6_PKS3_S8_S4_PS3_21rocsparse_index_base_b
		.amdhsa_group_segment_fixed_size 0
		.amdhsa_private_segment_fixed_size 0
		.amdhsa_kernarg_size 72
		.amdhsa_user_sgpr_count 2
		.amdhsa_user_sgpr_dispatch_ptr 0
		.amdhsa_user_sgpr_queue_ptr 0
		.amdhsa_user_sgpr_kernarg_segment_ptr 1
		.amdhsa_user_sgpr_dispatch_id 0
		.amdhsa_user_sgpr_kernarg_preload_length 0
		.amdhsa_user_sgpr_kernarg_preload_offset 0
		.amdhsa_user_sgpr_private_segment_size 0
		.amdhsa_uses_dynamic_stack 0
		.amdhsa_enable_private_segment 0
		.amdhsa_system_sgpr_workgroup_id_x 1
		.amdhsa_system_sgpr_workgroup_id_y 0
		.amdhsa_system_sgpr_workgroup_id_z 0
		.amdhsa_system_sgpr_workgroup_info 0
		.amdhsa_system_vgpr_workitem_id 0
		.amdhsa_next_free_vgpr 90
		.amdhsa_next_free_sgpr 16
		.amdhsa_accum_offset 92
		.amdhsa_reserve_vcc 1
		.amdhsa_float_round_mode_32 0
		.amdhsa_float_round_mode_16_64 0
		.amdhsa_float_denorm_mode_32 3
		.amdhsa_float_denorm_mode_16_64 3
		.amdhsa_dx10_clamp 1
		.amdhsa_ieee_mode 1
		.amdhsa_fp16_overflow 0
		.amdhsa_tg_split 0
		.amdhsa_exception_fp_ieee_invalid_op 0
		.amdhsa_exception_fp_denorm_src 0
		.amdhsa_exception_fp_ieee_div_zero 0
		.amdhsa_exception_fp_ieee_overflow 0
		.amdhsa_exception_fp_ieee_underflow 0
		.amdhsa_exception_fp_ieee_inexact 0
		.amdhsa_exception_int_div_zero 0
	.end_amdhsa_kernel
	.section	.text._ZN9rocsparseL19gebsrmvn_4xn_kernelILj128ELj7ELj32EdEEvi20rocsparse_direction_NS_24const_host_device_scalarIT2_EEPKiS6_PKS3_S8_S4_PS3_21rocsparse_index_base_b,"axG",@progbits,_ZN9rocsparseL19gebsrmvn_4xn_kernelILj128ELj7ELj32EdEEvi20rocsparse_direction_NS_24const_host_device_scalarIT2_EEPKiS6_PKS3_S8_S4_PS3_21rocsparse_index_base_b,comdat
.Lfunc_end65:
	.size	_ZN9rocsparseL19gebsrmvn_4xn_kernelILj128ELj7ELj32EdEEvi20rocsparse_direction_NS_24const_host_device_scalarIT2_EEPKiS6_PKS3_S8_S4_PS3_21rocsparse_index_base_b, .Lfunc_end65-_ZN9rocsparseL19gebsrmvn_4xn_kernelILj128ELj7ELj32EdEEvi20rocsparse_direction_NS_24const_host_device_scalarIT2_EEPKiS6_PKS3_S8_S4_PS3_21rocsparse_index_base_b
                                        ; -- End function
	.set _ZN9rocsparseL19gebsrmvn_4xn_kernelILj128ELj7ELj32EdEEvi20rocsparse_direction_NS_24const_host_device_scalarIT2_EEPKiS6_PKS3_S8_S4_PS3_21rocsparse_index_base_b.num_vgpr, 90
	.set _ZN9rocsparseL19gebsrmvn_4xn_kernelILj128ELj7ELj32EdEEvi20rocsparse_direction_NS_24const_host_device_scalarIT2_EEPKiS6_PKS3_S8_S4_PS3_21rocsparse_index_base_b.num_agpr, 0
	.set _ZN9rocsparseL19gebsrmvn_4xn_kernelILj128ELj7ELj32EdEEvi20rocsparse_direction_NS_24const_host_device_scalarIT2_EEPKiS6_PKS3_S8_S4_PS3_21rocsparse_index_base_b.numbered_sgpr, 16
	.set _ZN9rocsparseL19gebsrmvn_4xn_kernelILj128ELj7ELj32EdEEvi20rocsparse_direction_NS_24const_host_device_scalarIT2_EEPKiS6_PKS3_S8_S4_PS3_21rocsparse_index_base_b.num_named_barrier, 0
	.set _ZN9rocsparseL19gebsrmvn_4xn_kernelILj128ELj7ELj32EdEEvi20rocsparse_direction_NS_24const_host_device_scalarIT2_EEPKiS6_PKS3_S8_S4_PS3_21rocsparse_index_base_b.private_seg_size, 0
	.set _ZN9rocsparseL19gebsrmvn_4xn_kernelILj128ELj7ELj32EdEEvi20rocsparse_direction_NS_24const_host_device_scalarIT2_EEPKiS6_PKS3_S8_S4_PS3_21rocsparse_index_base_b.uses_vcc, 1
	.set _ZN9rocsparseL19gebsrmvn_4xn_kernelILj128ELj7ELj32EdEEvi20rocsparse_direction_NS_24const_host_device_scalarIT2_EEPKiS6_PKS3_S8_S4_PS3_21rocsparse_index_base_b.uses_flat_scratch, 0
	.set _ZN9rocsparseL19gebsrmvn_4xn_kernelILj128ELj7ELj32EdEEvi20rocsparse_direction_NS_24const_host_device_scalarIT2_EEPKiS6_PKS3_S8_S4_PS3_21rocsparse_index_base_b.has_dyn_sized_stack, 0
	.set _ZN9rocsparseL19gebsrmvn_4xn_kernelILj128ELj7ELj32EdEEvi20rocsparse_direction_NS_24const_host_device_scalarIT2_EEPKiS6_PKS3_S8_S4_PS3_21rocsparse_index_base_b.has_recursion, 0
	.set _ZN9rocsparseL19gebsrmvn_4xn_kernelILj128ELj7ELj32EdEEvi20rocsparse_direction_NS_24const_host_device_scalarIT2_EEPKiS6_PKS3_S8_S4_PS3_21rocsparse_index_base_b.has_indirect_call, 0
	.section	.AMDGPU.csdata,"",@progbits
; Kernel info:
; codeLenInByte = 2540
; TotalNumSgprs: 22
; NumVgprs: 90
; NumAgprs: 0
; TotalNumVgprs: 90
; ScratchSize: 0
; MemoryBound: 1
; FloatMode: 240
; IeeeMode: 1
; LDSByteSize: 0 bytes/workgroup (compile time only)
; SGPRBlocks: 2
; VGPRBlocks: 11
; NumSGPRsForWavesPerEU: 22
; NumVGPRsForWavesPerEU: 90
; AccumOffset: 92
; Occupancy: 5
; WaveLimiterHint : 1
; COMPUTE_PGM_RSRC2:SCRATCH_EN: 0
; COMPUTE_PGM_RSRC2:USER_SGPR: 2
; COMPUTE_PGM_RSRC2:TRAP_HANDLER: 0
; COMPUTE_PGM_RSRC2:TGID_X_EN: 1
; COMPUTE_PGM_RSRC2:TGID_Y_EN: 0
; COMPUTE_PGM_RSRC2:TGID_Z_EN: 0
; COMPUTE_PGM_RSRC2:TIDIG_COMP_CNT: 0
; COMPUTE_PGM_RSRC3_GFX90A:ACCUM_OFFSET: 22
; COMPUTE_PGM_RSRC3_GFX90A:TG_SPLIT: 0
	.section	.text._ZN9rocsparseL19gebsrmvn_4xn_kernelILj128ELj7ELj64EdEEvi20rocsparse_direction_NS_24const_host_device_scalarIT2_EEPKiS6_PKS3_S8_S4_PS3_21rocsparse_index_base_b,"axG",@progbits,_ZN9rocsparseL19gebsrmvn_4xn_kernelILj128ELj7ELj64EdEEvi20rocsparse_direction_NS_24const_host_device_scalarIT2_EEPKiS6_PKS3_S8_S4_PS3_21rocsparse_index_base_b,comdat
	.globl	_ZN9rocsparseL19gebsrmvn_4xn_kernelILj128ELj7ELj64EdEEvi20rocsparse_direction_NS_24const_host_device_scalarIT2_EEPKiS6_PKS3_S8_S4_PS3_21rocsparse_index_base_b ; -- Begin function _ZN9rocsparseL19gebsrmvn_4xn_kernelILj128ELj7ELj64EdEEvi20rocsparse_direction_NS_24const_host_device_scalarIT2_EEPKiS6_PKS3_S8_S4_PS3_21rocsparse_index_base_b
	.p2align	8
	.type	_ZN9rocsparseL19gebsrmvn_4xn_kernelILj128ELj7ELj64EdEEvi20rocsparse_direction_NS_24const_host_device_scalarIT2_EEPKiS6_PKS3_S8_S4_PS3_21rocsparse_index_base_b,@function
_ZN9rocsparseL19gebsrmvn_4xn_kernelILj128ELj7ELj64EdEEvi20rocsparse_direction_NS_24const_host_device_scalarIT2_EEPKiS6_PKS3_S8_S4_PS3_21rocsparse_index_base_b: ; @_ZN9rocsparseL19gebsrmvn_4xn_kernelILj128ELj7ELj64EdEEvi20rocsparse_direction_NS_24const_host_device_scalarIT2_EEPKiS6_PKS3_S8_S4_PS3_21rocsparse_index_base_b
; %bb.0:
	s_load_dwordx2 s[12:13], s[0:1], 0x40
	s_load_dwordx2 s[8:9], s[0:1], 0x8
	;; [unrolled: 1-line block ×3, first 2 shown]
	s_waitcnt lgkmcnt(0)
	s_bitcmp1_b32 s13, 0
	s_cselect_b64 s[10:11], -1, 0
	s_xor_b64 s[6:7], s[10:11], -1
	s_and_b64 vcc, exec, s[10:11]
	v_mov_b64_e32 v[2:3], s[8:9]
	s_cbranch_vccnz .LBB66_2
; %bb.1:
	v_mov_b64_e32 v[2:3], s[8:9]
	flat_load_dwordx2 v[2:3], v[2:3]
.LBB66_2:
	s_andn2_b64 vcc, exec, s[6:7]
	v_mov_b64_e32 v[4:5], s[4:5]
	s_cbranch_vccnz .LBB66_4
; %bb.3:
	v_mov_b64_e32 v[4:5], s[4:5]
	flat_load_dwordx2 v[4:5], v[4:5]
.LBB66_4:
	s_waitcnt vmcnt(0) lgkmcnt(0)
	v_cmp_neq_f64_e32 vcc, 0, v[2:3]
	v_cmp_neq_f64_e64 s[4:5], 1.0, v[4:5]
	s_or_b64 s[4:5], vcc, s[4:5]
	s_and_saveexec_b64 s[6:7], s[4:5]
	s_cbranch_execz .LBB66_23
; %bb.5:
	s_load_dwordx2 s[14:15], s[0:1], 0x0
	v_lshrrev_b32_e32 v1, 6, v0
	v_lshl_or_b32 v6, s2, 1, v1
	s_waitcnt lgkmcnt(0)
	v_cmp_gt_i32_e32 vcc, s14, v6
	s_and_b64 exec, exec, vcc
	s_cbranch_execz .LBB66_23
; %bb.6:
	s_load_dwordx8 s[4:11], s[0:1], 0x10
	v_ashrrev_i32_e32 v7, 31, v6
	s_cmp_lg_u32 s15, 0
	s_waitcnt lgkmcnt(0)
	v_lshl_add_u64 v[8:9], v[6:7], 2, s[4:5]
	global_load_dwordx2 v[8:9], v[8:9], off
	v_and_b32_e32 v7, 63, v0
	s_waitcnt vmcnt(0)
	v_subrev_u32_e32 v0, s12, v8
	v_subrev_u32_e32 v24, s12, v9
	v_add_u32_e32 v14, v0, v7
	v_cmp_lt_i32_e64 s[2:3], v14, v24
	s_cbranch_scc0 .LBB66_12
; %bb.7:
	v_mov_b64_e32 v[10:11], 0
	v_mov_b64_e32 v[0:1], 0
	v_mov_b64_e32 v[8:9], 0
	v_mov_b64_e32 v[12:13], 0
	s_and_saveexec_b64 s[4:5], s[2:3]
	s_cbranch_execz .LBB66_11
; %bb.8:
	v_mad_u64_u32 v[16:17], s[14:15], v14, 28, 24
	v_mov_b64_e32 v[10:11], 0
	s_mov_b64 s[14:15], 0
	v_mov_b32_e32 v19, 0
	v_mov_b32_e32 v20, v14
	v_mov_b64_e32 v[0:1], 0
	v_mov_b64_e32 v[8:9], 0
	;; [unrolled: 1-line block ×3, first 2 shown]
.LBB66_9:                               ; =>This Inner Loop Header: Depth=1
	v_ashrrev_i32_e32 v21, 31, v20
	v_subrev_u32_e32 v18, 24, v16
	v_lshl_add_u64 v[34:35], v[20:21], 2, s[6:7]
	v_lshl_add_u64 v[36:37], v[18:19], 3, s[8:9]
	global_load_dword v15, v[34:35], off
	global_load_dwordx4 v[26:29], v[36:37], off offset:16
	global_load_dwordx4 v[30:33], v[36:37], off
	v_mov_b32_e32 v17, v19
	v_mov_b32_e32 v23, v19
	v_subrev_u32_e32 v18, 20, v16
	v_lshl_add_u64 v[50:51], v[16:17], 3, s[8:9]
	v_lshl_add_u64 v[52:53], v[18:19], 3, s[8:9]
	global_load_dwordx4 v[34:37], v[50:51], off offset:16
	global_load_dwordx4 v[38:41], v[50:51], off
	global_load_dwordx4 v[42:45], v[52:53], off offset:16
	global_load_dwordx4 v[46:49], v[52:53], off
	v_add_u32_e32 v20, 64, v20
	v_cmp_ge_i32_e32 vcc, v20, v24
	s_or_b64 s[14:15], vcc, s[14:15]
	s_waitcnt vmcnt(6)
	v_subrev_u32_e32 v15, s12, v15
	v_mul_lo_u32 v22, v15, 7
	v_lshl_add_u64 v[50:51], v[22:23], 3, s[10:11]
	global_load_dwordx2 v[58:59], v[50:51], off
	v_add_u32_e32 v18, 1, v22
	v_lshl_add_u64 v[50:51], v[18:19], 3, s[10:11]
	global_load_dwordx2 v[60:61], v[50:51], off
	v_add_u32_e32 v18, -16, v16
	v_lshl_add_u64 v[62:63], v[18:19], 3, s[8:9]
	v_add_u32_e32 v18, 2, v22
	global_load_dwordx4 v[50:53], v[62:63], off offset:16
	global_load_dwordx4 v[54:57], v[62:63], off
	s_waitcnt vmcnt(3)
	v_fmac_f64_e32 v[10:11], v[30:31], v[58:59]
	v_lshl_add_u64 v[30:31], v[18:19], 3, s[10:11]
	v_add_u32_e32 v18, -12, v16
	global_load_dwordx2 v[62:63], v[30:31], off
	v_lshl_add_u64 v[64:65], v[18:19], 3, s[8:9]
	v_add_u32_e32 v18, 3, v22
	s_waitcnt vmcnt(3)
	v_fmac_f64_e32 v[10:11], v[46:47], v[60:61]
	v_lshl_add_u64 v[46:47], v[18:19], 3, s[10:11]
	v_fmac_f64_e32 v[12:13], v[32:33], v[58:59]
	v_fmac_f64_e32 v[8:9], v[26:27], v[58:59]
	;; [unrolled: 1-line block ×3, first 2 shown]
	global_load_dwordx4 v[26:29], v[64:65], off offset:16
	global_load_dwordx4 v[30:33], v[64:65], off
	global_load_dwordx2 v[58:59], v[46:47], off
	v_add_u32_e32 v18, -8, v16
	v_lshl_add_u64 v[64:65], v[18:19], 3, s[8:9]
	v_add_u32_e32 v18, 4, v22
	v_fmac_f64_e32 v[12:13], v[48:49], v[60:61]
	v_fmac_f64_e32 v[8:9], v[42:43], v[60:61]
	;; [unrolled: 1-line block ×3, first 2 shown]
	global_load_dwordx4 v[42:45], v[64:65], off offset:16
	global_load_dwordx4 v[46:49], v[64:65], off
	s_waitcnt vmcnt(5)
	v_fmac_f64_e32 v[10:11], v[54:55], v[62:63]
	v_lshl_add_u64 v[54:55], v[18:19], 3, s[10:11]
	v_add_u32_e32 v18, -4, v16
	v_lshl_add_u64 v[64:65], v[18:19], 3, s[8:9]
	v_add_u32_e32 v18, 5, v22
	v_fmac_f64_e32 v[12:13], v[56:57], v[62:63]
	global_load_dwordx2 v[60:61], v[54:55], off
	v_fmac_f64_e32 v[8:9], v[50:51], v[62:63]
	v_fmac_f64_e32 v[0:1], v[52:53], v[62:63]
	v_lshl_add_u64 v[62:63], v[18:19], 3, s[10:11]
	v_add_u32_e32 v18, 6, v22
	global_load_dwordx4 v[50:53], v[64:65], off offset:16
	global_load_dwordx4 v[54:57], v[64:65], off
	global_load_dwordx2 v[22:23], v[62:63], off
	s_waitcnt vmcnt(6)
	v_fmac_f64_e32 v[10:11], v[30:31], v[58:59]
	v_lshl_add_u64 v[30:31], v[18:19], 3, s[10:11]
	global_load_dwordx2 v[30:31], v[30:31], off
	v_fmac_f64_e32 v[12:13], v[32:33], v[58:59]
	v_fmac_f64_e32 v[8:9], v[26:27], v[58:59]
	;; [unrolled: 1-line block ×3, first 2 shown]
	v_add_u32_e32 v16, 0x700, v16
	s_waitcnt vmcnt(4)
	v_fmac_f64_e32 v[10:11], v[46:47], v[60:61]
	v_fmac_f64_e32 v[12:13], v[48:49], v[60:61]
	v_fmac_f64_e32 v[8:9], v[42:43], v[60:61]
	v_fmac_f64_e32 v[0:1], v[44:45], v[60:61]
	s_waitcnt vmcnt(1)
	v_fmac_f64_e32 v[10:11], v[54:55], v[22:23]
	v_fmac_f64_e32 v[12:13], v[56:57], v[22:23]
	v_fmac_f64_e32 v[8:9], v[50:51], v[22:23]
	v_fmac_f64_e32 v[0:1], v[52:53], v[22:23]
	;; [unrolled: 5-line block ×3, first 2 shown]
	s_andn2_b64 exec, exec, s[14:15]
	s_cbranch_execnz .LBB66_9
; %bb.10:
	s_or_b64 exec, exec, s[14:15]
.LBB66_11:
	s_or_b64 exec, exec, s[4:5]
	s_cbranch_execz .LBB66_13
	s_branch .LBB66_18
.LBB66_12:
                                        ; implicit-def: $vgpr10_vgpr11
                                        ; implicit-def: $vgpr0_vgpr1
                                        ; implicit-def: $vgpr8_vgpr9
                                        ; implicit-def: $vgpr12_vgpr13
.LBB66_13:
	v_mov_b64_e32 v[10:11], 0
	v_mov_b64_e32 v[0:1], 0
	;; [unrolled: 1-line block ×4, first 2 shown]
	s_and_saveexec_b64 s[4:5], s[2:3]
	s_cbranch_execz .LBB66_17
; %bb.14:
	v_mad_u64_u32 v[16:17], s[2:3], v14, 28, 27
	v_mov_b64_e32 v[10:11], 0
	s_mov_b64 s[2:3], 0
	v_mov_b32_e32 v19, 0
	v_mov_b64_e32 v[0:1], 0
	v_mov_b64_e32 v[8:9], 0
	;; [unrolled: 1-line block ×3, first 2 shown]
.LBB66_15:                              ; =>This Inner Loop Header: Depth=1
	v_ashrrev_i32_e32 v15, 31, v14
	v_subrev_u32_e32 v18, 27, v16
	v_subrev_u32_e32 v22, 20, v16
	v_add_u32_e32 v26, -13, v16
	v_add_u32_e32 v28, -6, v16
	v_mov_b32_e32 v23, v19
	v_mov_b32_e32 v27, v19
	;; [unrolled: 1-line block ×3, first 2 shown]
	v_lshl_add_u64 v[30:31], v[14:15], 2, s[6:7]
	v_lshl_add_u64 v[32:33], v[18:19], 3, s[8:9]
	;; [unrolled: 1-line block ×5, first 2 shown]
	global_load_dword v15, v[30:31], off
	global_load_dwordx4 v[26:29], v[32:33], off
	global_load_dwordx2 v[38:39], v[22:23], off
	global_load_dwordx2 v[40:41], v[34:35], off
	;; [unrolled: 1-line block ×3, first 2 shown]
	v_mov_b32_e32 v21, v19
	v_mov_b32_e32 v17, v19
	v_add_u32_e32 v14, 64, v14
	v_cmp_ge_i32_e32 vcc, v14, v24
	s_or_b64 s[2:3], vcc, s[2:3]
	s_waitcnt vmcnt(4)
	v_subrev_u32_e32 v15, s12, v15
	v_mul_lo_u32 v20, v15, 7
	v_lshl_add_u64 v[22:23], v[20:21], 3, s[10:11]
	global_load_dwordx2 v[22:23], v[22:23], off
	v_add_u32_e32 v18, 1, v20
	v_lshl_add_u64 v[30:31], v[18:19], 3, s[10:11]
	v_subrev_u32_e32 v18, 19, v16
	global_load_dwordx2 v[30:31], v[30:31], off
	v_lshl_add_u64 v[34:35], v[18:19], 3, s[8:9]
	v_add_u32_e32 v18, -12, v16
	global_load_dwordx2 v[34:35], v[34:35], off
	v_lshl_add_u64 v[36:37], v[18:19], 3, s[8:9]
	v_add_u32_e32 v18, -5, v16
	global_load_dwordx2 v[36:37], v[36:37], off
	v_lshl_add_u64 v[44:45], v[18:19], 3, s[8:9]
	global_load_dwordx2 v[44:45], v[44:45], off
	v_add_u32_e32 v18, 2, v20
	v_lshl_add_u64 v[46:47], v[18:19], 3, s[10:11]
	v_subrev_u32_e32 v18, 18, v16
	v_lshl_add_u64 v[48:49], v[18:19], 3, s[8:9]
	v_add_u32_e32 v18, -11, v16
	v_lshl_add_u64 v[50:51], v[18:19], 3, s[8:9]
	v_add_u32_e32 v18, -4, v16
	v_lshl_add_u64 v[52:53], v[18:19], 3, s[8:9]
	v_add_u32_e32 v18, 3, v20
	v_lshl_add_u64 v[54:55], v[18:19], 3, s[10:11]
	v_subrev_u32_e32 v18, 17, v16
	v_lshl_add_u64 v[56:57], v[18:19], 3, s[8:9]
	v_add_u32_e32 v18, -10, v16
	v_lshl_add_u64 v[58:59], v[18:19], 3, s[8:9]
	v_add_u32_e32 v18, -3, v16
	s_waitcnt vmcnt(4)
	v_fmac_f64_e32 v[12:13], v[38:39], v[22:23]
	v_lshl_add_u64 v[38:39], v[18:19], 3, s[8:9]
	v_subrev_u32_e32 v18, 23, v16
	v_fmac_f64_e32 v[8:9], v[40:41], v[22:23]
	v_lshl_add_u64 v[40:41], v[18:19], 3, s[8:9]
	v_add_u32_e32 v18, 4, v20
	v_fmac_f64_e32 v[0:1], v[42:43], v[22:23]
	v_lshl_add_u64 v[42:43], v[18:19], 3, s[10:11]
	v_add_u32_e32 v18, -16, v16
	v_fmac_f64_e32 v[10:11], v[26:27], v[22:23]
	v_lshl_add_u64 v[26:27], v[18:19], 3, s[8:9]
	v_add_u32_e32 v18, -9, v16
	s_waitcnt vmcnt(3)
	v_fmac_f64_e32 v[10:11], v[28:29], v[30:31]
	v_lshl_add_u64 v[28:29], v[18:19], 3, s[8:9]
	v_add_u32_e32 v18, -2, v16
	v_lshl_add_u64 v[60:61], v[18:19], 3, s[8:9]
	v_subrev_u32_e32 v18, 22, v16
	s_waitcnt vmcnt(2)
	v_fmac_f64_e32 v[12:13], v[34:35], v[30:31]
	v_lshl_add_u64 v[34:35], v[18:19], 3, s[8:9]
	v_add_u32_e32 v18, 5, v20
	s_waitcnt vmcnt(1)
	v_fmac_f64_e32 v[8:9], v[36:37], v[30:31]
	v_lshl_add_u64 v[36:37], v[18:19], 3, s[10:11]
	v_add_u32_e32 v18, -15, v16
	s_waitcnt vmcnt(0)
	v_fmac_f64_e32 v[0:1], v[44:45], v[30:31]
	v_lshl_add_u64 v[30:31], v[18:19], 3, s[8:9]
	v_add_u32_e32 v18, -8, v16
	v_lshl_add_u64 v[44:45], v[18:19], 3, s[8:9]
	v_add_u32_e32 v18, -1, v16
	v_lshl_add_u64 v[62:63], v[18:19], 3, s[8:9]
	v_subrev_u32_e32 v18, 21, v16
	v_lshl_add_u64 v[64:65], v[18:19], 3, s[8:9]
	v_add_u32_e32 v18, 6, v20
	global_load_dwordx2 v[66:67], v[46:47], off
	global_load_dwordx2 v[20:21], v[48:49], off
	v_lshl_add_u64 v[46:47], v[16:17], 3, s[8:9]
	s_waitcnt vmcnt(0)
	v_fmac_f64_e32 v[12:13], v[20:21], v[66:67]
	global_load_dwordx2 v[20:21], v[50:51], off
	s_waitcnt vmcnt(0)
	v_fmac_f64_e32 v[8:9], v[20:21], v[66:67]
	global_load_dwordx2 v[20:21], v[52:53], off
	s_waitcnt vmcnt(0)
	v_fmac_f64_e32 v[0:1], v[20:21], v[66:67]
	global_load_dwordx4 v[20:23], v[32:33], off offset:16
	global_load_dwordx2 v[48:49], v[46:47], off
	global_load_dwordx2 v[50:51], v[54:55], off
	global_load_dwordx2 v[52:53], v[56:57], off
	global_load_dwordx2 v[68:69], v[58:59], off
	global_load_dwordx2 v[70:71], v[38:39], off
	global_load_dwordx2 v[72:73], v[40:41], off
	global_load_dwordx2 v[74:75], v[42:43], off
	global_load_dwordx2 v[76:77], v[26:27], off
	global_load_dwordx2 v[78:79], v[28:29], off
	global_load_dwordx2 v[80:81], v[60:61], off
	global_load_dwordx2 v[82:83], v[34:35], off
	global_load_dwordx2 v[84:85], v[36:37], off
	global_load_dwordx2 v[86:87], v[30:31], off
	global_load_dwordx2 v[88:89], v[44:45], off
                                        ; kill: killed $vgpr30_vgpr31
                                        ; kill: killed $vgpr32_vgpr33
                                        ; kill: killed $vgpr58_vgpr59
                                        ; kill: killed $vgpr28_vgpr29
                                        ; kill: killed $vgpr44_vgpr45
                                        ; kill: killed $vgpr42_vgpr43
                                        ; kill: killed $vgpr36_vgpr37
                                        ; kill: killed $vgpr40_vgpr41
                                        ; kill: killed $vgpr34_vgpr35
                                        ; kill: killed $vgpr46_vgpr47
                                        ; kill: killed $vgpr38_vgpr39
                                        ; kill: killed $vgpr60_vgpr61
                                        ; kill: killed $vgpr56_vgpr57
                                        ; kill: killed $vgpr26_vgpr27
                                        ; kill: killed $vgpr54_vgpr55
	global_load_dwordx2 v[26:27], v[62:63], off
	global_load_dwordx2 v[28:29], v[64:65], off
	s_waitcnt vmcnt(16)
	v_fmac_f64_e32 v[10:11], v[20:21], v[66:67]
	v_lshl_add_u64 v[20:21], v[18:19], 3, s[10:11]
	v_add_u32_e32 v18, -14, v16
	s_waitcnt vmcnt(14)
	v_fmac_f64_e32 v[10:11], v[22:23], v[50:51]
	v_lshl_add_u64 v[22:23], v[18:19], 3, s[8:9]
	v_add_u32_e32 v18, -7, v16
	global_load_dwordx2 v[20:21], v[20:21], off
	v_lshl_add_u64 v[30:31], v[18:19], 3, s[8:9]
	global_load_dwordx2 v[32:33], v[22:23], off
	global_load_dwordx2 v[34:35], v[30:31], off
	s_waitcnt vmcnt(16)
	v_fmac_f64_e32 v[12:13], v[52:53], v[50:51]
	s_waitcnt vmcnt(15)
	v_fmac_f64_e32 v[8:9], v[68:69], v[50:51]
	;; [unrolled: 2-line block ×10, first 2 shown]
	v_add_u32_e32 v16, 0x700, v16
	s_waitcnt vmcnt(4)
	v_fmac_f64_e32 v[0:1], v[26:27], v[84:85]
	s_waitcnt vmcnt(2)
	v_fmac_f64_e32 v[10:11], v[28:29], v[20:21]
	v_fmac_f64_e32 v[0:1], v[48:49], v[20:21]
	s_waitcnt vmcnt(1)
	v_fmac_f64_e32 v[12:13], v[32:33], v[20:21]
	s_waitcnt vmcnt(0)
	v_fmac_f64_e32 v[8:9], v[34:35], v[20:21]
	s_andn2_b64 exec, exec, s[2:3]
	s_cbranch_execnz .LBB66_15
; %bb.16:
	s_or_b64 exec, exec, s[2:3]
.LBB66_17:
	s_or_b64 exec, exec, s[4:5]
.LBB66_18:
	v_mov_b32_dpp v14, v10 row_shr:1 row_mask:0xf bank_mask:0xf
	v_mov_b32_dpp v15, v11 row_shr:1 row_mask:0xf bank_mask:0xf
	v_mov_b32_dpp v16, v12 row_shr:1 row_mask:0xf bank_mask:0xf
	v_mov_b32_dpp v17, v13 row_shr:1 row_mask:0xf bank_mask:0xf
	v_mov_b32_dpp v18, v8 row_shr:1 row_mask:0xf bank_mask:0xf
	v_mov_b32_dpp v19, v9 row_shr:1 row_mask:0xf bank_mask:0xf
	v_mov_b32_dpp v20, v0 row_shr:1 row_mask:0xf bank_mask:0xf
	v_mov_b32_dpp v21, v1 row_shr:1 row_mask:0xf bank_mask:0xf
	v_add_f64 v[10:11], v[10:11], v[14:15]
	v_add_f64 v[12:13], v[12:13], v[16:17]
	v_add_f64 v[8:9], v[8:9], v[18:19]
	v_add_f64 v[0:1], v[0:1], v[20:21]
	v_mov_b32_dpp v14, v10 row_shr:2 row_mask:0xf bank_mask:0xf
	v_mov_b32_dpp v15, v11 row_shr:2 row_mask:0xf bank_mask:0xf
	v_mov_b32_dpp v16, v12 row_shr:2 row_mask:0xf bank_mask:0xf
	v_mov_b32_dpp v17, v13 row_shr:2 row_mask:0xf bank_mask:0xf
	v_mov_b32_dpp v18, v8 row_shr:2 row_mask:0xf bank_mask:0xf
	v_mov_b32_dpp v19, v9 row_shr:2 row_mask:0xf bank_mask:0xf
	v_mov_b32_dpp v20, v0 row_shr:2 row_mask:0xf bank_mask:0xf
	v_mov_b32_dpp v21, v1 row_shr:2 row_mask:0xf bank_mask:0xf
	v_add_f64 v[10:11], v[10:11], v[14:15]
	v_add_f64 v[12:13], v[12:13], v[16:17]
	v_add_f64 v[8:9], v[8:9], v[18:19]
	v_add_f64 v[0:1], v[0:1], v[20:21]
	v_mov_b32_dpp v14, v10 row_shr:4 row_mask:0xf bank_mask:0xe
	v_mov_b32_dpp v15, v11 row_shr:4 row_mask:0xf bank_mask:0xe
	v_mov_b32_dpp v16, v12 row_shr:4 row_mask:0xf bank_mask:0xe
	v_mov_b32_dpp v17, v13 row_shr:4 row_mask:0xf bank_mask:0xe
	v_mov_b32_dpp v18, v8 row_shr:4 row_mask:0xf bank_mask:0xe
	v_mov_b32_dpp v19, v9 row_shr:4 row_mask:0xf bank_mask:0xe
	v_mov_b32_dpp v20, v0 row_shr:4 row_mask:0xf bank_mask:0xe
	v_mov_b32_dpp v21, v1 row_shr:4 row_mask:0xf bank_mask:0xe
	v_add_f64 v[10:11], v[10:11], v[14:15]
	v_add_f64 v[12:13], v[12:13], v[16:17]
	v_add_f64 v[8:9], v[8:9], v[18:19]
	v_add_f64 v[0:1], v[0:1], v[20:21]
	v_mov_b32_dpp v14, v10 row_shr:8 row_mask:0xf bank_mask:0xc
	v_mov_b32_dpp v15, v11 row_shr:8 row_mask:0xf bank_mask:0xc
	v_mov_b32_dpp v16, v12 row_shr:8 row_mask:0xf bank_mask:0xc
	v_mov_b32_dpp v17, v13 row_shr:8 row_mask:0xf bank_mask:0xc
	v_mov_b32_dpp v18, v8 row_shr:8 row_mask:0xf bank_mask:0xc
	v_mov_b32_dpp v19, v9 row_shr:8 row_mask:0xf bank_mask:0xc
	v_mov_b32_dpp v20, v0 row_shr:8 row_mask:0xf bank_mask:0xc
	v_mov_b32_dpp v21, v1 row_shr:8 row_mask:0xf bank_mask:0xc
	v_add_f64 v[10:11], v[10:11], v[14:15]
	v_add_f64 v[12:13], v[12:13], v[16:17]
	v_add_f64 v[8:9], v[8:9], v[18:19]
	v_add_f64 v[0:1], v[0:1], v[20:21]
	v_mov_b32_dpp v14, v10 row_bcast:15 row_mask:0xa bank_mask:0xf
	v_mov_b32_dpp v15, v11 row_bcast:15 row_mask:0xa bank_mask:0xf
	;; [unrolled: 1-line block ×8, first 2 shown]
	v_add_f64 v[10:11], v[10:11], v[14:15]
	v_add_f64 v[12:13], v[12:13], v[16:17]
	;; [unrolled: 1-line block ×4, first 2 shown]
	v_mov_b32_dpp v14, v10 row_bcast:31 row_mask:0xc bank_mask:0xf
	v_mov_b32_dpp v15, v11 row_bcast:31 row_mask:0xc bank_mask:0xf
	;; [unrolled: 1-line block ×8, first 2 shown]
	v_cmp_eq_u32_e32 vcc, 63, v7
	s_and_b64 exec, exec, vcc
	s_cbranch_execz .LBB66_23
; %bb.19:
	s_load_dwordx2 s[0:1], s[0:1], 0x38
	v_add_f64 v[14:15], v[10:11], v[14:15]
	v_add_f64 v[10:11], v[12:13], v[16:17]
	;; [unrolled: 1-line block ×4, first 2 shown]
	v_cmp_eq_f64_e32 vcc, 0, v[4:5]
	s_and_saveexec_b64 s[2:3], vcc
	s_xor_b64 s[2:3], exec, s[2:3]
	s_cbranch_execz .LBB66_21
; %bb.20:
	v_lshlrev_b32_e32 v6, 2, v6
	v_ashrrev_i32_e32 v7, 31, v6
	v_mul_f64 v[4:5], v[2:3], v[14:15]
	s_waitcnt lgkmcnt(0)
	v_lshl_add_u64 v[12:13], v[6:7], 3, s[0:1]
	v_mul_f64 v[6:7], v[2:3], v[10:11]
	v_mul_f64 v[0:1], v[2:3], v[0:1]
	;; [unrolled: 1-line block ×3, first 2 shown]
	global_store_dwordx4 v[12:13], v[4:7], off
	global_store_dwordx4 v[12:13], v[0:3], off offset:16
                                        ; implicit-def: $vgpr6
                                        ; implicit-def: $vgpr2_vgpr3
                                        ; implicit-def: $vgpr14_vgpr15
                                        ; implicit-def: $vgpr4_vgpr5
                                        ; implicit-def: $vgpr10_vgpr11
                                        ; implicit-def: $vgpr0_vgpr1
                                        ; implicit-def: $vgpr8_vgpr9
.LBB66_21:
	s_andn2_saveexec_b64 s[2:3], s[2:3]
	s_cbranch_execz .LBB66_23
; %bb.22:
	v_lshlrev_b32_e32 v6, 2, v6
	v_ashrrev_i32_e32 v7, 31, v6
	s_waitcnt lgkmcnt(0)
	v_lshl_add_u64 v[6:7], v[6:7], 3, s[0:1]
	global_load_dwordx4 v[16:19], v[6:7], off
	global_load_dwordx4 v[20:23], v[6:7], off offset:16
	v_mul_f64 v[12:13], v[2:3], v[14:15]
	v_mul_f64 v[14:15], v[2:3], v[10:11]
	;; [unrolled: 1-line block ×4, first 2 shown]
	s_waitcnt vmcnt(1)
	v_fmac_f64_e32 v[12:13], v[4:5], v[16:17]
	v_fmac_f64_e32 v[14:15], v[4:5], v[18:19]
	s_waitcnt vmcnt(0)
	v_fmac_f64_e32 v[0:1], v[4:5], v[20:21]
	v_fmac_f64_e32 v[2:3], v[4:5], v[22:23]
	global_store_dwordx4 v[6:7], v[12:15], off
	global_store_dwordx4 v[6:7], v[0:3], off offset:16
.LBB66_23:
	s_endpgm
	.section	.rodata,"a",@progbits
	.p2align	6, 0x0
	.amdhsa_kernel _ZN9rocsparseL19gebsrmvn_4xn_kernelILj128ELj7ELj64EdEEvi20rocsparse_direction_NS_24const_host_device_scalarIT2_EEPKiS6_PKS3_S8_S4_PS3_21rocsparse_index_base_b
		.amdhsa_group_segment_fixed_size 0
		.amdhsa_private_segment_fixed_size 0
		.amdhsa_kernarg_size 72
		.amdhsa_user_sgpr_count 2
		.amdhsa_user_sgpr_dispatch_ptr 0
		.amdhsa_user_sgpr_queue_ptr 0
		.amdhsa_user_sgpr_kernarg_segment_ptr 1
		.amdhsa_user_sgpr_dispatch_id 0
		.amdhsa_user_sgpr_kernarg_preload_length 0
		.amdhsa_user_sgpr_kernarg_preload_offset 0
		.amdhsa_user_sgpr_private_segment_size 0
		.amdhsa_uses_dynamic_stack 0
		.amdhsa_enable_private_segment 0
		.amdhsa_system_sgpr_workgroup_id_x 1
		.amdhsa_system_sgpr_workgroup_id_y 0
		.amdhsa_system_sgpr_workgroup_id_z 0
		.amdhsa_system_sgpr_workgroup_info 0
		.amdhsa_system_vgpr_workitem_id 0
		.amdhsa_next_free_vgpr 90
		.amdhsa_next_free_sgpr 16
		.amdhsa_accum_offset 92
		.amdhsa_reserve_vcc 1
		.amdhsa_float_round_mode_32 0
		.amdhsa_float_round_mode_16_64 0
		.amdhsa_float_denorm_mode_32 3
		.amdhsa_float_denorm_mode_16_64 3
		.amdhsa_dx10_clamp 1
		.amdhsa_ieee_mode 1
		.amdhsa_fp16_overflow 0
		.amdhsa_tg_split 0
		.amdhsa_exception_fp_ieee_invalid_op 0
		.amdhsa_exception_fp_denorm_src 0
		.amdhsa_exception_fp_ieee_div_zero 0
		.amdhsa_exception_fp_ieee_overflow 0
		.amdhsa_exception_fp_ieee_underflow 0
		.amdhsa_exception_fp_ieee_inexact 0
		.amdhsa_exception_int_div_zero 0
	.end_amdhsa_kernel
	.section	.text._ZN9rocsparseL19gebsrmvn_4xn_kernelILj128ELj7ELj64EdEEvi20rocsparse_direction_NS_24const_host_device_scalarIT2_EEPKiS6_PKS3_S8_S4_PS3_21rocsparse_index_base_b,"axG",@progbits,_ZN9rocsparseL19gebsrmvn_4xn_kernelILj128ELj7ELj64EdEEvi20rocsparse_direction_NS_24const_host_device_scalarIT2_EEPKiS6_PKS3_S8_S4_PS3_21rocsparse_index_base_b,comdat
.Lfunc_end66:
	.size	_ZN9rocsparseL19gebsrmvn_4xn_kernelILj128ELj7ELj64EdEEvi20rocsparse_direction_NS_24const_host_device_scalarIT2_EEPKiS6_PKS3_S8_S4_PS3_21rocsparse_index_base_b, .Lfunc_end66-_ZN9rocsparseL19gebsrmvn_4xn_kernelILj128ELj7ELj64EdEEvi20rocsparse_direction_NS_24const_host_device_scalarIT2_EEPKiS6_PKS3_S8_S4_PS3_21rocsparse_index_base_b
                                        ; -- End function
	.set _ZN9rocsparseL19gebsrmvn_4xn_kernelILj128ELj7ELj64EdEEvi20rocsparse_direction_NS_24const_host_device_scalarIT2_EEPKiS6_PKS3_S8_S4_PS3_21rocsparse_index_base_b.num_vgpr, 90
	.set _ZN9rocsparseL19gebsrmvn_4xn_kernelILj128ELj7ELj64EdEEvi20rocsparse_direction_NS_24const_host_device_scalarIT2_EEPKiS6_PKS3_S8_S4_PS3_21rocsparse_index_base_b.num_agpr, 0
	.set _ZN9rocsparseL19gebsrmvn_4xn_kernelILj128ELj7ELj64EdEEvi20rocsparse_direction_NS_24const_host_device_scalarIT2_EEPKiS6_PKS3_S8_S4_PS3_21rocsparse_index_base_b.numbered_sgpr, 16
	.set _ZN9rocsparseL19gebsrmvn_4xn_kernelILj128ELj7ELj64EdEEvi20rocsparse_direction_NS_24const_host_device_scalarIT2_EEPKiS6_PKS3_S8_S4_PS3_21rocsparse_index_base_b.num_named_barrier, 0
	.set _ZN9rocsparseL19gebsrmvn_4xn_kernelILj128ELj7ELj64EdEEvi20rocsparse_direction_NS_24const_host_device_scalarIT2_EEPKiS6_PKS3_S8_S4_PS3_21rocsparse_index_base_b.private_seg_size, 0
	.set _ZN9rocsparseL19gebsrmvn_4xn_kernelILj128ELj7ELj64EdEEvi20rocsparse_direction_NS_24const_host_device_scalarIT2_EEPKiS6_PKS3_S8_S4_PS3_21rocsparse_index_base_b.uses_vcc, 1
	.set _ZN9rocsparseL19gebsrmvn_4xn_kernelILj128ELj7ELj64EdEEvi20rocsparse_direction_NS_24const_host_device_scalarIT2_EEPKiS6_PKS3_S8_S4_PS3_21rocsparse_index_base_b.uses_flat_scratch, 0
	.set _ZN9rocsparseL19gebsrmvn_4xn_kernelILj128ELj7ELj64EdEEvi20rocsparse_direction_NS_24const_host_device_scalarIT2_EEPKiS6_PKS3_S8_S4_PS3_21rocsparse_index_base_b.has_dyn_sized_stack, 0
	.set _ZN9rocsparseL19gebsrmvn_4xn_kernelILj128ELj7ELj64EdEEvi20rocsparse_direction_NS_24const_host_device_scalarIT2_EEPKiS6_PKS3_S8_S4_PS3_21rocsparse_index_base_b.has_recursion, 0
	.set _ZN9rocsparseL19gebsrmvn_4xn_kernelILj128ELj7ELj64EdEEvi20rocsparse_direction_NS_24const_host_device_scalarIT2_EEPKiS6_PKS3_S8_S4_PS3_21rocsparse_index_base_b.has_indirect_call, 0
	.section	.AMDGPU.csdata,"",@progbits
; Kernel info:
; codeLenInByte = 2632
; TotalNumSgprs: 22
; NumVgprs: 90
; NumAgprs: 0
; TotalNumVgprs: 90
; ScratchSize: 0
; MemoryBound: 1
; FloatMode: 240
; IeeeMode: 1
; LDSByteSize: 0 bytes/workgroup (compile time only)
; SGPRBlocks: 2
; VGPRBlocks: 11
; NumSGPRsForWavesPerEU: 22
; NumVGPRsForWavesPerEU: 90
; AccumOffset: 92
; Occupancy: 5
; WaveLimiterHint : 1
; COMPUTE_PGM_RSRC2:SCRATCH_EN: 0
; COMPUTE_PGM_RSRC2:USER_SGPR: 2
; COMPUTE_PGM_RSRC2:TRAP_HANDLER: 0
; COMPUTE_PGM_RSRC2:TGID_X_EN: 1
; COMPUTE_PGM_RSRC2:TGID_Y_EN: 0
; COMPUTE_PGM_RSRC2:TGID_Z_EN: 0
; COMPUTE_PGM_RSRC2:TIDIG_COMP_CNT: 0
; COMPUTE_PGM_RSRC3_GFX90A:ACCUM_OFFSET: 22
; COMPUTE_PGM_RSRC3_GFX90A:TG_SPLIT: 0
	.section	.text._ZN9rocsparseL19gebsrmvn_4xn_kernelILj128ELj8ELj4EdEEvi20rocsparse_direction_NS_24const_host_device_scalarIT2_EEPKiS6_PKS3_S8_S4_PS3_21rocsparse_index_base_b,"axG",@progbits,_ZN9rocsparseL19gebsrmvn_4xn_kernelILj128ELj8ELj4EdEEvi20rocsparse_direction_NS_24const_host_device_scalarIT2_EEPKiS6_PKS3_S8_S4_PS3_21rocsparse_index_base_b,comdat
	.globl	_ZN9rocsparseL19gebsrmvn_4xn_kernelILj128ELj8ELj4EdEEvi20rocsparse_direction_NS_24const_host_device_scalarIT2_EEPKiS6_PKS3_S8_S4_PS3_21rocsparse_index_base_b ; -- Begin function _ZN9rocsparseL19gebsrmvn_4xn_kernelILj128ELj8ELj4EdEEvi20rocsparse_direction_NS_24const_host_device_scalarIT2_EEPKiS6_PKS3_S8_S4_PS3_21rocsparse_index_base_b
	.p2align	8
	.type	_ZN9rocsparseL19gebsrmvn_4xn_kernelILj128ELj8ELj4EdEEvi20rocsparse_direction_NS_24const_host_device_scalarIT2_EEPKiS6_PKS3_S8_S4_PS3_21rocsparse_index_base_b,@function
_ZN9rocsparseL19gebsrmvn_4xn_kernelILj128ELj8ELj4EdEEvi20rocsparse_direction_NS_24const_host_device_scalarIT2_EEPKiS6_PKS3_S8_S4_PS3_21rocsparse_index_base_b: ; @_ZN9rocsparseL19gebsrmvn_4xn_kernelILj128ELj8ELj4EdEEvi20rocsparse_direction_NS_24const_host_device_scalarIT2_EEPKiS6_PKS3_S8_S4_PS3_21rocsparse_index_base_b
; %bb.0:
	s_load_dwordx2 s[12:13], s[0:1], 0x40
	s_load_dwordx2 s[8:9], s[0:1], 0x8
	;; [unrolled: 1-line block ×3, first 2 shown]
	s_waitcnt lgkmcnt(0)
	s_bitcmp1_b32 s13, 0
	s_cselect_b64 s[10:11], -1, 0
	s_xor_b64 s[6:7], s[10:11], -1
	s_and_b64 vcc, exec, s[10:11]
	v_mov_b64_e32 v[2:3], s[8:9]
	s_cbranch_vccnz .LBB67_2
; %bb.1:
	v_mov_b64_e32 v[2:3], s[8:9]
	flat_load_dwordx2 v[2:3], v[2:3]
.LBB67_2:
	s_andn2_b64 vcc, exec, s[6:7]
	v_mov_b64_e32 v[4:5], s[4:5]
	s_cbranch_vccnz .LBB67_4
; %bb.3:
	v_mov_b64_e32 v[4:5], s[4:5]
	flat_load_dwordx2 v[4:5], v[4:5]
.LBB67_4:
	s_waitcnt vmcnt(0) lgkmcnt(0)
	v_cmp_neq_f64_e32 vcc, 0, v[2:3]
	v_cmp_neq_f64_e64 s[4:5], 1.0, v[4:5]
	s_or_b64 s[4:5], vcc, s[4:5]
	s_and_saveexec_b64 s[6:7], s[4:5]
	s_cbranch_execz .LBB67_23
; %bb.5:
	s_load_dwordx2 s[14:15], s[0:1], 0x0
	v_lshrrev_b32_e32 v1, 2, v0
	v_lshl_or_b32 v6, s2, 5, v1
	s_waitcnt lgkmcnt(0)
	v_cmp_gt_i32_e32 vcc, s14, v6
	s_and_b64 exec, exec, vcc
	s_cbranch_execz .LBB67_23
; %bb.6:
	s_load_dwordx8 s[4:11], s[0:1], 0x10
	v_ashrrev_i32_e32 v7, 31, v6
	s_cmp_lg_u32 s15, 0
	s_waitcnt lgkmcnt(0)
	v_lshl_add_u64 v[8:9], v[6:7], 2, s[4:5]
	global_load_dwordx2 v[8:9], v[8:9], off
	v_and_b32_e32 v7, 3, v0
	s_waitcnt vmcnt(0)
	v_subrev_u32_e32 v0, s12, v8
	v_subrev_u32_e32 v20, s12, v9
	v_add_u32_e32 v12, v0, v7
	v_cmp_lt_i32_e64 s[2:3], v12, v20
	s_cbranch_scc0 .LBB67_12
; %bb.7:
	v_mov_b64_e32 v[8:9], 0
	v_mov_b64_e32 v[0:1], 0
	v_mov_b64_e32 v[10:11], 0
	v_mov_b64_e32 v[14:15], 0
	s_and_saveexec_b64 s[4:5], s[2:3]
	s_cbranch_execz .LBB67_11
; %bb.8:
	v_lshlrev_b32_e32 v16, 5, v12
	v_mov_b64_e32 v[8:9], 0
	s_mov_b64 s[14:15], 0
	v_mov_b32_e32 v17, 0
	v_mov_b32_e32 v18, v12
	v_mov_b64_e32 v[0:1], 0
	v_mov_b64_e32 v[10:11], 0
	;; [unrolled: 1-line block ×3, first 2 shown]
.LBB67_9:                               ; =>This Inner Loop Header: Depth=1
	v_ashrrev_i32_e32 v19, 31, v18
	v_lshl_add_u64 v[82:83], v[16:17], 3, s[8:9]
	v_lshl_add_u64 v[72:73], v[18:19], 2, s[6:7]
	global_load_dwordx4 v[22:25], v[82:83], off offset:48
	global_load_dwordx4 v[26:29], v[82:83], off offset:32
	;; [unrolled: 1-line block ×3, first 2 shown]
	global_load_dwordx4 v[34:37], v[82:83], off
	global_load_dwordx4 v[38:41], v[82:83], off offset:112
	global_load_dwordx4 v[42:45], v[82:83], off offset:96
	;; [unrolled: 1-line block ×8, first 2 shown]
	global_load_dword v13, v[72:73], off
	v_mov_b32_e32 v71, v17
	v_add_u32_e32 v18, 4, v18
	v_cmp_ge_i32_e32 vcc, v18, v20
	v_add_u32_e32 v16, 0x80, v16
	s_or_b64 s[14:15], vcc, s[14:15]
	s_waitcnt vmcnt(0)
	v_subrev_u32_e32 v13, s12, v13
	v_lshlrev_b32_e32 v70, 3, v13
	v_lshl_add_u64 v[84:85], v[70:71], 3, s[10:11]
	global_load_dwordx4 v[70:73], v[84:85], off
	global_load_dwordx4 v[74:77], v[84:85], off offset:16
	s_waitcnt vmcnt(1)
	v_fmac_f64_e32 v[8:9], v[34:35], v[70:71]
	v_fmac_f64_e32 v[14:15], v[36:37], v[70:71]
	;; [unrolled: 1-line block ×4, first 2 shown]
	global_load_dwordx4 v[34:37], v[82:83], off offset:224
	global_load_dwordx4 v[30:33], v[82:83], off offset:208
	v_fmac_f64_e32 v[8:9], v[26:27], v[72:73]
	v_fmac_f64_e32 v[14:15], v[28:29], v[72:73]
	global_load_dwordx4 v[26:29], v[82:83], off offset:192
	v_fmac_f64_e32 v[10:11], v[22:23], v[72:73]
	v_fmac_f64_e32 v[0:1], v[24:25], v[72:73]
	global_load_dwordx4 v[22:25], v[84:85], off offset:32
	global_load_dwordx4 v[70:73], v[84:85], off offset:48
	global_load_dwordx4 v[78:81], v[82:83], off offset:240
	s_waitcnt vmcnt(6)
	v_fmac_f64_e32 v[8:9], v[50:51], v[74:75]
	v_fmac_f64_e32 v[14:15], v[52:53], v[74:75]
	;; [unrolled: 1-line block ×8, first 2 shown]
	s_waitcnt vmcnt(2)
	v_fmac_f64_e32 v[8:9], v[66:67], v[22:23]
	v_fmac_f64_e32 v[14:15], v[68:69], v[22:23]
	v_fmac_f64_e32 v[10:11], v[62:63], v[22:23]
	v_fmac_f64_e32 v[0:1], v[64:65], v[22:23]
	v_fmac_f64_e32 v[8:9], v[58:59], v[24:25]
	v_fmac_f64_e32 v[14:15], v[60:61], v[24:25]
	v_fmac_f64_e32 v[10:11], v[54:55], v[24:25]
	v_fmac_f64_e32 v[0:1], v[56:57], v[24:25]
	s_waitcnt vmcnt(1)
	v_fmac_f64_e32 v[8:9], v[26:27], v[70:71]
	v_fmac_f64_e32 v[14:15], v[28:29], v[70:71]
	;; [unrolled: 1-line block ×6, first 2 shown]
	s_waitcnt vmcnt(0)
	v_fmac_f64_e32 v[10:11], v[78:79], v[72:73]
	v_fmac_f64_e32 v[0:1], v[80:81], v[72:73]
	s_andn2_b64 exec, exec, s[14:15]
	s_cbranch_execnz .LBB67_9
; %bb.10:
	s_or_b64 exec, exec, s[14:15]
.LBB67_11:
	s_or_b64 exec, exec, s[4:5]
	s_cbranch_execz .LBB67_13
	s_branch .LBB67_18
.LBB67_12:
                                        ; implicit-def: $vgpr8_vgpr9
                                        ; implicit-def: $vgpr0_vgpr1
                                        ; implicit-def: $vgpr10_vgpr11
                                        ; implicit-def: $vgpr14_vgpr15
.LBB67_13:
	v_mov_b64_e32 v[8:9], 0
	v_mov_b64_e32 v[0:1], 0
	;; [unrolled: 1-line block ×4, first 2 shown]
	s_and_saveexec_b64 s[4:5], s[2:3]
	s_cbranch_execz .LBB67_17
; %bb.14:
	v_lshlrev_b32_e32 v16, 5, v12
	v_mov_b64_e32 v[8:9], 0
	s_mov_b64 s[2:3], 0
	v_mov_b32_e32 v17, 0
	v_mov_b64_e32 v[0:1], 0
	v_mov_b64_e32 v[10:11], 0
	;; [unrolled: 1-line block ×3, first 2 shown]
.LBB67_15:                              ; =>This Inner Loop Header: Depth=1
	v_ashrrev_i32_e32 v13, 31, v12
	v_lshl_add_u64 v[18:19], v[16:17], 3, s[8:9]
	v_lshl_add_u64 v[64:65], v[12:13], 2, s[6:7]
	global_load_dwordx4 v[22:25], v[18:19], off offset:16
	global_load_dwordx4 v[26:29], v[18:19], off
	global_load_dwordx4 v[30:33], v[18:19], off offset:80
	global_load_dwordx4 v[34:37], v[18:19], off offset:64
	;; [unrolled: 1-line block ×8, first 2 shown]
	global_load_dword v13, v[64:65], off
	v_mov_b32_e32 v63, v17
	v_add_u32_e32 v12, 4, v12
	v_cmp_ge_i32_e32 vcc, v12, v20
	v_add_u32_e32 v16, 0x80, v16
	s_or_b64 s[2:3], vcc, s[2:3]
	s_waitcnt vmcnt(0)
	v_subrev_u32_e32 v13, s12, v13
	v_lshlrev_b32_e32 v62, 3, v13
	v_lshl_add_u64 v[74:75], v[62:63], 3, s[10:11]
	global_load_dwordx4 v[62:65], v[74:75], off
	global_load_dwordx4 v[66:69], v[74:75], off offset:16
	s_waitcnt vmcnt(1)
	v_fmac_f64_e32 v[8:9], v[26:27], v[62:63]
	v_fmac_f64_e32 v[8:9], v[28:29], v[64:65]
	;; [unrolled: 1-line block ×5, first 2 shown]
	s_waitcnt vmcnt(0)
	v_fmac_f64_e32 v[8:9], v[22:23], v[66:67]
	global_load_dwordx4 v[26:29], v[18:19], off offset:112
	v_fmac_f64_e32 v[14:15], v[36:37], v[64:65]
	global_load_dwordx4 v[34:37], v[18:19], off offset:96
	v_fmac_f64_e32 v[10:11], v[44:45], v[64:65]
	global_load_dwordx4 v[42:45], v[18:19], off offset:176
	v_fmac_f64_e32 v[0:1], v[52:53], v[64:65]
	global_load_dwordx4 v[50:53], v[18:19], off offset:160
	global_load_dwordx4 v[62:65], v[18:19], off offset:240
	global_load_dwordx4 v[70:73], v[18:19], off offset:224
	v_fmac_f64_e32 v[8:9], v[24:25], v[68:69]
	global_load_dwordx4 v[22:25], v[74:75], off offset:32
	v_fmac_f64_e32 v[14:15], v[30:31], v[66:67]
	v_fmac_f64_e32 v[14:15], v[32:33], v[68:69]
	global_load_dwordx4 v[30:33], v[74:75], off offset:48
	v_fmac_f64_e32 v[10:11], v[38:39], v[66:67]
	v_fmac_f64_e32 v[0:1], v[46:47], v[66:67]
	;; [unrolled: 1-line block ×4, first 2 shown]
	s_waitcnt vmcnt(1)
	v_fmac_f64_e32 v[8:9], v[58:59], v[22:23]
	v_fmac_f64_e32 v[14:15], v[34:35], v[22:23]
	;; [unrolled: 1-line block ×8, first 2 shown]
	s_waitcnt vmcnt(0)
	v_fmac_f64_e32 v[8:9], v[54:55], v[30:31]
	v_fmac_f64_e32 v[14:15], v[26:27], v[30:31]
	;; [unrolled: 1-line block ×8, first 2 shown]
	s_andn2_b64 exec, exec, s[2:3]
	s_cbranch_execnz .LBB67_15
; %bb.16:
	s_or_b64 exec, exec, s[2:3]
.LBB67_17:
	s_or_b64 exec, exec, s[4:5]
.LBB67_18:
	v_mov_b32_dpp v18, v10 row_shr:1 row_mask:0xf bank_mask:0xf
	v_mov_b32_dpp v19, v11 row_shr:1 row_mask:0xf bank_mask:0xf
	;; [unrolled: 1-line block ×6, first 2 shown]
	v_add_f64 v[18:19], v[10:11], v[18:19]
	v_mov_b32_dpp v10, v0 row_shr:1 row_mask:0xf bank_mask:0xf
	v_mov_b32_dpp v11, v1 row_shr:1 row_mask:0xf bank_mask:0xf
	v_add_f64 v[8:9], v[8:9], v[12:13]
	v_add_f64 v[14:15], v[14:15], v[16:17]
	;; [unrolled: 1-line block ×3, first 2 shown]
	v_mov_b32_dpp v12, v8 row_shr:2 row_mask:0xf bank_mask:0xf
	v_mov_b32_dpp v13, v9 row_shr:2 row_mask:0xf bank_mask:0xf
	;; [unrolled: 1-line block ×8, first 2 shown]
	v_cmp_eq_u32_e32 vcc, 3, v7
	s_and_b64 exec, exec, vcc
	s_cbranch_execz .LBB67_23
; %bb.19:
	s_load_dwordx2 s[0:1], s[0:1], 0x38
	v_add_f64 v[12:13], v[8:9], v[12:13]
	v_add_f64 v[10:11], v[14:15], v[16:17]
	;; [unrolled: 1-line block ×4, first 2 shown]
	v_cmp_eq_f64_e32 vcc, 0, v[4:5]
	s_and_saveexec_b64 s[2:3], vcc
	s_xor_b64 s[2:3], exec, s[2:3]
	s_cbranch_execz .LBB67_21
; %bb.20:
	v_lshlrev_b32_e32 v6, 2, v6
	v_ashrrev_i32_e32 v7, 31, v6
	v_mul_f64 v[4:5], v[2:3], v[12:13]
	s_waitcnt lgkmcnt(0)
	v_lshl_add_u64 v[12:13], v[6:7], 3, s[0:1]
	v_mul_f64 v[6:7], v[2:3], v[10:11]
	v_mul_f64 v[0:1], v[2:3], v[0:1]
	;; [unrolled: 1-line block ×3, first 2 shown]
	global_store_dwordx4 v[12:13], v[4:7], off
	global_store_dwordx4 v[12:13], v[0:3], off offset:16
                                        ; implicit-def: $vgpr6
                                        ; implicit-def: $vgpr2_vgpr3
                                        ; implicit-def: $vgpr12_vgpr13
                                        ; implicit-def: $vgpr4_vgpr5
                                        ; implicit-def: $vgpr10_vgpr11
                                        ; implicit-def: $vgpr0_vgpr1
                                        ; implicit-def: $vgpr8_vgpr9
.LBB67_21:
	s_andn2_saveexec_b64 s[2:3], s[2:3]
	s_cbranch_execz .LBB67_23
; %bb.22:
	v_lshlrev_b32_e32 v6, 2, v6
	v_ashrrev_i32_e32 v7, 31, v6
	s_waitcnt lgkmcnt(0)
	v_lshl_add_u64 v[6:7], v[6:7], 3, s[0:1]
	global_load_dwordx4 v[14:17], v[6:7], off
	global_load_dwordx4 v[18:21], v[6:7], off offset:16
	v_mul_f64 v[22:23], v[2:3], v[12:13]
	v_mul_f64 v[24:25], v[2:3], v[10:11]
	;; [unrolled: 1-line block ×4, first 2 shown]
	s_waitcnt vmcnt(1)
	v_fmac_f64_e32 v[22:23], v[4:5], v[14:15]
	v_fmac_f64_e32 v[24:25], v[4:5], v[16:17]
	s_waitcnt vmcnt(0)
	v_fmac_f64_e32 v[0:1], v[4:5], v[18:19]
	v_fmac_f64_e32 v[2:3], v[4:5], v[20:21]
	global_store_dwordx4 v[6:7], v[22:25], off
	global_store_dwordx4 v[6:7], v[0:3], off offset:16
.LBB67_23:
	s_endpgm
	.section	.rodata,"a",@progbits
	.p2align	6, 0x0
	.amdhsa_kernel _ZN9rocsparseL19gebsrmvn_4xn_kernelILj128ELj8ELj4EdEEvi20rocsparse_direction_NS_24const_host_device_scalarIT2_EEPKiS6_PKS3_S8_S4_PS3_21rocsparse_index_base_b
		.amdhsa_group_segment_fixed_size 0
		.amdhsa_private_segment_fixed_size 0
		.amdhsa_kernarg_size 72
		.amdhsa_user_sgpr_count 2
		.amdhsa_user_sgpr_dispatch_ptr 0
		.amdhsa_user_sgpr_queue_ptr 0
		.amdhsa_user_sgpr_kernarg_segment_ptr 1
		.amdhsa_user_sgpr_dispatch_id 0
		.amdhsa_user_sgpr_kernarg_preload_length 0
		.amdhsa_user_sgpr_kernarg_preload_offset 0
		.amdhsa_user_sgpr_private_segment_size 0
		.amdhsa_uses_dynamic_stack 0
		.amdhsa_enable_private_segment 0
		.amdhsa_system_sgpr_workgroup_id_x 1
		.amdhsa_system_sgpr_workgroup_id_y 0
		.amdhsa_system_sgpr_workgroup_id_z 0
		.amdhsa_system_sgpr_workgroup_info 0
		.amdhsa_system_vgpr_workitem_id 0
		.amdhsa_next_free_vgpr 86
		.amdhsa_next_free_sgpr 16
		.amdhsa_accum_offset 88
		.amdhsa_reserve_vcc 1
		.amdhsa_float_round_mode_32 0
		.amdhsa_float_round_mode_16_64 0
		.amdhsa_float_denorm_mode_32 3
		.amdhsa_float_denorm_mode_16_64 3
		.amdhsa_dx10_clamp 1
		.amdhsa_ieee_mode 1
		.amdhsa_fp16_overflow 0
		.amdhsa_tg_split 0
		.amdhsa_exception_fp_ieee_invalid_op 0
		.amdhsa_exception_fp_denorm_src 0
		.amdhsa_exception_fp_ieee_div_zero 0
		.amdhsa_exception_fp_ieee_overflow 0
		.amdhsa_exception_fp_ieee_underflow 0
		.amdhsa_exception_fp_ieee_inexact 0
		.amdhsa_exception_int_div_zero 0
	.end_amdhsa_kernel
	.section	.text._ZN9rocsparseL19gebsrmvn_4xn_kernelILj128ELj8ELj4EdEEvi20rocsparse_direction_NS_24const_host_device_scalarIT2_EEPKiS6_PKS3_S8_S4_PS3_21rocsparse_index_base_b,"axG",@progbits,_ZN9rocsparseL19gebsrmvn_4xn_kernelILj128ELj8ELj4EdEEvi20rocsparse_direction_NS_24const_host_device_scalarIT2_EEPKiS6_PKS3_S8_S4_PS3_21rocsparse_index_base_b,comdat
.Lfunc_end67:
	.size	_ZN9rocsparseL19gebsrmvn_4xn_kernelILj128ELj8ELj4EdEEvi20rocsparse_direction_NS_24const_host_device_scalarIT2_EEPKiS6_PKS3_S8_S4_PS3_21rocsparse_index_base_b, .Lfunc_end67-_ZN9rocsparseL19gebsrmvn_4xn_kernelILj128ELj8ELj4EdEEvi20rocsparse_direction_NS_24const_host_device_scalarIT2_EEPKiS6_PKS3_S8_S4_PS3_21rocsparse_index_base_b
                                        ; -- End function
	.set _ZN9rocsparseL19gebsrmvn_4xn_kernelILj128ELj8ELj4EdEEvi20rocsparse_direction_NS_24const_host_device_scalarIT2_EEPKiS6_PKS3_S8_S4_PS3_21rocsparse_index_base_b.num_vgpr, 86
	.set _ZN9rocsparseL19gebsrmvn_4xn_kernelILj128ELj8ELj4EdEEvi20rocsparse_direction_NS_24const_host_device_scalarIT2_EEPKiS6_PKS3_S8_S4_PS3_21rocsparse_index_base_b.num_agpr, 0
	.set _ZN9rocsparseL19gebsrmvn_4xn_kernelILj128ELj8ELj4EdEEvi20rocsparse_direction_NS_24const_host_device_scalarIT2_EEPKiS6_PKS3_S8_S4_PS3_21rocsparse_index_base_b.numbered_sgpr, 16
	.set _ZN9rocsparseL19gebsrmvn_4xn_kernelILj128ELj8ELj4EdEEvi20rocsparse_direction_NS_24const_host_device_scalarIT2_EEPKiS6_PKS3_S8_S4_PS3_21rocsparse_index_base_b.num_named_barrier, 0
	.set _ZN9rocsparseL19gebsrmvn_4xn_kernelILj128ELj8ELj4EdEEvi20rocsparse_direction_NS_24const_host_device_scalarIT2_EEPKiS6_PKS3_S8_S4_PS3_21rocsparse_index_base_b.private_seg_size, 0
	.set _ZN9rocsparseL19gebsrmvn_4xn_kernelILj128ELj8ELj4EdEEvi20rocsparse_direction_NS_24const_host_device_scalarIT2_EEPKiS6_PKS3_S8_S4_PS3_21rocsparse_index_base_b.uses_vcc, 1
	.set _ZN9rocsparseL19gebsrmvn_4xn_kernelILj128ELj8ELj4EdEEvi20rocsparse_direction_NS_24const_host_device_scalarIT2_EEPKiS6_PKS3_S8_S4_PS3_21rocsparse_index_base_b.uses_flat_scratch, 0
	.set _ZN9rocsparseL19gebsrmvn_4xn_kernelILj128ELj8ELj4EdEEvi20rocsparse_direction_NS_24const_host_device_scalarIT2_EEPKiS6_PKS3_S8_S4_PS3_21rocsparse_index_base_b.has_dyn_sized_stack, 0
	.set _ZN9rocsparseL19gebsrmvn_4xn_kernelILj128ELj8ELj4EdEEvi20rocsparse_direction_NS_24const_host_device_scalarIT2_EEPKiS6_PKS3_S8_S4_PS3_21rocsparse_index_base_b.has_recursion, 0
	.set _ZN9rocsparseL19gebsrmvn_4xn_kernelILj128ELj8ELj4EdEEvi20rocsparse_direction_NS_24const_host_device_scalarIT2_EEPKiS6_PKS3_S8_S4_PS3_21rocsparse_index_base_b.has_indirect_call, 0
	.section	.AMDGPU.csdata,"",@progbits
; Kernel info:
; codeLenInByte = 1540
; TotalNumSgprs: 22
; NumVgprs: 86
; NumAgprs: 0
; TotalNumVgprs: 86
; ScratchSize: 0
; MemoryBound: 1
; FloatMode: 240
; IeeeMode: 1
; LDSByteSize: 0 bytes/workgroup (compile time only)
; SGPRBlocks: 2
; VGPRBlocks: 10
; NumSGPRsForWavesPerEU: 22
; NumVGPRsForWavesPerEU: 86
; AccumOffset: 88
; Occupancy: 5
; WaveLimiterHint : 1
; COMPUTE_PGM_RSRC2:SCRATCH_EN: 0
; COMPUTE_PGM_RSRC2:USER_SGPR: 2
; COMPUTE_PGM_RSRC2:TRAP_HANDLER: 0
; COMPUTE_PGM_RSRC2:TGID_X_EN: 1
; COMPUTE_PGM_RSRC2:TGID_Y_EN: 0
; COMPUTE_PGM_RSRC2:TGID_Z_EN: 0
; COMPUTE_PGM_RSRC2:TIDIG_COMP_CNT: 0
; COMPUTE_PGM_RSRC3_GFX90A:ACCUM_OFFSET: 21
; COMPUTE_PGM_RSRC3_GFX90A:TG_SPLIT: 0
	.section	.text._ZN9rocsparseL19gebsrmvn_4xn_kernelILj128ELj8ELj8EdEEvi20rocsparse_direction_NS_24const_host_device_scalarIT2_EEPKiS6_PKS3_S8_S4_PS3_21rocsparse_index_base_b,"axG",@progbits,_ZN9rocsparseL19gebsrmvn_4xn_kernelILj128ELj8ELj8EdEEvi20rocsparse_direction_NS_24const_host_device_scalarIT2_EEPKiS6_PKS3_S8_S4_PS3_21rocsparse_index_base_b,comdat
	.globl	_ZN9rocsparseL19gebsrmvn_4xn_kernelILj128ELj8ELj8EdEEvi20rocsparse_direction_NS_24const_host_device_scalarIT2_EEPKiS6_PKS3_S8_S4_PS3_21rocsparse_index_base_b ; -- Begin function _ZN9rocsparseL19gebsrmvn_4xn_kernelILj128ELj8ELj8EdEEvi20rocsparse_direction_NS_24const_host_device_scalarIT2_EEPKiS6_PKS3_S8_S4_PS3_21rocsparse_index_base_b
	.p2align	8
	.type	_ZN9rocsparseL19gebsrmvn_4xn_kernelILj128ELj8ELj8EdEEvi20rocsparse_direction_NS_24const_host_device_scalarIT2_EEPKiS6_PKS3_S8_S4_PS3_21rocsparse_index_base_b,@function
_ZN9rocsparseL19gebsrmvn_4xn_kernelILj128ELj8ELj8EdEEvi20rocsparse_direction_NS_24const_host_device_scalarIT2_EEPKiS6_PKS3_S8_S4_PS3_21rocsparse_index_base_b: ; @_ZN9rocsparseL19gebsrmvn_4xn_kernelILj128ELj8ELj8EdEEvi20rocsparse_direction_NS_24const_host_device_scalarIT2_EEPKiS6_PKS3_S8_S4_PS3_21rocsparse_index_base_b
; %bb.0:
	s_load_dwordx2 s[12:13], s[0:1], 0x40
	s_load_dwordx2 s[8:9], s[0:1], 0x8
	;; [unrolled: 1-line block ×3, first 2 shown]
	s_waitcnt lgkmcnt(0)
	s_bitcmp1_b32 s13, 0
	s_cselect_b64 s[10:11], -1, 0
	s_xor_b64 s[6:7], s[10:11], -1
	s_and_b64 vcc, exec, s[10:11]
	v_mov_b64_e32 v[2:3], s[8:9]
	s_cbranch_vccnz .LBB68_2
; %bb.1:
	v_mov_b64_e32 v[2:3], s[8:9]
	flat_load_dwordx2 v[2:3], v[2:3]
.LBB68_2:
	s_andn2_b64 vcc, exec, s[6:7]
	v_mov_b64_e32 v[4:5], s[4:5]
	s_cbranch_vccnz .LBB68_4
; %bb.3:
	v_mov_b64_e32 v[4:5], s[4:5]
	flat_load_dwordx2 v[4:5], v[4:5]
.LBB68_4:
	s_waitcnt vmcnt(0) lgkmcnt(0)
	v_cmp_neq_f64_e32 vcc, 0, v[2:3]
	v_cmp_neq_f64_e64 s[4:5], 1.0, v[4:5]
	s_or_b64 s[4:5], vcc, s[4:5]
	s_and_saveexec_b64 s[6:7], s[4:5]
	s_cbranch_execz .LBB68_23
; %bb.5:
	s_load_dwordx2 s[14:15], s[0:1], 0x0
	v_lshrrev_b32_e32 v1, 3, v0
	v_lshl_or_b32 v6, s2, 4, v1
	s_waitcnt lgkmcnt(0)
	v_cmp_gt_i32_e32 vcc, s14, v6
	s_and_b64 exec, exec, vcc
	s_cbranch_execz .LBB68_23
; %bb.6:
	s_load_dwordx8 s[4:11], s[0:1], 0x10
	v_ashrrev_i32_e32 v7, 31, v6
	s_cmp_lg_u32 s15, 0
	s_waitcnt lgkmcnt(0)
	v_lshl_add_u64 v[8:9], v[6:7], 2, s[4:5]
	global_load_dwordx2 v[8:9], v[8:9], off
	v_and_b32_e32 v7, 7, v0
	s_waitcnt vmcnt(0)
	v_subrev_u32_e32 v0, s12, v8
	v_subrev_u32_e32 v20, s12, v9
	v_add_u32_e32 v12, v0, v7
	v_cmp_lt_i32_e64 s[2:3], v12, v20
	s_cbranch_scc0 .LBB68_12
; %bb.7:
	v_mov_b64_e32 v[8:9], 0
	v_mov_b64_e32 v[0:1], 0
	;; [unrolled: 1-line block ×4, first 2 shown]
	s_and_saveexec_b64 s[4:5], s[2:3]
	s_cbranch_execz .LBB68_11
; %bb.8:
	v_lshlrev_b32_e32 v16, 5, v12
	v_mov_b64_e32 v[8:9], 0
	s_mov_b64 s[14:15], 0
	v_mov_b32_e32 v17, 0
	v_mov_b32_e32 v18, v12
	v_mov_b64_e32 v[0:1], 0
	v_mov_b64_e32 v[10:11], 0
	;; [unrolled: 1-line block ×3, first 2 shown]
.LBB68_9:                               ; =>This Inner Loop Header: Depth=1
	v_ashrrev_i32_e32 v19, 31, v18
	v_lshl_add_u64 v[82:83], v[16:17], 3, s[8:9]
	v_lshl_add_u64 v[72:73], v[18:19], 2, s[6:7]
	global_load_dwordx4 v[22:25], v[82:83], off offset:48
	global_load_dwordx4 v[26:29], v[82:83], off offset:32
	;; [unrolled: 1-line block ×3, first 2 shown]
	global_load_dwordx4 v[34:37], v[82:83], off
	global_load_dwordx4 v[38:41], v[82:83], off offset:112
	global_load_dwordx4 v[42:45], v[82:83], off offset:96
	;; [unrolled: 1-line block ×8, first 2 shown]
	global_load_dword v13, v[72:73], off
	v_mov_b32_e32 v71, v17
	v_add_u32_e32 v18, 8, v18
	v_cmp_ge_i32_e32 vcc, v18, v20
	v_add_u32_e32 v16, 0x100, v16
	s_or_b64 s[14:15], vcc, s[14:15]
	s_waitcnt vmcnt(0)
	v_subrev_u32_e32 v13, s12, v13
	v_lshlrev_b32_e32 v70, 3, v13
	v_lshl_add_u64 v[84:85], v[70:71], 3, s[10:11]
	global_load_dwordx4 v[70:73], v[84:85], off
	global_load_dwordx4 v[74:77], v[84:85], off offset:16
	s_waitcnt vmcnt(1)
	v_fmac_f64_e32 v[8:9], v[34:35], v[70:71]
	v_fmac_f64_e32 v[14:15], v[36:37], v[70:71]
	;; [unrolled: 1-line block ×4, first 2 shown]
	global_load_dwordx4 v[34:37], v[82:83], off offset:224
	global_load_dwordx4 v[30:33], v[82:83], off offset:208
	v_fmac_f64_e32 v[8:9], v[26:27], v[72:73]
	v_fmac_f64_e32 v[14:15], v[28:29], v[72:73]
	global_load_dwordx4 v[26:29], v[82:83], off offset:192
	v_fmac_f64_e32 v[10:11], v[22:23], v[72:73]
	v_fmac_f64_e32 v[0:1], v[24:25], v[72:73]
	global_load_dwordx4 v[22:25], v[84:85], off offset:32
	global_load_dwordx4 v[70:73], v[84:85], off offset:48
	;; [unrolled: 1-line block ×3, first 2 shown]
	s_waitcnt vmcnt(6)
	v_fmac_f64_e32 v[8:9], v[50:51], v[74:75]
	v_fmac_f64_e32 v[14:15], v[52:53], v[74:75]
	;; [unrolled: 1-line block ×8, first 2 shown]
	s_waitcnt vmcnt(2)
	v_fmac_f64_e32 v[8:9], v[66:67], v[22:23]
	v_fmac_f64_e32 v[14:15], v[68:69], v[22:23]
	;; [unrolled: 1-line block ×8, first 2 shown]
	s_waitcnt vmcnt(1)
	v_fmac_f64_e32 v[8:9], v[26:27], v[70:71]
	v_fmac_f64_e32 v[14:15], v[28:29], v[70:71]
	;; [unrolled: 1-line block ×6, first 2 shown]
	s_waitcnt vmcnt(0)
	v_fmac_f64_e32 v[10:11], v[78:79], v[72:73]
	v_fmac_f64_e32 v[0:1], v[80:81], v[72:73]
	s_andn2_b64 exec, exec, s[14:15]
	s_cbranch_execnz .LBB68_9
; %bb.10:
	s_or_b64 exec, exec, s[14:15]
.LBB68_11:
	s_or_b64 exec, exec, s[4:5]
	s_cbranch_execz .LBB68_13
	s_branch .LBB68_18
.LBB68_12:
                                        ; implicit-def: $vgpr8_vgpr9
                                        ; implicit-def: $vgpr0_vgpr1
                                        ; implicit-def: $vgpr10_vgpr11
                                        ; implicit-def: $vgpr14_vgpr15
.LBB68_13:
	v_mov_b64_e32 v[8:9], 0
	v_mov_b64_e32 v[0:1], 0
	;; [unrolled: 1-line block ×4, first 2 shown]
	s_and_saveexec_b64 s[4:5], s[2:3]
	s_cbranch_execz .LBB68_17
; %bb.14:
	v_lshlrev_b32_e32 v16, 5, v12
	v_mov_b64_e32 v[8:9], 0
	s_mov_b64 s[2:3], 0
	v_mov_b32_e32 v17, 0
	v_mov_b64_e32 v[0:1], 0
	v_mov_b64_e32 v[10:11], 0
	v_mov_b64_e32 v[14:15], 0
.LBB68_15:                              ; =>This Inner Loop Header: Depth=1
	v_ashrrev_i32_e32 v13, 31, v12
	v_lshl_add_u64 v[18:19], v[16:17], 3, s[8:9]
	v_lshl_add_u64 v[64:65], v[12:13], 2, s[6:7]
	global_load_dwordx4 v[22:25], v[18:19], off offset:16
	global_load_dwordx4 v[26:29], v[18:19], off
	global_load_dwordx4 v[30:33], v[18:19], off offset:80
	global_load_dwordx4 v[34:37], v[18:19], off offset:64
	;; [unrolled: 1-line block ×8, first 2 shown]
	global_load_dword v13, v[64:65], off
	v_mov_b32_e32 v63, v17
	v_add_u32_e32 v12, 8, v12
	v_cmp_ge_i32_e32 vcc, v12, v20
	v_add_u32_e32 v16, 0x100, v16
	s_or_b64 s[2:3], vcc, s[2:3]
	s_waitcnt vmcnt(0)
	v_subrev_u32_e32 v13, s12, v13
	v_lshlrev_b32_e32 v62, 3, v13
	v_lshl_add_u64 v[74:75], v[62:63], 3, s[10:11]
	global_load_dwordx4 v[62:65], v[74:75], off
	global_load_dwordx4 v[66:69], v[74:75], off offset:16
	s_waitcnt vmcnt(1)
	v_fmac_f64_e32 v[8:9], v[26:27], v[62:63]
	v_fmac_f64_e32 v[8:9], v[28:29], v[64:65]
	;; [unrolled: 1-line block ×5, first 2 shown]
	s_waitcnt vmcnt(0)
	v_fmac_f64_e32 v[8:9], v[22:23], v[66:67]
	global_load_dwordx4 v[26:29], v[18:19], off offset:112
	v_fmac_f64_e32 v[14:15], v[36:37], v[64:65]
	global_load_dwordx4 v[34:37], v[18:19], off offset:96
	;; [unrolled: 2-line block ×4, first 2 shown]
	global_load_dwordx4 v[62:65], v[18:19], off offset:240
	global_load_dwordx4 v[70:73], v[18:19], off offset:224
	v_fmac_f64_e32 v[8:9], v[24:25], v[68:69]
	global_load_dwordx4 v[22:25], v[74:75], off offset:32
	v_fmac_f64_e32 v[14:15], v[30:31], v[66:67]
	v_fmac_f64_e32 v[14:15], v[32:33], v[68:69]
	global_load_dwordx4 v[30:33], v[74:75], off offset:48
	v_fmac_f64_e32 v[10:11], v[38:39], v[66:67]
	v_fmac_f64_e32 v[0:1], v[46:47], v[66:67]
	;; [unrolled: 1-line block ×4, first 2 shown]
	s_waitcnt vmcnt(1)
	v_fmac_f64_e32 v[8:9], v[58:59], v[22:23]
	v_fmac_f64_e32 v[14:15], v[34:35], v[22:23]
	;; [unrolled: 1-line block ×8, first 2 shown]
	s_waitcnt vmcnt(0)
	v_fmac_f64_e32 v[8:9], v[54:55], v[30:31]
	v_fmac_f64_e32 v[14:15], v[26:27], v[30:31]
	;; [unrolled: 1-line block ×8, first 2 shown]
	s_andn2_b64 exec, exec, s[2:3]
	s_cbranch_execnz .LBB68_15
; %bb.16:
	s_or_b64 exec, exec, s[2:3]
.LBB68_17:
	s_or_b64 exec, exec, s[4:5]
.LBB68_18:
	v_mov_b32_dpp v18, v10 row_shr:1 row_mask:0xf bank_mask:0xf
	v_mov_b32_dpp v19, v11 row_shr:1 row_mask:0xf bank_mask:0xf
	v_add_f64 v[10:11], v[10:11], v[18:19]
	v_mov_b32_dpp v12, v8 row_shr:1 row_mask:0xf bank_mask:0xf
	v_mov_b32_dpp v13, v9 row_shr:1 row_mask:0xf bank_mask:0xf
	;; [unrolled: 1-line block ×6, first 2 shown]
	v_add_f64 v[18:19], v[10:11], v[18:19]
	v_mov_b32_dpp v10, v0 row_shr:1 row_mask:0xf bank_mask:0xf
	v_mov_b32_dpp v11, v1 row_shr:1 row_mask:0xf bank_mask:0xf
	v_add_f64 v[8:9], v[8:9], v[12:13]
	v_add_f64 v[14:15], v[14:15], v[16:17]
	;; [unrolled: 1-line block ×3, first 2 shown]
	v_mov_b32_dpp v12, v8 row_shr:2 row_mask:0xf bank_mask:0xf
	v_mov_b32_dpp v13, v9 row_shr:2 row_mask:0xf bank_mask:0xf
	;; [unrolled: 1-line block ×6, first 2 shown]
	v_add_f64 v[8:9], v[8:9], v[12:13]
	v_add_f64 v[14:15], v[14:15], v[16:17]
	;; [unrolled: 1-line block ×3, first 2 shown]
	v_mov_b32_dpp v12, v8 row_shr:4 row_mask:0xf bank_mask:0xe
	v_mov_b32_dpp v13, v9 row_shr:4 row_mask:0xf bank_mask:0xe
	;; [unrolled: 1-line block ×8, first 2 shown]
	v_cmp_eq_u32_e32 vcc, 7, v7
	s_and_b64 exec, exec, vcc
	s_cbranch_execz .LBB68_23
; %bb.19:
	s_load_dwordx2 s[0:1], s[0:1], 0x38
	v_add_f64 v[12:13], v[8:9], v[12:13]
	v_add_f64 v[10:11], v[14:15], v[16:17]
	;; [unrolled: 1-line block ×4, first 2 shown]
	v_cmp_eq_f64_e32 vcc, 0, v[4:5]
	s_and_saveexec_b64 s[2:3], vcc
	s_xor_b64 s[2:3], exec, s[2:3]
	s_cbranch_execz .LBB68_21
; %bb.20:
	v_lshlrev_b32_e32 v6, 2, v6
	v_ashrrev_i32_e32 v7, 31, v6
	v_mul_f64 v[4:5], v[2:3], v[12:13]
	s_waitcnt lgkmcnt(0)
	v_lshl_add_u64 v[12:13], v[6:7], 3, s[0:1]
	v_mul_f64 v[6:7], v[2:3], v[10:11]
	v_mul_f64 v[0:1], v[2:3], v[0:1]
	;; [unrolled: 1-line block ×3, first 2 shown]
	global_store_dwordx4 v[12:13], v[4:7], off
	global_store_dwordx4 v[12:13], v[0:3], off offset:16
                                        ; implicit-def: $vgpr6
                                        ; implicit-def: $vgpr2_vgpr3
                                        ; implicit-def: $vgpr12_vgpr13
                                        ; implicit-def: $vgpr4_vgpr5
                                        ; implicit-def: $vgpr10_vgpr11
                                        ; implicit-def: $vgpr0_vgpr1
                                        ; implicit-def: $vgpr8_vgpr9
.LBB68_21:
	s_andn2_saveexec_b64 s[2:3], s[2:3]
	s_cbranch_execz .LBB68_23
; %bb.22:
	v_lshlrev_b32_e32 v6, 2, v6
	v_ashrrev_i32_e32 v7, 31, v6
	s_waitcnt lgkmcnt(0)
	v_lshl_add_u64 v[6:7], v[6:7], 3, s[0:1]
	global_load_dwordx4 v[14:17], v[6:7], off
	global_load_dwordx4 v[18:21], v[6:7], off offset:16
	v_mul_f64 v[22:23], v[2:3], v[12:13]
	v_mul_f64 v[24:25], v[2:3], v[10:11]
	;; [unrolled: 1-line block ×4, first 2 shown]
	s_waitcnt vmcnt(1)
	v_fmac_f64_e32 v[22:23], v[4:5], v[14:15]
	v_fmac_f64_e32 v[24:25], v[4:5], v[16:17]
	s_waitcnt vmcnt(0)
	v_fmac_f64_e32 v[0:1], v[4:5], v[18:19]
	v_fmac_f64_e32 v[2:3], v[4:5], v[20:21]
	global_store_dwordx4 v[6:7], v[22:25], off
	global_store_dwordx4 v[6:7], v[0:3], off offset:16
.LBB68_23:
	s_endpgm
	.section	.rodata,"a",@progbits
	.p2align	6, 0x0
	.amdhsa_kernel _ZN9rocsparseL19gebsrmvn_4xn_kernelILj128ELj8ELj8EdEEvi20rocsparse_direction_NS_24const_host_device_scalarIT2_EEPKiS6_PKS3_S8_S4_PS3_21rocsparse_index_base_b
		.amdhsa_group_segment_fixed_size 0
		.amdhsa_private_segment_fixed_size 0
		.amdhsa_kernarg_size 72
		.amdhsa_user_sgpr_count 2
		.amdhsa_user_sgpr_dispatch_ptr 0
		.amdhsa_user_sgpr_queue_ptr 0
		.amdhsa_user_sgpr_kernarg_segment_ptr 1
		.amdhsa_user_sgpr_dispatch_id 0
		.amdhsa_user_sgpr_kernarg_preload_length 0
		.amdhsa_user_sgpr_kernarg_preload_offset 0
		.amdhsa_user_sgpr_private_segment_size 0
		.amdhsa_uses_dynamic_stack 0
		.amdhsa_enable_private_segment 0
		.amdhsa_system_sgpr_workgroup_id_x 1
		.amdhsa_system_sgpr_workgroup_id_y 0
		.amdhsa_system_sgpr_workgroup_id_z 0
		.amdhsa_system_sgpr_workgroup_info 0
		.amdhsa_system_vgpr_workitem_id 0
		.amdhsa_next_free_vgpr 86
		.amdhsa_next_free_sgpr 16
		.amdhsa_accum_offset 88
		.amdhsa_reserve_vcc 1
		.amdhsa_float_round_mode_32 0
		.amdhsa_float_round_mode_16_64 0
		.amdhsa_float_denorm_mode_32 3
		.amdhsa_float_denorm_mode_16_64 3
		.amdhsa_dx10_clamp 1
		.amdhsa_ieee_mode 1
		.amdhsa_fp16_overflow 0
		.amdhsa_tg_split 0
		.amdhsa_exception_fp_ieee_invalid_op 0
		.amdhsa_exception_fp_denorm_src 0
		.amdhsa_exception_fp_ieee_div_zero 0
		.amdhsa_exception_fp_ieee_overflow 0
		.amdhsa_exception_fp_ieee_underflow 0
		.amdhsa_exception_fp_ieee_inexact 0
		.amdhsa_exception_int_div_zero 0
	.end_amdhsa_kernel
	.section	.text._ZN9rocsparseL19gebsrmvn_4xn_kernelILj128ELj8ELj8EdEEvi20rocsparse_direction_NS_24const_host_device_scalarIT2_EEPKiS6_PKS3_S8_S4_PS3_21rocsparse_index_base_b,"axG",@progbits,_ZN9rocsparseL19gebsrmvn_4xn_kernelILj128ELj8ELj8EdEEvi20rocsparse_direction_NS_24const_host_device_scalarIT2_EEPKiS6_PKS3_S8_S4_PS3_21rocsparse_index_base_b,comdat
.Lfunc_end68:
	.size	_ZN9rocsparseL19gebsrmvn_4xn_kernelILj128ELj8ELj8EdEEvi20rocsparse_direction_NS_24const_host_device_scalarIT2_EEPKiS6_PKS3_S8_S4_PS3_21rocsparse_index_base_b, .Lfunc_end68-_ZN9rocsparseL19gebsrmvn_4xn_kernelILj128ELj8ELj8EdEEvi20rocsparse_direction_NS_24const_host_device_scalarIT2_EEPKiS6_PKS3_S8_S4_PS3_21rocsparse_index_base_b
                                        ; -- End function
	.set _ZN9rocsparseL19gebsrmvn_4xn_kernelILj128ELj8ELj8EdEEvi20rocsparse_direction_NS_24const_host_device_scalarIT2_EEPKiS6_PKS3_S8_S4_PS3_21rocsparse_index_base_b.num_vgpr, 86
	.set _ZN9rocsparseL19gebsrmvn_4xn_kernelILj128ELj8ELj8EdEEvi20rocsparse_direction_NS_24const_host_device_scalarIT2_EEPKiS6_PKS3_S8_S4_PS3_21rocsparse_index_base_b.num_agpr, 0
	.set _ZN9rocsparseL19gebsrmvn_4xn_kernelILj128ELj8ELj8EdEEvi20rocsparse_direction_NS_24const_host_device_scalarIT2_EEPKiS6_PKS3_S8_S4_PS3_21rocsparse_index_base_b.numbered_sgpr, 16
	.set _ZN9rocsparseL19gebsrmvn_4xn_kernelILj128ELj8ELj8EdEEvi20rocsparse_direction_NS_24const_host_device_scalarIT2_EEPKiS6_PKS3_S8_S4_PS3_21rocsparse_index_base_b.num_named_barrier, 0
	.set _ZN9rocsparseL19gebsrmvn_4xn_kernelILj128ELj8ELj8EdEEvi20rocsparse_direction_NS_24const_host_device_scalarIT2_EEPKiS6_PKS3_S8_S4_PS3_21rocsparse_index_base_b.private_seg_size, 0
	.set _ZN9rocsparseL19gebsrmvn_4xn_kernelILj128ELj8ELj8EdEEvi20rocsparse_direction_NS_24const_host_device_scalarIT2_EEPKiS6_PKS3_S8_S4_PS3_21rocsparse_index_base_b.uses_vcc, 1
	.set _ZN9rocsparseL19gebsrmvn_4xn_kernelILj128ELj8ELj8EdEEvi20rocsparse_direction_NS_24const_host_device_scalarIT2_EEPKiS6_PKS3_S8_S4_PS3_21rocsparse_index_base_b.uses_flat_scratch, 0
	.set _ZN9rocsparseL19gebsrmvn_4xn_kernelILj128ELj8ELj8EdEEvi20rocsparse_direction_NS_24const_host_device_scalarIT2_EEPKiS6_PKS3_S8_S4_PS3_21rocsparse_index_base_b.has_dyn_sized_stack, 0
	.set _ZN9rocsparseL19gebsrmvn_4xn_kernelILj128ELj8ELj8EdEEvi20rocsparse_direction_NS_24const_host_device_scalarIT2_EEPKiS6_PKS3_S8_S4_PS3_21rocsparse_index_base_b.has_recursion, 0
	.set _ZN9rocsparseL19gebsrmvn_4xn_kernelILj128ELj8ELj8EdEEvi20rocsparse_direction_NS_24const_host_device_scalarIT2_EEPKiS6_PKS3_S8_S4_PS3_21rocsparse_index_base_b.has_indirect_call, 0
	.section	.AMDGPU.csdata,"",@progbits
; Kernel info:
; codeLenInByte = 1636
; TotalNumSgprs: 22
; NumVgprs: 86
; NumAgprs: 0
; TotalNumVgprs: 86
; ScratchSize: 0
; MemoryBound: 1
; FloatMode: 240
; IeeeMode: 1
; LDSByteSize: 0 bytes/workgroup (compile time only)
; SGPRBlocks: 2
; VGPRBlocks: 10
; NumSGPRsForWavesPerEU: 22
; NumVGPRsForWavesPerEU: 86
; AccumOffset: 88
; Occupancy: 5
; WaveLimiterHint : 1
; COMPUTE_PGM_RSRC2:SCRATCH_EN: 0
; COMPUTE_PGM_RSRC2:USER_SGPR: 2
; COMPUTE_PGM_RSRC2:TRAP_HANDLER: 0
; COMPUTE_PGM_RSRC2:TGID_X_EN: 1
; COMPUTE_PGM_RSRC2:TGID_Y_EN: 0
; COMPUTE_PGM_RSRC2:TGID_Z_EN: 0
; COMPUTE_PGM_RSRC2:TIDIG_COMP_CNT: 0
; COMPUTE_PGM_RSRC3_GFX90A:ACCUM_OFFSET: 21
; COMPUTE_PGM_RSRC3_GFX90A:TG_SPLIT: 0
	.section	.text._ZN9rocsparseL19gebsrmvn_4xn_kernelILj128ELj8ELj16EdEEvi20rocsparse_direction_NS_24const_host_device_scalarIT2_EEPKiS6_PKS3_S8_S4_PS3_21rocsparse_index_base_b,"axG",@progbits,_ZN9rocsparseL19gebsrmvn_4xn_kernelILj128ELj8ELj16EdEEvi20rocsparse_direction_NS_24const_host_device_scalarIT2_EEPKiS6_PKS3_S8_S4_PS3_21rocsparse_index_base_b,comdat
	.globl	_ZN9rocsparseL19gebsrmvn_4xn_kernelILj128ELj8ELj16EdEEvi20rocsparse_direction_NS_24const_host_device_scalarIT2_EEPKiS6_PKS3_S8_S4_PS3_21rocsparse_index_base_b ; -- Begin function _ZN9rocsparseL19gebsrmvn_4xn_kernelILj128ELj8ELj16EdEEvi20rocsparse_direction_NS_24const_host_device_scalarIT2_EEPKiS6_PKS3_S8_S4_PS3_21rocsparse_index_base_b
	.p2align	8
	.type	_ZN9rocsparseL19gebsrmvn_4xn_kernelILj128ELj8ELj16EdEEvi20rocsparse_direction_NS_24const_host_device_scalarIT2_EEPKiS6_PKS3_S8_S4_PS3_21rocsparse_index_base_b,@function
_ZN9rocsparseL19gebsrmvn_4xn_kernelILj128ELj8ELj16EdEEvi20rocsparse_direction_NS_24const_host_device_scalarIT2_EEPKiS6_PKS3_S8_S4_PS3_21rocsparse_index_base_b: ; @_ZN9rocsparseL19gebsrmvn_4xn_kernelILj128ELj8ELj16EdEEvi20rocsparse_direction_NS_24const_host_device_scalarIT2_EEPKiS6_PKS3_S8_S4_PS3_21rocsparse_index_base_b
; %bb.0:
	s_load_dwordx2 s[12:13], s[0:1], 0x40
	s_load_dwordx2 s[8:9], s[0:1], 0x8
	;; [unrolled: 1-line block ×3, first 2 shown]
	s_waitcnt lgkmcnt(0)
	s_bitcmp1_b32 s13, 0
	s_cselect_b64 s[10:11], -1, 0
	s_xor_b64 s[6:7], s[10:11], -1
	s_and_b64 vcc, exec, s[10:11]
	v_mov_b64_e32 v[2:3], s[8:9]
	s_cbranch_vccnz .LBB69_2
; %bb.1:
	v_mov_b64_e32 v[2:3], s[8:9]
	flat_load_dwordx2 v[2:3], v[2:3]
.LBB69_2:
	s_andn2_b64 vcc, exec, s[6:7]
	v_mov_b64_e32 v[4:5], s[4:5]
	s_cbranch_vccnz .LBB69_4
; %bb.3:
	v_mov_b64_e32 v[4:5], s[4:5]
	flat_load_dwordx2 v[4:5], v[4:5]
.LBB69_4:
	s_waitcnt vmcnt(0) lgkmcnt(0)
	v_cmp_neq_f64_e32 vcc, 0, v[2:3]
	v_cmp_neq_f64_e64 s[4:5], 1.0, v[4:5]
	s_or_b64 s[4:5], vcc, s[4:5]
	s_and_saveexec_b64 s[6:7], s[4:5]
	s_cbranch_execz .LBB69_23
; %bb.5:
	s_load_dwordx2 s[14:15], s[0:1], 0x0
	v_lshrrev_b32_e32 v1, 4, v0
	v_lshl_or_b32 v6, s2, 3, v1
	s_waitcnt lgkmcnt(0)
	v_cmp_gt_i32_e32 vcc, s14, v6
	s_and_b64 exec, exec, vcc
	s_cbranch_execz .LBB69_23
; %bb.6:
	s_load_dwordx8 s[4:11], s[0:1], 0x10
	v_ashrrev_i32_e32 v7, 31, v6
	s_cmp_lg_u32 s15, 0
	s_waitcnt lgkmcnt(0)
	v_lshl_add_u64 v[8:9], v[6:7], 2, s[4:5]
	global_load_dwordx2 v[8:9], v[8:9], off
	v_and_b32_e32 v7, 15, v0
	s_waitcnt vmcnt(0)
	v_subrev_u32_e32 v0, s12, v8
	v_subrev_u32_e32 v20, s12, v9
	v_add_u32_e32 v14, v0, v7
	v_cmp_lt_i32_e64 s[2:3], v14, v20
	s_cbranch_scc0 .LBB69_12
; %bb.7:
	v_mov_b64_e32 v[10:11], 0
	v_mov_b64_e32 v[0:1], 0
	;; [unrolled: 1-line block ×4, first 2 shown]
	s_and_saveexec_b64 s[4:5], s[2:3]
	s_cbranch_execz .LBB69_11
; %bb.8:
	v_lshlrev_b32_e32 v16, 5, v14
	v_mov_b64_e32 v[10:11], 0
	s_mov_b64 s[14:15], 0
	v_mov_b32_e32 v17, 0
	v_mov_b32_e32 v18, v14
	v_mov_b64_e32 v[0:1], 0
	v_mov_b64_e32 v[8:9], 0
	;; [unrolled: 1-line block ×3, first 2 shown]
.LBB69_9:                               ; =>This Inner Loop Header: Depth=1
	v_ashrrev_i32_e32 v19, 31, v18
	v_lshl_add_u64 v[82:83], v[16:17], 3, s[8:9]
	v_lshl_add_u64 v[72:73], v[18:19], 2, s[6:7]
	global_load_dwordx4 v[22:25], v[82:83], off offset:48
	global_load_dwordx4 v[26:29], v[82:83], off offset:32
	;; [unrolled: 1-line block ×3, first 2 shown]
	global_load_dwordx4 v[34:37], v[82:83], off
	global_load_dwordx4 v[38:41], v[82:83], off offset:112
	global_load_dwordx4 v[42:45], v[82:83], off offset:96
	;; [unrolled: 1-line block ×8, first 2 shown]
	global_load_dword v15, v[72:73], off
	v_mov_b32_e32 v71, v17
	v_add_u32_e32 v18, 16, v18
	v_cmp_ge_i32_e32 vcc, v18, v20
	v_add_u32_e32 v16, 0x200, v16
	s_or_b64 s[14:15], vcc, s[14:15]
	s_waitcnt vmcnt(0)
	v_subrev_u32_e32 v15, s12, v15
	v_lshlrev_b32_e32 v70, 3, v15
	v_lshl_add_u64 v[84:85], v[70:71], 3, s[10:11]
	global_load_dwordx4 v[70:73], v[84:85], off
	global_load_dwordx4 v[74:77], v[84:85], off offset:16
	s_waitcnt vmcnt(1)
	v_fmac_f64_e32 v[10:11], v[34:35], v[70:71]
	v_fmac_f64_e32 v[12:13], v[36:37], v[70:71]
	;; [unrolled: 1-line block ×4, first 2 shown]
	global_load_dwordx4 v[34:37], v[82:83], off offset:224
	global_load_dwordx4 v[30:33], v[82:83], off offset:208
	v_fmac_f64_e32 v[10:11], v[26:27], v[72:73]
	v_fmac_f64_e32 v[12:13], v[28:29], v[72:73]
	global_load_dwordx4 v[26:29], v[82:83], off offset:192
	v_fmac_f64_e32 v[8:9], v[22:23], v[72:73]
	v_fmac_f64_e32 v[0:1], v[24:25], v[72:73]
	global_load_dwordx4 v[22:25], v[84:85], off offset:32
	global_load_dwordx4 v[70:73], v[84:85], off offset:48
	;; [unrolled: 1-line block ×3, first 2 shown]
	s_waitcnt vmcnt(6)
	v_fmac_f64_e32 v[10:11], v[50:51], v[74:75]
	v_fmac_f64_e32 v[12:13], v[52:53], v[74:75]
	;; [unrolled: 1-line block ×8, first 2 shown]
	s_waitcnt vmcnt(2)
	v_fmac_f64_e32 v[10:11], v[66:67], v[22:23]
	v_fmac_f64_e32 v[12:13], v[68:69], v[22:23]
	;; [unrolled: 1-line block ×8, first 2 shown]
	s_waitcnt vmcnt(1)
	v_fmac_f64_e32 v[10:11], v[26:27], v[70:71]
	v_fmac_f64_e32 v[12:13], v[28:29], v[70:71]
	;; [unrolled: 1-line block ×6, first 2 shown]
	s_waitcnt vmcnt(0)
	v_fmac_f64_e32 v[8:9], v[78:79], v[72:73]
	v_fmac_f64_e32 v[0:1], v[80:81], v[72:73]
	s_andn2_b64 exec, exec, s[14:15]
	s_cbranch_execnz .LBB69_9
; %bb.10:
	s_or_b64 exec, exec, s[14:15]
.LBB69_11:
	s_or_b64 exec, exec, s[4:5]
	s_cbranch_execz .LBB69_13
	s_branch .LBB69_18
.LBB69_12:
                                        ; implicit-def: $vgpr10_vgpr11
                                        ; implicit-def: $vgpr0_vgpr1
                                        ; implicit-def: $vgpr8_vgpr9
                                        ; implicit-def: $vgpr12_vgpr13
.LBB69_13:
	v_mov_b64_e32 v[10:11], 0
	v_mov_b64_e32 v[0:1], 0
	;; [unrolled: 1-line block ×4, first 2 shown]
	s_and_saveexec_b64 s[4:5], s[2:3]
	s_cbranch_execz .LBB69_17
; %bb.14:
	v_lshlrev_b32_e32 v16, 5, v14
	v_mov_b64_e32 v[10:11], 0
	s_mov_b64 s[2:3], 0
	v_mov_b32_e32 v17, 0
	v_mov_b64_e32 v[0:1], 0
	v_mov_b64_e32 v[8:9], 0
	v_mov_b64_e32 v[12:13], 0
.LBB69_15:                              ; =>This Inner Loop Header: Depth=1
	v_ashrrev_i32_e32 v15, 31, v14
	v_lshl_add_u64 v[18:19], v[16:17], 3, s[8:9]
	v_lshl_add_u64 v[64:65], v[14:15], 2, s[6:7]
	global_load_dwordx4 v[22:25], v[18:19], off offset:16
	global_load_dwordx4 v[26:29], v[18:19], off
	global_load_dwordx4 v[30:33], v[18:19], off offset:80
	global_load_dwordx4 v[34:37], v[18:19], off offset:64
	;; [unrolled: 1-line block ×8, first 2 shown]
	global_load_dword v15, v[64:65], off
	v_mov_b32_e32 v63, v17
	v_add_u32_e32 v14, 16, v14
	v_cmp_ge_i32_e32 vcc, v14, v20
	v_add_u32_e32 v16, 0x200, v16
	s_or_b64 s[2:3], vcc, s[2:3]
	s_waitcnt vmcnt(0)
	v_subrev_u32_e32 v15, s12, v15
	v_lshlrev_b32_e32 v62, 3, v15
	v_lshl_add_u64 v[74:75], v[62:63], 3, s[10:11]
	global_load_dwordx4 v[62:65], v[74:75], off
	global_load_dwordx4 v[66:69], v[74:75], off offset:16
	s_waitcnt vmcnt(1)
	v_fmac_f64_e32 v[10:11], v[26:27], v[62:63]
	v_fmac_f64_e32 v[10:11], v[28:29], v[64:65]
	;; [unrolled: 1-line block ×5, first 2 shown]
	s_waitcnt vmcnt(0)
	v_fmac_f64_e32 v[10:11], v[22:23], v[66:67]
	global_load_dwordx4 v[26:29], v[18:19], off offset:112
	v_fmac_f64_e32 v[12:13], v[36:37], v[64:65]
	global_load_dwordx4 v[34:37], v[18:19], off offset:96
	;; [unrolled: 2-line block ×4, first 2 shown]
	global_load_dwordx4 v[62:65], v[18:19], off offset:240
	global_load_dwordx4 v[70:73], v[18:19], off offset:224
	v_fmac_f64_e32 v[10:11], v[24:25], v[68:69]
	global_load_dwordx4 v[22:25], v[74:75], off offset:32
	v_fmac_f64_e32 v[12:13], v[30:31], v[66:67]
	v_fmac_f64_e32 v[12:13], v[32:33], v[68:69]
	global_load_dwordx4 v[30:33], v[74:75], off offset:48
	v_fmac_f64_e32 v[8:9], v[38:39], v[66:67]
	v_fmac_f64_e32 v[0:1], v[46:47], v[66:67]
	;; [unrolled: 1-line block ×4, first 2 shown]
	s_waitcnt vmcnt(1)
	v_fmac_f64_e32 v[10:11], v[58:59], v[22:23]
	v_fmac_f64_e32 v[12:13], v[34:35], v[22:23]
	;; [unrolled: 1-line block ×8, first 2 shown]
	s_waitcnt vmcnt(0)
	v_fmac_f64_e32 v[10:11], v[54:55], v[30:31]
	v_fmac_f64_e32 v[12:13], v[26:27], v[30:31]
	;; [unrolled: 1-line block ×8, first 2 shown]
	s_andn2_b64 exec, exec, s[2:3]
	s_cbranch_execnz .LBB69_15
; %bb.16:
	s_or_b64 exec, exec, s[2:3]
.LBB69_17:
	s_or_b64 exec, exec, s[4:5]
.LBB69_18:
	v_mov_b32_dpp v16, v12 row_shr:1 row_mask:0xf bank_mask:0xf
	v_mov_b32_dpp v17, v13 row_shr:1 row_mask:0xf bank_mask:0xf
	v_add_f64 v[12:13], v[12:13], v[16:17]
	v_mov_b32_dpp v14, v10 row_shr:1 row_mask:0xf bank_mask:0xf
	v_mov_b32_dpp v15, v11 row_shr:1 row_mask:0xf bank_mask:0xf
	;; [unrolled: 1-line block ×4, first 2 shown]
	v_add_f64 v[12:13], v[12:13], v[16:17]
	v_add_f64 v[10:11], v[10:11], v[14:15]
	v_cmp_eq_u32_e32 vcc, 15, v7
	v_mov_b32_dpp v16, v12 row_shr:4 row_mask:0xf bank_mask:0xe
	v_mov_b32_dpp v17, v13 row_shr:4 row_mask:0xf bank_mask:0xe
	v_add_f64 v[16:17], v[12:13], v[16:17]
	v_mov_b32_dpp v12, v8 row_shr:1 row_mask:0xf bank_mask:0xf
	v_mov_b32_dpp v13, v9 row_shr:1 row_mask:0xf bank_mask:0xf
	v_add_f64 v[8:9], v[8:9], v[12:13]
	v_mov_b32_dpp v14, v10 row_shr:2 row_mask:0xf bank_mask:0xf
	v_mov_b32_dpp v15, v11 row_shr:2 row_mask:0xf bank_mask:0xf
	;; [unrolled: 1-line block ×4, first 2 shown]
	v_add_f64 v[8:9], v[8:9], v[12:13]
	v_add_f64 v[10:11], v[10:11], v[14:15]
	v_mov_b32_dpp v18, v16 row_shr:8 row_mask:0xf bank_mask:0xc
	v_mov_b32_dpp v12, v8 row_shr:4 row_mask:0xf bank_mask:0xe
	;; [unrolled: 1-line block ×3, first 2 shown]
	v_add_f64 v[8:9], v[8:9], v[12:13]
	v_mov_b32_dpp v12, v0 row_shr:1 row_mask:0xf bank_mask:0xf
	v_mov_b32_dpp v13, v1 row_shr:1 row_mask:0xf bank_mask:0xf
	v_add_f64 v[0:1], v[0:1], v[12:13]
	v_mov_b32_dpp v14, v10 row_shr:4 row_mask:0xf bank_mask:0xe
	v_mov_b32_dpp v15, v11 row_shr:4 row_mask:0xf bank_mask:0xe
	;; [unrolled: 1-line block ×4, first 2 shown]
	v_add_f64 v[0:1], v[0:1], v[12:13]
	v_add_f64 v[10:11], v[10:11], v[14:15]
	v_mov_b32_dpp v19, v17 row_shr:8 row_mask:0xf bank_mask:0xc
	v_mov_b32_dpp v12, v0 row_shr:4 row_mask:0xf bank_mask:0xe
	;; [unrolled: 1-line block ×3, first 2 shown]
	v_add_f64 v[22:23], v[0:1], v[12:13]
	v_mov_b32_dpp v14, v10 row_shr:8 row_mask:0xf bank_mask:0xc
	v_mov_b32_dpp v15, v11 row_shr:8 row_mask:0xf bank_mask:0xc
	;; [unrolled: 1-line block ×6, first 2 shown]
	s_and_b64 exec, exec, vcc
	s_cbranch_execz .LBB69_23
; %bb.19:
	s_load_dwordx2 s[0:1], s[0:1], 0x38
	v_add_f64 v[12:13], v[10:11], v[14:15]
	v_add_f64 v[10:11], v[16:17], v[18:19]
	v_add_f64 v[0:1], v[8:9], v[20:21]
	v_add_f64 v[8:9], v[22:23], v[24:25]
	v_cmp_eq_f64_e32 vcc, 0, v[4:5]
	s_and_saveexec_b64 s[2:3], vcc
	s_xor_b64 s[2:3], exec, s[2:3]
	s_cbranch_execz .LBB69_21
; %bb.20:
	v_lshlrev_b32_e32 v6, 2, v6
	v_ashrrev_i32_e32 v7, 31, v6
	v_mul_f64 v[4:5], v[2:3], v[12:13]
	s_waitcnt lgkmcnt(0)
	v_lshl_add_u64 v[12:13], v[6:7], 3, s[0:1]
	v_mul_f64 v[6:7], v[2:3], v[10:11]
	v_mul_f64 v[0:1], v[2:3], v[0:1]
	;; [unrolled: 1-line block ×3, first 2 shown]
	global_store_dwordx4 v[12:13], v[4:7], off
	global_store_dwordx4 v[12:13], v[0:3], off offset:16
                                        ; implicit-def: $vgpr6
                                        ; implicit-def: $vgpr2_vgpr3
                                        ; implicit-def: $vgpr12_vgpr13
                                        ; implicit-def: $vgpr4_vgpr5
                                        ; implicit-def: $vgpr10_vgpr11
                                        ; implicit-def: $vgpr0_vgpr1
                                        ; implicit-def: $vgpr8_vgpr9
.LBB69_21:
	s_andn2_saveexec_b64 s[2:3], s[2:3]
	s_cbranch_execz .LBB69_23
; %bb.22:
	v_lshlrev_b32_e32 v6, 2, v6
	v_ashrrev_i32_e32 v7, 31, v6
	s_waitcnt lgkmcnt(0)
	v_lshl_add_u64 v[6:7], v[6:7], 3, s[0:1]
	global_load_dwordx4 v[14:17], v[6:7], off
	global_load_dwordx4 v[18:21], v[6:7], off offset:16
	v_mul_f64 v[22:23], v[2:3], v[12:13]
	v_mul_f64 v[24:25], v[2:3], v[10:11]
	;; [unrolled: 1-line block ×4, first 2 shown]
	s_waitcnt vmcnt(1)
	v_fmac_f64_e32 v[22:23], v[4:5], v[14:15]
	v_fmac_f64_e32 v[24:25], v[4:5], v[16:17]
	s_waitcnt vmcnt(0)
	v_fmac_f64_e32 v[0:1], v[4:5], v[18:19]
	v_fmac_f64_e32 v[2:3], v[4:5], v[20:21]
	global_store_dwordx4 v[6:7], v[22:25], off
	global_store_dwordx4 v[6:7], v[0:3], off offset:16
.LBB69_23:
	s_endpgm
	.section	.rodata,"a",@progbits
	.p2align	6, 0x0
	.amdhsa_kernel _ZN9rocsparseL19gebsrmvn_4xn_kernelILj128ELj8ELj16EdEEvi20rocsparse_direction_NS_24const_host_device_scalarIT2_EEPKiS6_PKS3_S8_S4_PS3_21rocsparse_index_base_b
		.amdhsa_group_segment_fixed_size 0
		.amdhsa_private_segment_fixed_size 0
		.amdhsa_kernarg_size 72
		.amdhsa_user_sgpr_count 2
		.amdhsa_user_sgpr_dispatch_ptr 0
		.amdhsa_user_sgpr_queue_ptr 0
		.amdhsa_user_sgpr_kernarg_segment_ptr 1
		.amdhsa_user_sgpr_dispatch_id 0
		.amdhsa_user_sgpr_kernarg_preload_length 0
		.amdhsa_user_sgpr_kernarg_preload_offset 0
		.amdhsa_user_sgpr_private_segment_size 0
		.amdhsa_uses_dynamic_stack 0
		.amdhsa_enable_private_segment 0
		.amdhsa_system_sgpr_workgroup_id_x 1
		.amdhsa_system_sgpr_workgroup_id_y 0
		.amdhsa_system_sgpr_workgroup_id_z 0
		.amdhsa_system_sgpr_workgroup_info 0
		.amdhsa_system_vgpr_workitem_id 0
		.amdhsa_next_free_vgpr 86
		.amdhsa_next_free_sgpr 16
		.amdhsa_accum_offset 88
		.amdhsa_reserve_vcc 1
		.amdhsa_float_round_mode_32 0
		.amdhsa_float_round_mode_16_64 0
		.amdhsa_float_denorm_mode_32 3
		.amdhsa_float_denorm_mode_16_64 3
		.amdhsa_dx10_clamp 1
		.amdhsa_ieee_mode 1
		.amdhsa_fp16_overflow 0
		.amdhsa_tg_split 0
		.amdhsa_exception_fp_ieee_invalid_op 0
		.amdhsa_exception_fp_denorm_src 0
		.amdhsa_exception_fp_ieee_div_zero 0
		.amdhsa_exception_fp_ieee_overflow 0
		.amdhsa_exception_fp_ieee_underflow 0
		.amdhsa_exception_fp_ieee_inexact 0
		.amdhsa_exception_int_div_zero 0
	.end_amdhsa_kernel
	.section	.text._ZN9rocsparseL19gebsrmvn_4xn_kernelILj128ELj8ELj16EdEEvi20rocsparse_direction_NS_24const_host_device_scalarIT2_EEPKiS6_PKS3_S8_S4_PS3_21rocsparse_index_base_b,"axG",@progbits,_ZN9rocsparseL19gebsrmvn_4xn_kernelILj128ELj8ELj16EdEEvi20rocsparse_direction_NS_24const_host_device_scalarIT2_EEPKiS6_PKS3_S8_S4_PS3_21rocsparse_index_base_b,comdat
.Lfunc_end69:
	.size	_ZN9rocsparseL19gebsrmvn_4xn_kernelILj128ELj8ELj16EdEEvi20rocsparse_direction_NS_24const_host_device_scalarIT2_EEPKiS6_PKS3_S8_S4_PS3_21rocsparse_index_base_b, .Lfunc_end69-_ZN9rocsparseL19gebsrmvn_4xn_kernelILj128ELj8ELj16EdEEvi20rocsparse_direction_NS_24const_host_device_scalarIT2_EEPKiS6_PKS3_S8_S4_PS3_21rocsparse_index_base_b
                                        ; -- End function
	.set _ZN9rocsparseL19gebsrmvn_4xn_kernelILj128ELj8ELj16EdEEvi20rocsparse_direction_NS_24const_host_device_scalarIT2_EEPKiS6_PKS3_S8_S4_PS3_21rocsparse_index_base_b.num_vgpr, 86
	.set _ZN9rocsparseL19gebsrmvn_4xn_kernelILj128ELj8ELj16EdEEvi20rocsparse_direction_NS_24const_host_device_scalarIT2_EEPKiS6_PKS3_S8_S4_PS3_21rocsparse_index_base_b.num_agpr, 0
	.set _ZN9rocsparseL19gebsrmvn_4xn_kernelILj128ELj8ELj16EdEEvi20rocsparse_direction_NS_24const_host_device_scalarIT2_EEPKiS6_PKS3_S8_S4_PS3_21rocsparse_index_base_b.numbered_sgpr, 16
	.set _ZN9rocsparseL19gebsrmvn_4xn_kernelILj128ELj8ELj16EdEEvi20rocsparse_direction_NS_24const_host_device_scalarIT2_EEPKiS6_PKS3_S8_S4_PS3_21rocsparse_index_base_b.num_named_barrier, 0
	.set _ZN9rocsparseL19gebsrmvn_4xn_kernelILj128ELj8ELj16EdEEvi20rocsparse_direction_NS_24const_host_device_scalarIT2_EEPKiS6_PKS3_S8_S4_PS3_21rocsparse_index_base_b.private_seg_size, 0
	.set _ZN9rocsparseL19gebsrmvn_4xn_kernelILj128ELj8ELj16EdEEvi20rocsparse_direction_NS_24const_host_device_scalarIT2_EEPKiS6_PKS3_S8_S4_PS3_21rocsparse_index_base_b.uses_vcc, 1
	.set _ZN9rocsparseL19gebsrmvn_4xn_kernelILj128ELj8ELj16EdEEvi20rocsparse_direction_NS_24const_host_device_scalarIT2_EEPKiS6_PKS3_S8_S4_PS3_21rocsparse_index_base_b.uses_flat_scratch, 0
	.set _ZN9rocsparseL19gebsrmvn_4xn_kernelILj128ELj8ELj16EdEEvi20rocsparse_direction_NS_24const_host_device_scalarIT2_EEPKiS6_PKS3_S8_S4_PS3_21rocsparse_index_base_b.has_dyn_sized_stack, 0
	.set _ZN9rocsparseL19gebsrmvn_4xn_kernelILj128ELj8ELj16EdEEvi20rocsparse_direction_NS_24const_host_device_scalarIT2_EEPKiS6_PKS3_S8_S4_PS3_21rocsparse_index_base_b.has_recursion, 0
	.set _ZN9rocsparseL19gebsrmvn_4xn_kernelILj128ELj8ELj16EdEEvi20rocsparse_direction_NS_24const_host_device_scalarIT2_EEPKiS6_PKS3_S8_S4_PS3_21rocsparse_index_base_b.has_indirect_call, 0
	.section	.AMDGPU.csdata,"",@progbits
; Kernel info:
; codeLenInByte = 1732
; TotalNumSgprs: 22
; NumVgprs: 86
; NumAgprs: 0
; TotalNumVgprs: 86
; ScratchSize: 0
; MemoryBound: 1
; FloatMode: 240
; IeeeMode: 1
; LDSByteSize: 0 bytes/workgroup (compile time only)
; SGPRBlocks: 2
; VGPRBlocks: 10
; NumSGPRsForWavesPerEU: 22
; NumVGPRsForWavesPerEU: 86
; AccumOffset: 88
; Occupancy: 5
; WaveLimiterHint : 1
; COMPUTE_PGM_RSRC2:SCRATCH_EN: 0
; COMPUTE_PGM_RSRC2:USER_SGPR: 2
; COMPUTE_PGM_RSRC2:TRAP_HANDLER: 0
; COMPUTE_PGM_RSRC2:TGID_X_EN: 1
; COMPUTE_PGM_RSRC2:TGID_Y_EN: 0
; COMPUTE_PGM_RSRC2:TGID_Z_EN: 0
; COMPUTE_PGM_RSRC2:TIDIG_COMP_CNT: 0
; COMPUTE_PGM_RSRC3_GFX90A:ACCUM_OFFSET: 21
; COMPUTE_PGM_RSRC3_GFX90A:TG_SPLIT: 0
	.section	.text._ZN9rocsparseL19gebsrmvn_4xn_kernelILj128ELj8ELj32EdEEvi20rocsparse_direction_NS_24const_host_device_scalarIT2_EEPKiS6_PKS3_S8_S4_PS3_21rocsparse_index_base_b,"axG",@progbits,_ZN9rocsparseL19gebsrmvn_4xn_kernelILj128ELj8ELj32EdEEvi20rocsparse_direction_NS_24const_host_device_scalarIT2_EEPKiS6_PKS3_S8_S4_PS3_21rocsparse_index_base_b,comdat
	.globl	_ZN9rocsparseL19gebsrmvn_4xn_kernelILj128ELj8ELj32EdEEvi20rocsparse_direction_NS_24const_host_device_scalarIT2_EEPKiS6_PKS3_S8_S4_PS3_21rocsparse_index_base_b ; -- Begin function _ZN9rocsparseL19gebsrmvn_4xn_kernelILj128ELj8ELj32EdEEvi20rocsparse_direction_NS_24const_host_device_scalarIT2_EEPKiS6_PKS3_S8_S4_PS3_21rocsparse_index_base_b
	.p2align	8
	.type	_ZN9rocsparseL19gebsrmvn_4xn_kernelILj128ELj8ELj32EdEEvi20rocsparse_direction_NS_24const_host_device_scalarIT2_EEPKiS6_PKS3_S8_S4_PS3_21rocsparse_index_base_b,@function
_ZN9rocsparseL19gebsrmvn_4xn_kernelILj128ELj8ELj32EdEEvi20rocsparse_direction_NS_24const_host_device_scalarIT2_EEPKiS6_PKS3_S8_S4_PS3_21rocsparse_index_base_b: ; @_ZN9rocsparseL19gebsrmvn_4xn_kernelILj128ELj8ELj32EdEEvi20rocsparse_direction_NS_24const_host_device_scalarIT2_EEPKiS6_PKS3_S8_S4_PS3_21rocsparse_index_base_b
; %bb.0:
	s_load_dwordx2 s[12:13], s[0:1], 0x40
	s_load_dwordx2 s[8:9], s[0:1], 0x8
	;; [unrolled: 1-line block ×3, first 2 shown]
	s_waitcnt lgkmcnt(0)
	s_bitcmp1_b32 s13, 0
	s_cselect_b64 s[10:11], -1, 0
	s_xor_b64 s[6:7], s[10:11], -1
	s_and_b64 vcc, exec, s[10:11]
	v_mov_b64_e32 v[2:3], s[8:9]
	s_cbranch_vccnz .LBB70_2
; %bb.1:
	v_mov_b64_e32 v[2:3], s[8:9]
	flat_load_dwordx2 v[2:3], v[2:3]
.LBB70_2:
	s_andn2_b64 vcc, exec, s[6:7]
	v_mov_b64_e32 v[4:5], s[4:5]
	s_cbranch_vccnz .LBB70_4
; %bb.3:
	v_mov_b64_e32 v[4:5], s[4:5]
	flat_load_dwordx2 v[4:5], v[4:5]
.LBB70_4:
	s_waitcnt vmcnt(0) lgkmcnt(0)
	v_cmp_neq_f64_e32 vcc, 0, v[2:3]
	v_cmp_neq_f64_e64 s[4:5], 1.0, v[4:5]
	s_or_b64 s[4:5], vcc, s[4:5]
	s_and_saveexec_b64 s[6:7], s[4:5]
	s_cbranch_execz .LBB70_23
; %bb.5:
	s_load_dwordx2 s[14:15], s[0:1], 0x0
	v_lshrrev_b32_e32 v1, 5, v0
	v_lshl_or_b32 v6, s2, 2, v1
	s_waitcnt lgkmcnt(0)
	v_cmp_gt_i32_e32 vcc, s14, v6
	s_and_b64 exec, exec, vcc
	s_cbranch_execz .LBB70_23
; %bb.6:
	s_load_dwordx8 s[4:11], s[0:1], 0x10
	v_ashrrev_i32_e32 v7, 31, v6
	s_cmp_lg_u32 s15, 0
	s_waitcnt lgkmcnt(0)
	v_lshl_add_u64 v[8:9], v[6:7], 2, s[4:5]
	global_load_dwordx2 v[8:9], v[8:9], off
	v_and_b32_e32 v7, 31, v0
	s_waitcnt vmcnt(0)
	v_subrev_u32_e32 v0, s12, v8
	v_subrev_u32_e32 v20, s12, v9
	v_add_u32_e32 v14, v0, v7
	v_cmp_lt_i32_e64 s[2:3], v14, v20
	s_cbranch_scc0 .LBB70_12
; %bb.7:
	v_mov_b64_e32 v[10:11], 0
	v_mov_b64_e32 v[0:1], 0
	v_mov_b64_e32 v[8:9], 0
	v_mov_b64_e32 v[12:13], 0
	s_and_saveexec_b64 s[4:5], s[2:3]
	s_cbranch_execz .LBB70_11
; %bb.8:
	v_lshlrev_b32_e32 v16, 5, v14
	v_mov_b64_e32 v[10:11], 0
	s_mov_b64 s[14:15], 0
	v_mov_b32_e32 v17, 0
	v_mov_b32_e32 v18, v14
	v_mov_b64_e32 v[0:1], 0
	v_mov_b64_e32 v[8:9], 0
	;; [unrolled: 1-line block ×3, first 2 shown]
.LBB70_9:                               ; =>This Inner Loop Header: Depth=1
	v_ashrrev_i32_e32 v19, 31, v18
	v_lshl_add_u64 v[82:83], v[16:17], 3, s[8:9]
	v_lshl_add_u64 v[72:73], v[18:19], 2, s[6:7]
	global_load_dwordx4 v[22:25], v[82:83], off offset:48
	global_load_dwordx4 v[26:29], v[82:83], off offset:32
	;; [unrolled: 1-line block ×3, first 2 shown]
	global_load_dwordx4 v[34:37], v[82:83], off
	global_load_dwordx4 v[38:41], v[82:83], off offset:112
	global_load_dwordx4 v[42:45], v[82:83], off offset:96
	;; [unrolled: 1-line block ×8, first 2 shown]
	global_load_dword v15, v[72:73], off
	v_mov_b32_e32 v71, v17
	v_add_u32_e32 v18, 32, v18
	v_cmp_ge_i32_e32 vcc, v18, v20
	v_add_u32_e32 v16, 0x400, v16
	s_or_b64 s[14:15], vcc, s[14:15]
	s_waitcnt vmcnt(0)
	v_subrev_u32_e32 v15, s12, v15
	v_lshlrev_b32_e32 v70, 3, v15
	v_lshl_add_u64 v[84:85], v[70:71], 3, s[10:11]
	global_load_dwordx4 v[70:73], v[84:85], off
	global_load_dwordx4 v[74:77], v[84:85], off offset:16
	s_waitcnt vmcnt(1)
	v_fmac_f64_e32 v[10:11], v[34:35], v[70:71]
	v_fmac_f64_e32 v[12:13], v[36:37], v[70:71]
	;; [unrolled: 1-line block ×4, first 2 shown]
	global_load_dwordx4 v[34:37], v[82:83], off offset:224
	global_load_dwordx4 v[30:33], v[82:83], off offset:208
	v_fmac_f64_e32 v[10:11], v[26:27], v[72:73]
	v_fmac_f64_e32 v[12:13], v[28:29], v[72:73]
	global_load_dwordx4 v[26:29], v[82:83], off offset:192
	v_fmac_f64_e32 v[8:9], v[22:23], v[72:73]
	v_fmac_f64_e32 v[0:1], v[24:25], v[72:73]
	global_load_dwordx4 v[22:25], v[84:85], off offset:32
	global_load_dwordx4 v[70:73], v[84:85], off offset:48
	global_load_dwordx4 v[78:81], v[82:83], off offset:240
	s_waitcnt vmcnt(6)
	v_fmac_f64_e32 v[10:11], v[50:51], v[74:75]
	v_fmac_f64_e32 v[12:13], v[52:53], v[74:75]
	;; [unrolled: 1-line block ×8, first 2 shown]
	s_waitcnt vmcnt(2)
	v_fmac_f64_e32 v[10:11], v[66:67], v[22:23]
	v_fmac_f64_e32 v[12:13], v[68:69], v[22:23]
	;; [unrolled: 1-line block ×8, first 2 shown]
	s_waitcnt vmcnt(1)
	v_fmac_f64_e32 v[10:11], v[26:27], v[70:71]
	v_fmac_f64_e32 v[12:13], v[28:29], v[70:71]
	;; [unrolled: 1-line block ×6, first 2 shown]
	s_waitcnt vmcnt(0)
	v_fmac_f64_e32 v[8:9], v[78:79], v[72:73]
	v_fmac_f64_e32 v[0:1], v[80:81], v[72:73]
	s_andn2_b64 exec, exec, s[14:15]
	s_cbranch_execnz .LBB70_9
; %bb.10:
	s_or_b64 exec, exec, s[14:15]
.LBB70_11:
	s_or_b64 exec, exec, s[4:5]
	s_cbranch_execz .LBB70_13
	s_branch .LBB70_18
.LBB70_12:
                                        ; implicit-def: $vgpr10_vgpr11
                                        ; implicit-def: $vgpr0_vgpr1
                                        ; implicit-def: $vgpr8_vgpr9
                                        ; implicit-def: $vgpr12_vgpr13
.LBB70_13:
	v_mov_b64_e32 v[10:11], 0
	v_mov_b64_e32 v[0:1], 0
	;; [unrolled: 1-line block ×4, first 2 shown]
	s_and_saveexec_b64 s[4:5], s[2:3]
	s_cbranch_execz .LBB70_17
; %bb.14:
	v_lshlrev_b32_e32 v16, 5, v14
	v_mov_b64_e32 v[10:11], 0
	s_mov_b64 s[2:3], 0
	v_mov_b32_e32 v17, 0
	v_mov_b64_e32 v[0:1], 0
	v_mov_b64_e32 v[8:9], 0
	;; [unrolled: 1-line block ×3, first 2 shown]
.LBB70_15:                              ; =>This Inner Loop Header: Depth=1
	v_ashrrev_i32_e32 v15, 31, v14
	v_lshl_add_u64 v[18:19], v[16:17], 3, s[8:9]
	v_lshl_add_u64 v[64:65], v[14:15], 2, s[6:7]
	global_load_dwordx4 v[22:25], v[18:19], off offset:16
	global_load_dwordx4 v[26:29], v[18:19], off
	global_load_dwordx4 v[30:33], v[18:19], off offset:80
	global_load_dwordx4 v[34:37], v[18:19], off offset:64
	;; [unrolled: 1-line block ×8, first 2 shown]
	global_load_dword v15, v[64:65], off
	v_mov_b32_e32 v63, v17
	v_add_u32_e32 v14, 32, v14
	v_cmp_ge_i32_e32 vcc, v14, v20
	v_add_u32_e32 v16, 0x400, v16
	s_or_b64 s[2:3], vcc, s[2:3]
	s_waitcnt vmcnt(0)
	v_subrev_u32_e32 v15, s12, v15
	v_lshlrev_b32_e32 v62, 3, v15
	v_lshl_add_u64 v[74:75], v[62:63], 3, s[10:11]
	global_load_dwordx4 v[62:65], v[74:75], off
	global_load_dwordx4 v[66:69], v[74:75], off offset:16
	s_waitcnt vmcnt(1)
	v_fmac_f64_e32 v[10:11], v[26:27], v[62:63]
	v_fmac_f64_e32 v[10:11], v[28:29], v[64:65]
	;; [unrolled: 1-line block ×5, first 2 shown]
	s_waitcnt vmcnt(0)
	v_fmac_f64_e32 v[10:11], v[22:23], v[66:67]
	global_load_dwordx4 v[26:29], v[18:19], off offset:112
	v_fmac_f64_e32 v[12:13], v[36:37], v[64:65]
	global_load_dwordx4 v[34:37], v[18:19], off offset:96
	;; [unrolled: 2-line block ×4, first 2 shown]
	global_load_dwordx4 v[62:65], v[18:19], off offset:240
	global_load_dwordx4 v[70:73], v[18:19], off offset:224
	v_fmac_f64_e32 v[10:11], v[24:25], v[68:69]
	global_load_dwordx4 v[22:25], v[74:75], off offset:32
	v_fmac_f64_e32 v[12:13], v[30:31], v[66:67]
	v_fmac_f64_e32 v[12:13], v[32:33], v[68:69]
	global_load_dwordx4 v[30:33], v[74:75], off offset:48
	v_fmac_f64_e32 v[8:9], v[38:39], v[66:67]
	v_fmac_f64_e32 v[0:1], v[46:47], v[66:67]
	v_fmac_f64_e32 v[8:9], v[40:41], v[68:69]
	v_fmac_f64_e32 v[0:1], v[48:49], v[68:69]
	s_waitcnt vmcnt(1)
	v_fmac_f64_e32 v[10:11], v[58:59], v[22:23]
	v_fmac_f64_e32 v[12:13], v[34:35], v[22:23]
	;; [unrolled: 1-line block ×8, first 2 shown]
	s_waitcnt vmcnt(0)
	v_fmac_f64_e32 v[10:11], v[54:55], v[30:31]
	v_fmac_f64_e32 v[12:13], v[26:27], v[30:31]
	;; [unrolled: 1-line block ×8, first 2 shown]
	s_andn2_b64 exec, exec, s[2:3]
	s_cbranch_execnz .LBB70_15
; %bb.16:
	s_or_b64 exec, exec, s[2:3]
.LBB70_17:
	s_or_b64 exec, exec, s[4:5]
.LBB70_18:
	v_mov_b32_dpp v16, v12 row_shr:1 row_mask:0xf bank_mask:0xf
	v_mov_b32_dpp v17, v13 row_shr:1 row_mask:0xf bank_mask:0xf
	v_add_f64 v[12:13], v[12:13], v[16:17]
	v_mov_b32_dpp v14, v10 row_shr:1 row_mask:0xf bank_mask:0xf
	v_mov_b32_dpp v15, v11 row_shr:1 row_mask:0xf bank_mask:0xf
	;; [unrolled: 1-line block ×4, first 2 shown]
	v_add_f64 v[12:13], v[12:13], v[16:17]
	v_add_f64 v[10:11], v[10:11], v[14:15]
	v_cmp_eq_u32_e32 vcc, 31, v7
	v_mov_b32_dpp v16, v12 row_shr:4 row_mask:0xf bank_mask:0xe
	v_mov_b32_dpp v17, v13 row_shr:4 row_mask:0xf bank_mask:0xe
	v_add_f64 v[12:13], v[12:13], v[16:17]
	v_mov_b32_dpp v14, v10 row_shr:2 row_mask:0xf bank_mask:0xf
	v_mov_b32_dpp v15, v11 row_shr:2 row_mask:0xf bank_mask:0xf
	;; [unrolled: 1-line block ×4, first 2 shown]
	v_add_f64 v[16:17], v[12:13], v[16:17]
	v_mov_b32_dpp v12, v8 row_shr:1 row_mask:0xf bank_mask:0xf
	v_mov_b32_dpp v13, v9 row_shr:1 row_mask:0xf bank_mask:0xf
	v_add_f64 v[8:9], v[8:9], v[12:13]
	v_add_f64 v[10:11], v[10:11], v[14:15]
	v_mov_b32_dpp v18, v16 row_bcast:15 row_mask:0xa bank_mask:0xf
	v_mov_b32_dpp v12, v8 row_shr:2 row_mask:0xf bank_mask:0xf
	v_mov_b32_dpp v13, v9 row_shr:2 row_mask:0xf bank_mask:0xf
	v_add_f64 v[8:9], v[8:9], v[12:13]
	v_mov_b32_dpp v14, v10 row_shr:4 row_mask:0xf bank_mask:0xe
	v_mov_b32_dpp v15, v11 row_shr:4 row_mask:0xf bank_mask:0xe
	;; [unrolled: 1-line block ×4, first 2 shown]
	v_add_f64 v[8:9], v[8:9], v[12:13]
	v_add_f64 v[10:11], v[10:11], v[14:15]
	v_mov_b32_dpp v19, v17 row_bcast:15 row_mask:0xa bank_mask:0xf
	v_mov_b32_dpp v12, v8 row_shr:8 row_mask:0xf bank_mask:0xc
	v_mov_b32_dpp v13, v9 row_shr:8 row_mask:0xf bank_mask:0xc
	v_add_f64 v[8:9], v[8:9], v[12:13]
	v_mov_b32_dpp v12, v0 row_shr:1 row_mask:0xf bank_mask:0xf
	v_mov_b32_dpp v13, v1 row_shr:1 row_mask:0xf bank_mask:0xf
	v_add_f64 v[0:1], v[0:1], v[12:13]
	v_mov_b32_dpp v14, v10 row_shr:8 row_mask:0xf bank_mask:0xc
	v_mov_b32_dpp v15, v11 row_shr:8 row_mask:0xf bank_mask:0xc
	;; [unrolled: 1-line block ×4, first 2 shown]
	v_add_f64 v[0:1], v[0:1], v[12:13]
	v_add_f64 v[10:11], v[10:11], v[14:15]
	v_mov_b32_dpp v20, v8 row_bcast:15 row_mask:0xa bank_mask:0xf
	v_mov_b32_dpp v12, v0 row_shr:4 row_mask:0xf bank_mask:0xe
	v_mov_b32_dpp v13, v1 row_shr:4 row_mask:0xf bank_mask:0xe
	v_add_f64 v[0:1], v[0:1], v[12:13]
	v_mov_b32_dpp v14, v10 row_bcast:15 row_mask:0xa bank_mask:0xf
	v_mov_b32_dpp v15, v11 row_bcast:15 row_mask:0xa bank_mask:0xf
	v_mov_b32_dpp v12, v0 row_shr:8 row_mask:0xf bank_mask:0xc
	v_mov_b32_dpp v13, v1 row_shr:8 row_mask:0xf bank_mask:0xc
	v_add_f64 v[22:23], v[0:1], v[12:13]
	v_mov_b32_dpp v21, v9 row_bcast:15 row_mask:0xa bank_mask:0xf
	s_nop 0
	v_mov_b32_dpp v24, v22 row_bcast:15 row_mask:0xa bank_mask:0xf
	v_mov_b32_dpp v25, v23 row_bcast:15 row_mask:0xa bank_mask:0xf
	s_and_b64 exec, exec, vcc
	s_cbranch_execz .LBB70_23
; %bb.19:
	s_load_dwordx2 s[0:1], s[0:1], 0x38
	v_add_f64 v[12:13], v[10:11], v[14:15]
	v_add_f64 v[10:11], v[16:17], v[18:19]
	;; [unrolled: 1-line block ×4, first 2 shown]
	v_cmp_eq_f64_e32 vcc, 0, v[4:5]
	s_and_saveexec_b64 s[2:3], vcc
	s_xor_b64 s[2:3], exec, s[2:3]
	s_cbranch_execz .LBB70_21
; %bb.20:
	v_lshlrev_b32_e32 v6, 2, v6
	v_ashrrev_i32_e32 v7, 31, v6
	v_mul_f64 v[4:5], v[2:3], v[12:13]
	s_waitcnt lgkmcnt(0)
	v_lshl_add_u64 v[12:13], v[6:7], 3, s[0:1]
	v_mul_f64 v[6:7], v[2:3], v[10:11]
	v_mul_f64 v[0:1], v[2:3], v[0:1]
	;; [unrolled: 1-line block ×3, first 2 shown]
	global_store_dwordx4 v[12:13], v[4:7], off
	global_store_dwordx4 v[12:13], v[0:3], off offset:16
                                        ; implicit-def: $vgpr6
                                        ; implicit-def: $vgpr2_vgpr3
                                        ; implicit-def: $vgpr12_vgpr13
                                        ; implicit-def: $vgpr4_vgpr5
                                        ; implicit-def: $vgpr10_vgpr11
                                        ; implicit-def: $vgpr0_vgpr1
                                        ; implicit-def: $vgpr8_vgpr9
.LBB70_21:
	s_andn2_saveexec_b64 s[2:3], s[2:3]
	s_cbranch_execz .LBB70_23
; %bb.22:
	v_lshlrev_b32_e32 v6, 2, v6
	v_ashrrev_i32_e32 v7, 31, v6
	s_waitcnt lgkmcnt(0)
	v_lshl_add_u64 v[6:7], v[6:7], 3, s[0:1]
	global_load_dwordx4 v[14:17], v[6:7], off
	global_load_dwordx4 v[18:21], v[6:7], off offset:16
	v_mul_f64 v[22:23], v[2:3], v[12:13]
	v_mul_f64 v[24:25], v[2:3], v[10:11]
	v_mul_f64 v[0:1], v[2:3], v[0:1]
	v_mul_f64 v[2:3], v[2:3], v[8:9]
	s_waitcnt vmcnt(1)
	v_fmac_f64_e32 v[22:23], v[4:5], v[14:15]
	v_fmac_f64_e32 v[24:25], v[4:5], v[16:17]
	s_waitcnt vmcnt(0)
	v_fmac_f64_e32 v[0:1], v[4:5], v[18:19]
	v_fmac_f64_e32 v[2:3], v[4:5], v[20:21]
	global_store_dwordx4 v[6:7], v[22:25], off
	global_store_dwordx4 v[6:7], v[0:3], off offset:16
.LBB70_23:
	s_endpgm
	.section	.rodata,"a",@progbits
	.p2align	6, 0x0
	.amdhsa_kernel _ZN9rocsparseL19gebsrmvn_4xn_kernelILj128ELj8ELj32EdEEvi20rocsparse_direction_NS_24const_host_device_scalarIT2_EEPKiS6_PKS3_S8_S4_PS3_21rocsparse_index_base_b
		.amdhsa_group_segment_fixed_size 0
		.amdhsa_private_segment_fixed_size 0
		.amdhsa_kernarg_size 72
		.amdhsa_user_sgpr_count 2
		.amdhsa_user_sgpr_dispatch_ptr 0
		.amdhsa_user_sgpr_queue_ptr 0
		.amdhsa_user_sgpr_kernarg_segment_ptr 1
		.amdhsa_user_sgpr_dispatch_id 0
		.amdhsa_user_sgpr_kernarg_preload_length 0
		.amdhsa_user_sgpr_kernarg_preload_offset 0
		.amdhsa_user_sgpr_private_segment_size 0
		.amdhsa_uses_dynamic_stack 0
		.amdhsa_enable_private_segment 0
		.amdhsa_system_sgpr_workgroup_id_x 1
		.amdhsa_system_sgpr_workgroup_id_y 0
		.amdhsa_system_sgpr_workgroup_id_z 0
		.amdhsa_system_sgpr_workgroup_info 0
		.amdhsa_system_vgpr_workitem_id 0
		.amdhsa_next_free_vgpr 86
		.amdhsa_next_free_sgpr 16
		.amdhsa_accum_offset 88
		.amdhsa_reserve_vcc 1
		.amdhsa_float_round_mode_32 0
		.amdhsa_float_round_mode_16_64 0
		.amdhsa_float_denorm_mode_32 3
		.amdhsa_float_denorm_mode_16_64 3
		.amdhsa_dx10_clamp 1
		.amdhsa_ieee_mode 1
		.amdhsa_fp16_overflow 0
		.amdhsa_tg_split 0
		.amdhsa_exception_fp_ieee_invalid_op 0
		.amdhsa_exception_fp_denorm_src 0
		.amdhsa_exception_fp_ieee_div_zero 0
		.amdhsa_exception_fp_ieee_overflow 0
		.amdhsa_exception_fp_ieee_underflow 0
		.amdhsa_exception_fp_ieee_inexact 0
		.amdhsa_exception_int_div_zero 0
	.end_amdhsa_kernel
	.section	.text._ZN9rocsparseL19gebsrmvn_4xn_kernelILj128ELj8ELj32EdEEvi20rocsparse_direction_NS_24const_host_device_scalarIT2_EEPKiS6_PKS3_S8_S4_PS3_21rocsparse_index_base_b,"axG",@progbits,_ZN9rocsparseL19gebsrmvn_4xn_kernelILj128ELj8ELj32EdEEvi20rocsparse_direction_NS_24const_host_device_scalarIT2_EEPKiS6_PKS3_S8_S4_PS3_21rocsparse_index_base_b,comdat
.Lfunc_end70:
	.size	_ZN9rocsparseL19gebsrmvn_4xn_kernelILj128ELj8ELj32EdEEvi20rocsparse_direction_NS_24const_host_device_scalarIT2_EEPKiS6_PKS3_S8_S4_PS3_21rocsparse_index_base_b, .Lfunc_end70-_ZN9rocsparseL19gebsrmvn_4xn_kernelILj128ELj8ELj32EdEEvi20rocsparse_direction_NS_24const_host_device_scalarIT2_EEPKiS6_PKS3_S8_S4_PS3_21rocsparse_index_base_b
                                        ; -- End function
	.set _ZN9rocsparseL19gebsrmvn_4xn_kernelILj128ELj8ELj32EdEEvi20rocsparse_direction_NS_24const_host_device_scalarIT2_EEPKiS6_PKS3_S8_S4_PS3_21rocsparse_index_base_b.num_vgpr, 86
	.set _ZN9rocsparseL19gebsrmvn_4xn_kernelILj128ELj8ELj32EdEEvi20rocsparse_direction_NS_24const_host_device_scalarIT2_EEPKiS6_PKS3_S8_S4_PS3_21rocsparse_index_base_b.num_agpr, 0
	.set _ZN9rocsparseL19gebsrmvn_4xn_kernelILj128ELj8ELj32EdEEvi20rocsparse_direction_NS_24const_host_device_scalarIT2_EEPKiS6_PKS3_S8_S4_PS3_21rocsparse_index_base_b.numbered_sgpr, 16
	.set _ZN9rocsparseL19gebsrmvn_4xn_kernelILj128ELj8ELj32EdEEvi20rocsparse_direction_NS_24const_host_device_scalarIT2_EEPKiS6_PKS3_S8_S4_PS3_21rocsparse_index_base_b.num_named_barrier, 0
	.set _ZN9rocsparseL19gebsrmvn_4xn_kernelILj128ELj8ELj32EdEEvi20rocsparse_direction_NS_24const_host_device_scalarIT2_EEPKiS6_PKS3_S8_S4_PS3_21rocsparse_index_base_b.private_seg_size, 0
	.set _ZN9rocsparseL19gebsrmvn_4xn_kernelILj128ELj8ELj32EdEEvi20rocsparse_direction_NS_24const_host_device_scalarIT2_EEPKiS6_PKS3_S8_S4_PS3_21rocsparse_index_base_b.uses_vcc, 1
	.set _ZN9rocsparseL19gebsrmvn_4xn_kernelILj128ELj8ELj32EdEEvi20rocsparse_direction_NS_24const_host_device_scalarIT2_EEPKiS6_PKS3_S8_S4_PS3_21rocsparse_index_base_b.uses_flat_scratch, 0
	.set _ZN9rocsparseL19gebsrmvn_4xn_kernelILj128ELj8ELj32EdEEvi20rocsparse_direction_NS_24const_host_device_scalarIT2_EEPKiS6_PKS3_S8_S4_PS3_21rocsparse_index_base_b.has_dyn_sized_stack, 0
	.set _ZN9rocsparseL19gebsrmvn_4xn_kernelILj128ELj8ELj32EdEEvi20rocsparse_direction_NS_24const_host_device_scalarIT2_EEPKiS6_PKS3_S8_S4_PS3_21rocsparse_index_base_b.has_recursion, 0
	.set _ZN9rocsparseL19gebsrmvn_4xn_kernelILj128ELj8ELj32EdEEvi20rocsparse_direction_NS_24const_host_device_scalarIT2_EEPKiS6_PKS3_S8_S4_PS3_21rocsparse_index_base_b.has_indirect_call, 0
	.section	.AMDGPU.csdata,"",@progbits
; Kernel info:
; codeLenInByte = 1832
; TotalNumSgprs: 22
; NumVgprs: 86
; NumAgprs: 0
; TotalNumVgprs: 86
; ScratchSize: 0
; MemoryBound: 1
; FloatMode: 240
; IeeeMode: 1
; LDSByteSize: 0 bytes/workgroup (compile time only)
; SGPRBlocks: 2
; VGPRBlocks: 10
; NumSGPRsForWavesPerEU: 22
; NumVGPRsForWavesPerEU: 86
; AccumOffset: 88
; Occupancy: 5
; WaveLimiterHint : 1
; COMPUTE_PGM_RSRC2:SCRATCH_EN: 0
; COMPUTE_PGM_RSRC2:USER_SGPR: 2
; COMPUTE_PGM_RSRC2:TRAP_HANDLER: 0
; COMPUTE_PGM_RSRC2:TGID_X_EN: 1
; COMPUTE_PGM_RSRC2:TGID_Y_EN: 0
; COMPUTE_PGM_RSRC2:TGID_Z_EN: 0
; COMPUTE_PGM_RSRC2:TIDIG_COMP_CNT: 0
; COMPUTE_PGM_RSRC3_GFX90A:ACCUM_OFFSET: 21
; COMPUTE_PGM_RSRC3_GFX90A:TG_SPLIT: 0
	.section	.text._ZN9rocsparseL19gebsrmvn_4xn_kernelILj128ELj8ELj64EdEEvi20rocsparse_direction_NS_24const_host_device_scalarIT2_EEPKiS6_PKS3_S8_S4_PS3_21rocsparse_index_base_b,"axG",@progbits,_ZN9rocsparseL19gebsrmvn_4xn_kernelILj128ELj8ELj64EdEEvi20rocsparse_direction_NS_24const_host_device_scalarIT2_EEPKiS6_PKS3_S8_S4_PS3_21rocsparse_index_base_b,comdat
	.globl	_ZN9rocsparseL19gebsrmvn_4xn_kernelILj128ELj8ELj64EdEEvi20rocsparse_direction_NS_24const_host_device_scalarIT2_EEPKiS6_PKS3_S8_S4_PS3_21rocsparse_index_base_b ; -- Begin function _ZN9rocsparseL19gebsrmvn_4xn_kernelILj128ELj8ELj64EdEEvi20rocsparse_direction_NS_24const_host_device_scalarIT2_EEPKiS6_PKS3_S8_S4_PS3_21rocsparse_index_base_b
	.p2align	8
	.type	_ZN9rocsparseL19gebsrmvn_4xn_kernelILj128ELj8ELj64EdEEvi20rocsparse_direction_NS_24const_host_device_scalarIT2_EEPKiS6_PKS3_S8_S4_PS3_21rocsparse_index_base_b,@function
_ZN9rocsparseL19gebsrmvn_4xn_kernelILj128ELj8ELj64EdEEvi20rocsparse_direction_NS_24const_host_device_scalarIT2_EEPKiS6_PKS3_S8_S4_PS3_21rocsparse_index_base_b: ; @_ZN9rocsparseL19gebsrmvn_4xn_kernelILj128ELj8ELj64EdEEvi20rocsparse_direction_NS_24const_host_device_scalarIT2_EEPKiS6_PKS3_S8_S4_PS3_21rocsparse_index_base_b
; %bb.0:
	s_load_dwordx2 s[12:13], s[0:1], 0x40
	s_load_dwordx2 s[8:9], s[0:1], 0x8
	;; [unrolled: 1-line block ×3, first 2 shown]
	s_waitcnt lgkmcnt(0)
	s_bitcmp1_b32 s13, 0
	s_cselect_b64 s[10:11], -1, 0
	s_xor_b64 s[6:7], s[10:11], -1
	s_and_b64 vcc, exec, s[10:11]
	v_mov_b64_e32 v[2:3], s[8:9]
	s_cbranch_vccnz .LBB71_2
; %bb.1:
	v_mov_b64_e32 v[2:3], s[8:9]
	flat_load_dwordx2 v[2:3], v[2:3]
.LBB71_2:
	s_andn2_b64 vcc, exec, s[6:7]
	v_mov_b64_e32 v[4:5], s[4:5]
	s_cbranch_vccnz .LBB71_4
; %bb.3:
	v_mov_b64_e32 v[4:5], s[4:5]
	flat_load_dwordx2 v[4:5], v[4:5]
.LBB71_4:
	s_waitcnt vmcnt(0) lgkmcnt(0)
	v_cmp_neq_f64_e32 vcc, 0, v[2:3]
	v_cmp_neq_f64_e64 s[4:5], 1.0, v[4:5]
	s_or_b64 s[4:5], vcc, s[4:5]
	s_and_saveexec_b64 s[6:7], s[4:5]
	s_cbranch_execz .LBB71_23
; %bb.5:
	s_load_dwordx2 s[14:15], s[0:1], 0x0
	v_lshrrev_b32_e32 v1, 6, v0
	v_lshl_or_b32 v6, s2, 1, v1
	s_waitcnt lgkmcnt(0)
	v_cmp_gt_i32_e32 vcc, s14, v6
	s_and_b64 exec, exec, vcc
	s_cbranch_execz .LBB71_23
; %bb.6:
	s_load_dwordx8 s[4:11], s[0:1], 0x10
	v_ashrrev_i32_e32 v7, 31, v6
	s_cmp_lg_u32 s15, 0
	s_waitcnt lgkmcnt(0)
	v_lshl_add_u64 v[8:9], v[6:7], 2, s[4:5]
	global_load_dwordx2 v[8:9], v[8:9], off
	v_and_b32_e32 v7, 63, v0
	s_waitcnt vmcnt(0)
	v_subrev_u32_e32 v0, s12, v8
	v_subrev_u32_e32 v20, s12, v9
	v_add_u32_e32 v14, v0, v7
	v_cmp_lt_i32_e64 s[2:3], v14, v20
	s_cbranch_scc0 .LBB71_12
; %bb.7:
	v_mov_b64_e32 v[10:11], 0
	v_mov_b64_e32 v[0:1], 0
	;; [unrolled: 1-line block ×4, first 2 shown]
	s_and_saveexec_b64 s[4:5], s[2:3]
	s_cbranch_execz .LBB71_11
; %bb.8:
	v_lshlrev_b32_e32 v16, 5, v14
	v_mov_b64_e32 v[10:11], 0
	s_mov_b64 s[14:15], 0
	v_mov_b32_e32 v17, 0
	v_mov_b32_e32 v18, v14
	v_mov_b64_e32 v[0:1], 0
	v_mov_b64_e32 v[8:9], 0
	;; [unrolled: 1-line block ×3, first 2 shown]
.LBB71_9:                               ; =>This Inner Loop Header: Depth=1
	v_ashrrev_i32_e32 v19, 31, v18
	v_lshl_add_u64 v[82:83], v[16:17], 3, s[8:9]
	v_lshl_add_u64 v[72:73], v[18:19], 2, s[6:7]
	global_load_dwordx4 v[22:25], v[82:83], off offset:48
	global_load_dwordx4 v[26:29], v[82:83], off offset:32
	;; [unrolled: 1-line block ×3, first 2 shown]
	global_load_dwordx4 v[34:37], v[82:83], off
	global_load_dwordx4 v[38:41], v[82:83], off offset:112
	global_load_dwordx4 v[42:45], v[82:83], off offset:96
	;; [unrolled: 1-line block ×8, first 2 shown]
	global_load_dword v15, v[72:73], off
	v_mov_b32_e32 v71, v17
	v_add_u32_e32 v18, 64, v18
	v_cmp_ge_i32_e32 vcc, v18, v20
	v_add_u32_e32 v16, 0x800, v16
	s_or_b64 s[14:15], vcc, s[14:15]
	s_waitcnt vmcnt(0)
	v_subrev_u32_e32 v15, s12, v15
	v_lshlrev_b32_e32 v70, 3, v15
	v_lshl_add_u64 v[84:85], v[70:71], 3, s[10:11]
	global_load_dwordx4 v[70:73], v[84:85], off
	global_load_dwordx4 v[74:77], v[84:85], off offset:16
	s_waitcnt vmcnt(1)
	v_fmac_f64_e32 v[10:11], v[34:35], v[70:71]
	v_fmac_f64_e32 v[12:13], v[36:37], v[70:71]
	;; [unrolled: 1-line block ×4, first 2 shown]
	global_load_dwordx4 v[34:37], v[82:83], off offset:224
	global_load_dwordx4 v[30:33], v[82:83], off offset:208
	v_fmac_f64_e32 v[10:11], v[26:27], v[72:73]
	v_fmac_f64_e32 v[12:13], v[28:29], v[72:73]
	global_load_dwordx4 v[26:29], v[82:83], off offset:192
	v_fmac_f64_e32 v[8:9], v[22:23], v[72:73]
	v_fmac_f64_e32 v[0:1], v[24:25], v[72:73]
	global_load_dwordx4 v[22:25], v[84:85], off offset:32
	global_load_dwordx4 v[70:73], v[84:85], off offset:48
	;; [unrolled: 1-line block ×3, first 2 shown]
	s_waitcnt vmcnt(6)
	v_fmac_f64_e32 v[10:11], v[50:51], v[74:75]
	v_fmac_f64_e32 v[12:13], v[52:53], v[74:75]
	;; [unrolled: 1-line block ×8, first 2 shown]
	s_waitcnt vmcnt(2)
	v_fmac_f64_e32 v[10:11], v[66:67], v[22:23]
	v_fmac_f64_e32 v[12:13], v[68:69], v[22:23]
	;; [unrolled: 1-line block ×8, first 2 shown]
	s_waitcnt vmcnt(1)
	v_fmac_f64_e32 v[10:11], v[26:27], v[70:71]
	v_fmac_f64_e32 v[12:13], v[28:29], v[70:71]
	;; [unrolled: 1-line block ×6, first 2 shown]
	s_waitcnt vmcnt(0)
	v_fmac_f64_e32 v[8:9], v[78:79], v[72:73]
	v_fmac_f64_e32 v[0:1], v[80:81], v[72:73]
	s_andn2_b64 exec, exec, s[14:15]
	s_cbranch_execnz .LBB71_9
; %bb.10:
	s_or_b64 exec, exec, s[14:15]
.LBB71_11:
	s_or_b64 exec, exec, s[4:5]
	s_cbranch_execz .LBB71_13
	s_branch .LBB71_18
.LBB71_12:
                                        ; implicit-def: $vgpr10_vgpr11
                                        ; implicit-def: $vgpr0_vgpr1
                                        ; implicit-def: $vgpr8_vgpr9
                                        ; implicit-def: $vgpr12_vgpr13
.LBB71_13:
	v_mov_b64_e32 v[10:11], 0
	v_mov_b64_e32 v[0:1], 0
	;; [unrolled: 1-line block ×4, first 2 shown]
	s_and_saveexec_b64 s[4:5], s[2:3]
	s_cbranch_execz .LBB71_17
; %bb.14:
	v_lshlrev_b32_e32 v16, 5, v14
	v_mov_b64_e32 v[10:11], 0
	s_mov_b64 s[2:3], 0
	v_mov_b32_e32 v17, 0
	v_mov_b64_e32 v[0:1], 0
	v_mov_b64_e32 v[8:9], 0
	;; [unrolled: 1-line block ×3, first 2 shown]
.LBB71_15:                              ; =>This Inner Loop Header: Depth=1
	v_ashrrev_i32_e32 v15, 31, v14
	v_lshl_add_u64 v[18:19], v[16:17], 3, s[8:9]
	v_lshl_add_u64 v[64:65], v[14:15], 2, s[6:7]
	global_load_dwordx4 v[22:25], v[18:19], off offset:16
	global_load_dwordx4 v[26:29], v[18:19], off
	global_load_dwordx4 v[30:33], v[18:19], off offset:80
	global_load_dwordx4 v[34:37], v[18:19], off offset:64
	;; [unrolled: 1-line block ×8, first 2 shown]
	global_load_dword v15, v[64:65], off
	v_mov_b32_e32 v63, v17
	v_add_u32_e32 v14, 64, v14
	v_cmp_ge_i32_e32 vcc, v14, v20
	v_add_u32_e32 v16, 0x800, v16
	s_or_b64 s[2:3], vcc, s[2:3]
	s_waitcnt vmcnt(0)
	v_subrev_u32_e32 v15, s12, v15
	v_lshlrev_b32_e32 v62, 3, v15
	v_lshl_add_u64 v[74:75], v[62:63], 3, s[10:11]
	global_load_dwordx4 v[62:65], v[74:75], off
	global_load_dwordx4 v[66:69], v[74:75], off offset:16
	s_waitcnt vmcnt(1)
	v_fmac_f64_e32 v[10:11], v[26:27], v[62:63]
	v_fmac_f64_e32 v[10:11], v[28:29], v[64:65]
	;; [unrolled: 1-line block ×5, first 2 shown]
	s_waitcnt vmcnt(0)
	v_fmac_f64_e32 v[10:11], v[22:23], v[66:67]
	global_load_dwordx4 v[26:29], v[18:19], off offset:112
	v_fmac_f64_e32 v[12:13], v[36:37], v[64:65]
	global_load_dwordx4 v[34:37], v[18:19], off offset:96
	;; [unrolled: 2-line block ×4, first 2 shown]
	global_load_dwordx4 v[62:65], v[18:19], off offset:240
	global_load_dwordx4 v[70:73], v[18:19], off offset:224
	v_fmac_f64_e32 v[10:11], v[24:25], v[68:69]
	global_load_dwordx4 v[22:25], v[74:75], off offset:32
	v_fmac_f64_e32 v[12:13], v[30:31], v[66:67]
	v_fmac_f64_e32 v[12:13], v[32:33], v[68:69]
	global_load_dwordx4 v[30:33], v[74:75], off offset:48
	v_fmac_f64_e32 v[8:9], v[38:39], v[66:67]
	v_fmac_f64_e32 v[0:1], v[46:47], v[66:67]
	;; [unrolled: 1-line block ×4, first 2 shown]
	s_waitcnt vmcnt(1)
	v_fmac_f64_e32 v[10:11], v[58:59], v[22:23]
	v_fmac_f64_e32 v[12:13], v[34:35], v[22:23]
	;; [unrolled: 1-line block ×8, first 2 shown]
	s_waitcnt vmcnt(0)
	v_fmac_f64_e32 v[10:11], v[54:55], v[30:31]
	v_fmac_f64_e32 v[12:13], v[26:27], v[30:31]
	;; [unrolled: 1-line block ×8, first 2 shown]
	s_andn2_b64 exec, exec, s[2:3]
	s_cbranch_execnz .LBB71_15
; %bb.16:
	s_or_b64 exec, exec, s[2:3]
.LBB71_17:
	s_or_b64 exec, exec, s[4:5]
.LBB71_18:
	v_mov_b32_dpp v14, v10 row_shr:1 row_mask:0xf bank_mask:0xf
	v_mov_b32_dpp v15, v11 row_shr:1 row_mask:0xf bank_mask:0xf
	v_mov_b32_dpp v16, v12 row_shr:1 row_mask:0xf bank_mask:0xf
	v_mov_b32_dpp v17, v13 row_shr:1 row_mask:0xf bank_mask:0xf
	v_mov_b32_dpp v18, v8 row_shr:1 row_mask:0xf bank_mask:0xf
	v_mov_b32_dpp v19, v9 row_shr:1 row_mask:0xf bank_mask:0xf
	v_mov_b32_dpp v20, v0 row_shr:1 row_mask:0xf bank_mask:0xf
	v_mov_b32_dpp v21, v1 row_shr:1 row_mask:0xf bank_mask:0xf
	v_add_f64 v[10:11], v[10:11], v[14:15]
	v_add_f64 v[12:13], v[12:13], v[16:17]
	v_add_f64 v[8:9], v[8:9], v[18:19]
	v_add_f64 v[0:1], v[0:1], v[20:21]
	v_mov_b32_dpp v14, v10 row_shr:2 row_mask:0xf bank_mask:0xf
	v_mov_b32_dpp v15, v11 row_shr:2 row_mask:0xf bank_mask:0xf
	v_mov_b32_dpp v16, v12 row_shr:2 row_mask:0xf bank_mask:0xf
	v_mov_b32_dpp v17, v13 row_shr:2 row_mask:0xf bank_mask:0xf
	v_mov_b32_dpp v18, v8 row_shr:2 row_mask:0xf bank_mask:0xf
	v_mov_b32_dpp v19, v9 row_shr:2 row_mask:0xf bank_mask:0xf
	v_mov_b32_dpp v20, v0 row_shr:2 row_mask:0xf bank_mask:0xf
	v_mov_b32_dpp v21, v1 row_shr:2 row_mask:0xf bank_mask:0xf
	v_add_f64 v[10:11], v[10:11], v[14:15]
	v_add_f64 v[12:13], v[12:13], v[16:17]
	v_add_f64 v[8:9], v[8:9], v[18:19]
	v_add_f64 v[0:1], v[0:1], v[20:21]
	;; [unrolled: 12-line block ×4, first 2 shown]
	v_mov_b32_dpp v14, v10 row_bcast:15 row_mask:0xa bank_mask:0xf
	v_mov_b32_dpp v15, v11 row_bcast:15 row_mask:0xa bank_mask:0xf
	;; [unrolled: 1-line block ×8, first 2 shown]
	v_add_f64 v[10:11], v[10:11], v[14:15]
	v_add_f64 v[12:13], v[12:13], v[16:17]
	;; [unrolled: 1-line block ×4, first 2 shown]
	v_mov_b32_dpp v14, v10 row_bcast:31 row_mask:0xc bank_mask:0xf
	v_mov_b32_dpp v15, v11 row_bcast:31 row_mask:0xc bank_mask:0xf
	;; [unrolled: 1-line block ×8, first 2 shown]
	v_cmp_eq_u32_e32 vcc, 63, v7
	s_and_b64 exec, exec, vcc
	s_cbranch_execz .LBB71_23
; %bb.19:
	s_load_dwordx2 s[0:1], s[0:1], 0x38
	v_add_f64 v[14:15], v[10:11], v[14:15]
	v_add_f64 v[10:11], v[12:13], v[16:17]
	;; [unrolled: 1-line block ×4, first 2 shown]
	v_cmp_eq_f64_e32 vcc, 0, v[4:5]
	s_and_saveexec_b64 s[2:3], vcc
	s_xor_b64 s[2:3], exec, s[2:3]
	s_cbranch_execz .LBB71_21
; %bb.20:
	v_lshlrev_b32_e32 v6, 2, v6
	v_ashrrev_i32_e32 v7, 31, v6
	v_mul_f64 v[4:5], v[2:3], v[14:15]
	s_waitcnt lgkmcnt(0)
	v_lshl_add_u64 v[12:13], v[6:7], 3, s[0:1]
	v_mul_f64 v[6:7], v[2:3], v[10:11]
	v_mul_f64 v[0:1], v[2:3], v[0:1]
	;; [unrolled: 1-line block ×3, first 2 shown]
	global_store_dwordx4 v[12:13], v[4:7], off
	global_store_dwordx4 v[12:13], v[0:3], off offset:16
                                        ; implicit-def: $vgpr6
                                        ; implicit-def: $vgpr2_vgpr3
                                        ; implicit-def: $vgpr14_vgpr15
                                        ; implicit-def: $vgpr4_vgpr5
                                        ; implicit-def: $vgpr10_vgpr11
                                        ; implicit-def: $vgpr0_vgpr1
                                        ; implicit-def: $vgpr8_vgpr9
.LBB71_21:
	s_andn2_saveexec_b64 s[2:3], s[2:3]
	s_cbranch_execz .LBB71_23
; %bb.22:
	v_lshlrev_b32_e32 v6, 2, v6
	v_ashrrev_i32_e32 v7, 31, v6
	s_waitcnt lgkmcnt(0)
	v_lshl_add_u64 v[6:7], v[6:7], 3, s[0:1]
	global_load_dwordx4 v[16:19], v[6:7], off
	global_load_dwordx4 v[20:23], v[6:7], off offset:16
	v_mul_f64 v[12:13], v[2:3], v[14:15]
	v_mul_f64 v[14:15], v[2:3], v[10:11]
	;; [unrolled: 1-line block ×4, first 2 shown]
	s_waitcnt vmcnt(1)
	v_fmac_f64_e32 v[12:13], v[4:5], v[16:17]
	v_fmac_f64_e32 v[14:15], v[4:5], v[18:19]
	s_waitcnt vmcnt(0)
	v_fmac_f64_e32 v[0:1], v[4:5], v[20:21]
	v_fmac_f64_e32 v[2:3], v[4:5], v[22:23]
	global_store_dwordx4 v[6:7], v[12:15], off
	global_store_dwordx4 v[6:7], v[0:3], off offset:16
.LBB71_23:
	s_endpgm
	.section	.rodata,"a",@progbits
	.p2align	6, 0x0
	.amdhsa_kernel _ZN9rocsparseL19gebsrmvn_4xn_kernelILj128ELj8ELj64EdEEvi20rocsparse_direction_NS_24const_host_device_scalarIT2_EEPKiS6_PKS3_S8_S4_PS3_21rocsparse_index_base_b
		.amdhsa_group_segment_fixed_size 0
		.amdhsa_private_segment_fixed_size 0
		.amdhsa_kernarg_size 72
		.amdhsa_user_sgpr_count 2
		.amdhsa_user_sgpr_dispatch_ptr 0
		.amdhsa_user_sgpr_queue_ptr 0
		.amdhsa_user_sgpr_kernarg_segment_ptr 1
		.amdhsa_user_sgpr_dispatch_id 0
		.amdhsa_user_sgpr_kernarg_preload_length 0
		.amdhsa_user_sgpr_kernarg_preload_offset 0
		.amdhsa_user_sgpr_private_segment_size 0
		.amdhsa_uses_dynamic_stack 0
		.amdhsa_enable_private_segment 0
		.amdhsa_system_sgpr_workgroup_id_x 1
		.amdhsa_system_sgpr_workgroup_id_y 0
		.amdhsa_system_sgpr_workgroup_id_z 0
		.amdhsa_system_sgpr_workgroup_info 0
		.amdhsa_system_vgpr_workitem_id 0
		.amdhsa_next_free_vgpr 86
		.amdhsa_next_free_sgpr 16
		.amdhsa_accum_offset 88
		.amdhsa_reserve_vcc 1
		.amdhsa_float_round_mode_32 0
		.amdhsa_float_round_mode_16_64 0
		.amdhsa_float_denorm_mode_32 3
		.amdhsa_float_denorm_mode_16_64 3
		.amdhsa_dx10_clamp 1
		.amdhsa_ieee_mode 1
		.amdhsa_fp16_overflow 0
		.amdhsa_tg_split 0
		.amdhsa_exception_fp_ieee_invalid_op 0
		.amdhsa_exception_fp_denorm_src 0
		.amdhsa_exception_fp_ieee_div_zero 0
		.amdhsa_exception_fp_ieee_overflow 0
		.amdhsa_exception_fp_ieee_underflow 0
		.amdhsa_exception_fp_ieee_inexact 0
		.amdhsa_exception_int_div_zero 0
	.end_amdhsa_kernel
	.section	.text._ZN9rocsparseL19gebsrmvn_4xn_kernelILj128ELj8ELj64EdEEvi20rocsparse_direction_NS_24const_host_device_scalarIT2_EEPKiS6_PKS3_S8_S4_PS3_21rocsparse_index_base_b,"axG",@progbits,_ZN9rocsparseL19gebsrmvn_4xn_kernelILj128ELj8ELj64EdEEvi20rocsparse_direction_NS_24const_host_device_scalarIT2_EEPKiS6_PKS3_S8_S4_PS3_21rocsparse_index_base_b,comdat
.Lfunc_end71:
	.size	_ZN9rocsparseL19gebsrmvn_4xn_kernelILj128ELj8ELj64EdEEvi20rocsparse_direction_NS_24const_host_device_scalarIT2_EEPKiS6_PKS3_S8_S4_PS3_21rocsparse_index_base_b, .Lfunc_end71-_ZN9rocsparseL19gebsrmvn_4xn_kernelILj128ELj8ELj64EdEEvi20rocsparse_direction_NS_24const_host_device_scalarIT2_EEPKiS6_PKS3_S8_S4_PS3_21rocsparse_index_base_b
                                        ; -- End function
	.set _ZN9rocsparseL19gebsrmvn_4xn_kernelILj128ELj8ELj64EdEEvi20rocsparse_direction_NS_24const_host_device_scalarIT2_EEPKiS6_PKS3_S8_S4_PS3_21rocsparse_index_base_b.num_vgpr, 86
	.set _ZN9rocsparseL19gebsrmvn_4xn_kernelILj128ELj8ELj64EdEEvi20rocsparse_direction_NS_24const_host_device_scalarIT2_EEPKiS6_PKS3_S8_S4_PS3_21rocsparse_index_base_b.num_agpr, 0
	.set _ZN9rocsparseL19gebsrmvn_4xn_kernelILj128ELj8ELj64EdEEvi20rocsparse_direction_NS_24const_host_device_scalarIT2_EEPKiS6_PKS3_S8_S4_PS3_21rocsparse_index_base_b.numbered_sgpr, 16
	.set _ZN9rocsparseL19gebsrmvn_4xn_kernelILj128ELj8ELj64EdEEvi20rocsparse_direction_NS_24const_host_device_scalarIT2_EEPKiS6_PKS3_S8_S4_PS3_21rocsparse_index_base_b.num_named_barrier, 0
	.set _ZN9rocsparseL19gebsrmvn_4xn_kernelILj128ELj8ELj64EdEEvi20rocsparse_direction_NS_24const_host_device_scalarIT2_EEPKiS6_PKS3_S8_S4_PS3_21rocsparse_index_base_b.private_seg_size, 0
	.set _ZN9rocsparseL19gebsrmvn_4xn_kernelILj128ELj8ELj64EdEEvi20rocsparse_direction_NS_24const_host_device_scalarIT2_EEPKiS6_PKS3_S8_S4_PS3_21rocsparse_index_base_b.uses_vcc, 1
	.set _ZN9rocsparseL19gebsrmvn_4xn_kernelILj128ELj8ELj64EdEEvi20rocsparse_direction_NS_24const_host_device_scalarIT2_EEPKiS6_PKS3_S8_S4_PS3_21rocsparse_index_base_b.uses_flat_scratch, 0
	.set _ZN9rocsparseL19gebsrmvn_4xn_kernelILj128ELj8ELj64EdEEvi20rocsparse_direction_NS_24const_host_device_scalarIT2_EEPKiS6_PKS3_S8_S4_PS3_21rocsparse_index_base_b.has_dyn_sized_stack, 0
	.set _ZN9rocsparseL19gebsrmvn_4xn_kernelILj128ELj8ELj64EdEEvi20rocsparse_direction_NS_24const_host_device_scalarIT2_EEPKiS6_PKS3_S8_S4_PS3_21rocsparse_index_base_b.has_recursion, 0
	.set _ZN9rocsparseL19gebsrmvn_4xn_kernelILj128ELj8ELj64EdEEvi20rocsparse_direction_NS_24const_host_device_scalarIT2_EEPKiS6_PKS3_S8_S4_PS3_21rocsparse_index_base_b.has_indirect_call, 0
	.section	.AMDGPU.csdata,"",@progbits
; Kernel info:
; codeLenInByte = 1924
; TotalNumSgprs: 22
; NumVgprs: 86
; NumAgprs: 0
; TotalNumVgprs: 86
; ScratchSize: 0
; MemoryBound: 1
; FloatMode: 240
; IeeeMode: 1
; LDSByteSize: 0 bytes/workgroup (compile time only)
; SGPRBlocks: 2
; VGPRBlocks: 10
; NumSGPRsForWavesPerEU: 22
; NumVGPRsForWavesPerEU: 86
; AccumOffset: 88
; Occupancy: 5
; WaveLimiterHint : 1
; COMPUTE_PGM_RSRC2:SCRATCH_EN: 0
; COMPUTE_PGM_RSRC2:USER_SGPR: 2
; COMPUTE_PGM_RSRC2:TRAP_HANDLER: 0
; COMPUTE_PGM_RSRC2:TGID_X_EN: 1
; COMPUTE_PGM_RSRC2:TGID_Y_EN: 0
; COMPUTE_PGM_RSRC2:TGID_Z_EN: 0
; COMPUTE_PGM_RSRC2:TIDIG_COMP_CNT: 0
; COMPUTE_PGM_RSRC3_GFX90A:ACCUM_OFFSET: 21
; COMPUTE_PGM_RSRC3_GFX90A:TG_SPLIT: 0
	.section	.text._ZN9rocsparseL23gebsrmvn_general_kernelILj64ELj16EdEEvi20rocsparse_direction_NS_24const_host_device_scalarIT1_EEPKiS6_PKS3_iiS8_S4_PS3_21rocsparse_index_base_b,"axG",@progbits,_ZN9rocsparseL23gebsrmvn_general_kernelILj64ELj16EdEEvi20rocsparse_direction_NS_24const_host_device_scalarIT1_EEPKiS6_PKS3_iiS8_S4_PS3_21rocsparse_index_base_b,comdat
	.globl	_ZN9rocsparseL23gebsrmvn_general_kernelILj64ELj16EdEEvi20rocsparse_direction_NS_24const_host_device_scalarIT1_EEPKiS6_PKS3_iiS8_S4_PS3_21rocsparse_index_base_b ; -- Begin function _ZN9rocsparseL23gebsrmvn_general_kernelILj64ELj16EdEEvi20rocsparse_direction_NS_24const_host_device_scalarIT1_EEPKiS6_PKS3_iiS8_S4_PS3_21rocsparse_index_base_b
	.p2align	8
	.type	_ZN9rocsparseL23gebsrmvn_general_kernelILj64ELj16EdEEvi20rocsparse_direction_NS_24const_host_device_scalarIT1_EEPKiS6_PKS3_iiS8_S4_PS3_21rocsparse_index_base_b,@function
_ZN9rocsparseL23gebsrmvn_general_kernelILj64ELj16EdEEvi20rocsparse_direction_NS_24const_host_device_scalarIT1_EEPKiS6_PKS3_iiS8_S4_PS3_21rocsparse_index_base_b: ; @_ZN9rocsparseL23gebsrmvn_general_kernelILj64ELj16EdEEvi20rocsparse_direction_NS_24const_host_device_scalarIT1_EEPKiS6_PKS3_iiS8_S4_PS3_21rocsparse_index_base_b
; %bb.0:
	s_load_dwordx2 s[12:13], s[0:1], 0x48
	s_load_dwordx2 s[8:9], s[0:1], 0x8
	;; [unrolled: 1-line block ×3, first 2 shown]
	s_waitcnt lgkmcnt(0)
	s_bitcmp1_b32 s13, 0
	s_cselect_b64 s[10:11], -1, 0
	s_xor_b64 s[6:7], s[10:11], -1
	s_and_b64 vcc, exec, s[10:11]
	v_mov_b64_e32 v[2:3], s[8:9]
	s_cbranch_vccnz .LBB72_2
; %bb.1:
	v_mov_b64_e32 v[2:3], s[8:9]
	flat_load_dwordx2 v[2:3], v[2:3]
.LBB72_2:
	s_andn2_b64 vcc, exec, s[6:7]
	v_mov_b64_e32 v[4:5], s[4:5]
	s_cbranch_vccnz .LBB72_4
; %bb.3:
	v_mov_b64_e32 v[4:5], s[4:5]
	flat_load_dwordx2 v[4:5], v[4:5]
.LBB72_4:
	s_waitcnt vmcnt(0) lgkmcnt(0)
	v_cmp_neq_f64_e32 vcc, 0, v[2:3]
	v_cmp_neq_f64_e64 s[4:5], 1.0, v[4:5]
	s_or_b64 s[4:5], vcc, s[4:5]
	s_and_saveexec_b64 s[6:7], s[4:5]
	s_cbranch_execz .LBB72_24
; %bb.5:
	s_load_dwordx2 s[14:15], s[0:1], 0x28
	v_lshrrev_b32_e32 v6, 4, v0
	s_waitcnt lgkmcnt(0)
	v_cmp_gt_i32_e32 vcc, s14, v6
	s_and_b64 exec, exec, vcc
	s_cbranch_execz .LBB72_24
; %bb.6:
	s_load_dwordx4 s[8:11], s[0:1], 0x10
	s_load_dword s22, s[0:1], 0x4
	s_ashr_i32 s3, s2, 31
	s_lshl_b64 s[4:5], s[2:3], 2
	s_mul_i32 s34, s14, s2
	s_waitcnt lgkmcnt(0)
	s_add_u32 s4, s8, s4
	s_addc_u32 s5, s9, s5
	s_load_dwordx2 s[6:7], s[4:5], 0x0
	s_load_dwordx2 s[16:17], s[0:1], 0x20
	;; [unrolled: 1-line block ×4, first 2 shown]
	v_and_b32_e32 v7, 15, v0
	s_waitcnt lgkmcnt(0)
	s_sub_i32 s13, s6, s12
	s_sub_i32 s33, s7, s12
	s_cmp_lt_i32 s6, s7
	s_mul_i32 s2, s14, s13
	s_cselect_b64 s[6:7], -1, 0
	v_add_u32_e32 v0, s2, v6
	s_cmp_lg_u32 s22, 0
	v_mul_lo_u32 v10, s15, v0
	v_cndmask_b32_e64 v0, 0, 1, s[6:7]
	v_cmp_gt_i32_e64 s[0:1], s15, v7
	s_cselect_b64 s[22:23], -1, 0
	v_cmp_eq_u32_e64 s[8:9], 15, v7
	s_mov_b64 s[24:25], 0
	v_cmp_eq_f64_e64 s[4:5], 0, v[4:5]
	s_lshl_b32 s35, s15, 2
	s_mul_i32 s36, s15, s14
	v_cmp_ne_u32_e64 s[6:7], 1, v0
	s_branch .LBB72_8
.LBB72_7:                               ;   in Loop: Header=BB72_8 Depth=1
	s_or_b64 exec, exec, s[2:3]
	v_add_u32_e32 v6, 4, v6
	v_cmp_le_i32_e32 vcc, s14, v6
	s_or_b64 s[24:25], vcc, s[24:25]
	v_add_u32_e32 v10, s35, v10
	s_andn2_b64 exec, exec, s[24:25]
	s_cbranch_execz .LBB72_24
.LBB72_8:                               ; =>This Loop Header: Depth=1
                                        ;     Child Loop BB72_12 Depth 2
                                        ;       Child Loop BB72_15 Depth 3
	s_and_b64 vcc, exec, s[6:7]
	v_mov_b64_e32 v[0:1], 0
	s_cbranch_vccnz .LBB72_19
; %bb.9:                                ;   in Loop: Header=BB72_8 Depth=1
	v_mov_b64_e32 v[0:1], 0
	v_mov_b32_e32 v11, v10
	s_mov_b32 s2, s13
	s_branch .LBB72_12
.LBB72_10:                              ;   in Loop: Header=BB72_12 Depth=2
	s_or_b64 exec, exec, s[28:29]
.LBB72_11:                              ;   in Loop: Header=BB72_12 Depth=2
	s_or_b64 exec, exec, s[26:27]
	s_add_i32 s2, s2, 1
	s_cmp_ge_i32 s2, s33
	v_add_u32_e32 v11, s36, v11
	s_cbranch_scc1 .LBB72_19
.LBB72_12:                              ;   Parent Loop BB72_8 Depth=1
                                        ; =>  This Loop Header: Depth=2
                                        ;       Child Loop BB72_15 Depth 3
	s_and_saveexec_b64 s[26:27], s[0:1]
	s_cbranch_execz .LBB72_11
; %bb.13:                               ;   in Loop: Header=BB72_12 Depth=2
	s_ashr_i32 s3, s2, 31
	s_lshl_b64 s[28:29], s[2:3], 2
	s_add_u32 s28, s10, s28
	s_addc_u32 s29, s11, s29
	s_load_dword s30, s[28:29], 0x0
	s_mul_i32 s3, s2, s15
	s_mov_b64 s[28:29], 0
	v_mov_b32_e32 v12, v7
	s_waitcnt lgkmcnt(0)
	s_sub_i32 s37, s30, s12
	s_mul_i32 s37, s37, s15
	s_branch .LBB72_15
.LBB72_14:                              ;   in Loop: Header=BB72_15 Depth=3
	v_add_u32_e32 v14, s37, v12
	v_ashrrev_i32_e32 v9, 31, v8
	v_ashrrev_i32_e32 v15, 31, v14
	v_lshl_add_u64 v[8:9], v[8:9], 3, s[16:17]
	v_lshl_add_u64 v[14:15], v[14:15], 3, s[18:19]
	global_load_dwordx2 v[8:9], v[8:9], off
	v_add_u32_e32 v12, 16, v12
	global_load_dwordx2 v[14:15], v[14:15], off
	v_cmp_le_i32_e32 vcc, s15, v12
	s_or_b64 s[28:29], vcc, s[28:29]
	s_waitcnt vmcnt(0)
	v_fmac_f64_e32 v[0:1], v[8:9], v[14:15]
	s_andn2_b64 exec, exec, s[28:29]
	s_cbranch_execz .LBB72_10
.LBB72_15:                              ;   Parent Loop BB72_8 Depth=1
                                        ;     Parent Loop BB72_12 Depth=2
                                        ; =>    This Inner Loop Header: Depth=3
	s_and_b64 vcc, exec, s[22:23]
	s_cbranch_vccz .LBB72_17
; %bb.16:                               ;   in Loop: Header=BB72_15 Depth=3
	v_add_u32_e32 v8, s3, v12
	v_mad_u64_u32 v[8:9], s[30:31], v8, s14, v[6:7]
	s_cbranch_execnz .LBB72_14
	s_branch .LBB72_18
.LBB72_17:                              ;   in Loop: Header=BB72_15 Depth=3
                                        ; implicit-def: $vgpr8
.LBB72_18:                              ;   in Loop: Header=BB72_15 Depth=3
	v_add_u32_e32 v8, v11, v12
	s_branch .LBB72_14
.LBB72_19:                              ;   in Loop: Header=BB72_8 Depth=1
	s_nop 0
	v_mov_b32_dpp v8, v0 row_shr:1 row_mask:0xf bank_mask:0xf
	v_mov_b32_dpp v9, v1 row_shr:1 row_mask:0xf bank_mask:0xf
	v_add_f64 v[0:1], v[0:1], v[8:9]
	s_nop 1
	v_mov_b32_dpp v8, v0 row_shr:2 row_mask:0xf bank_mask:0xf
	v_mov_b32_dpp v9, v1 row_shr:2 row_mask:0xf bank_mask:0xf
	v_add_f64 v[0:1], v[0:1], v[8:9]
	s_nop 1
	v_mov_b32_dpp v8, v0 row_shr:4 row_mask:0xf bank_mask:0xe
	v_mov_b32_dpp v9, v1 row_shr:4 row_mask:0xf bank_mask:0xe
	v_add_f64 v[0:1], v[0:1], v[8:9]
	s_nop 1
	v_mov_b32_dpp v8, v0 row_shr:8 row_mask:0xf bank_mask:0xc
	v_mov_b32_dpp v9, v1 row_shr:8 row_mask:0xf bank_mask:0xc
	s_and_saveexec_b64 s[2:3], s[8:9]
	s_cbranch_execz .LBB72_7
; %bb.20:                               ;   in Loop: Header=BB72_8 Depth=1
	v_add_f64 v[0:1], v[0:1], v[8:9]
	v_add_u32_e32 v8, s34, v6
	v_mul_f64 v[0:1], v[2:3], v[0:1]
	v_ashrrev_i32_e32 v9, 31, v8
	s_and_saveexec_b64 s[26:27], s[4:5]
	s_xor_b64 s[26:27], exec, s[26:27]
	s_cbranch_execz .LBB72_22
; %bb.21:                               ;   in Loop: Header=BB72_8 Depth=1
	v_lshl_add_u64 v[8:9], v[8:9], 3, s[20:21]
	global_store_dwordx2 v[8:9], v[0:1], off
                                        ; implicit-def: $vgpr8
                                        ; implicit-def: $vgpr0_vgpr1
.LBB72_22:                              ;   in Loop: Header=BB72_8 Depth=1
	s_andn2_saveexec_b64 s[26:27], s[26:27]
	s_cbranch_execz .LBB72_7
; %bb.23:                               ;   in Loop: Header=BB72_8 Depth=1
	v_lshl_add_u64 v[8:9], v[8:9], 3, s[20:21]
	global_load_dwordx2 v[12:13], v[8:9], off
	s_waitcnt vmcnt(0)
	v_fmac_f64_e32 v[0:1], v[4:5], v[12:13]
	global_store_dwordx2 v[8:9], v[0:1], off
	s_branch .LBB72_7
.LBB72_24:
	s_endpgm
	.section	.rodata,"a",@progbits
	.p2align	6, 0x0
	.amdhsa_kernel _ZN9rocsparseL23gebsrmvn_general_kernelILj64ELj16EdEEvi20rocsparse_direction_NS_24const_host_device_scalarIT1_EEPKiS6_PKS3_iiS8_S4_PS3_21rocsparse_index_base_b
		.amdhsa_group_segment_fixed_size 0
		.amdhsa_private_segment_fixed_size 0
		.amdhsa_kernarg_size 80
		.amdhsa_user_sgpr_count 2
		.amdhsa_user_sgpr_dispatch_ptr 0
		.amdhsa_user_sgpr_queue_ptr 0
		.amdhsa_user_sgpr_kernarg_segment_ptr 1
		.amdhsa_user_sgpr_dispatch_id 0
		.amdhsa_user_sgpr_kernarg_preload_length 0
		.amdhsa_user_sgpr_kernarg_preload_offset 0
		.amdhsa_user_sgpr_private_segment_size 0
		.amdhsa_uses_dynamic_stack 0
		.amdhsa_enable_private_segment 0
		.amdhsa_system_sgpr_workgroup_id_x 1
		.amdhsa_system_sgpr_workgroup_id_y 0
		.amdhsa_system_sgpr_workgroup_id_z 0
		.amdhsa_system_sgpr_workgroup_info 0
		.amdhsa_system_vgpr_workitem_id 0
		.amdhsa_next_free_vgpr 16
		.amdhsa_next_free_sgpr 38
		.amdhsa_accum_offset 16
		.amdhsa_reserve_vcc 1
		.amdhsa_float_round_mode_32 0
		.amdhsa_float_round_mode_16_64 0
		.amdhsa_float_denorm_mode_32 3
		.amdhsa_float_denorm_mode_16_64 3
		.amdhsa_dx10_clamp 1
		.amdhsa_ieee_mode 1
		.amdhsa_fp16_overflow 0
		.amdhsa_tg_split 0
		.amdhsa_exception_fp_ieee_invalid_op 0
		.amdhsa_exception_fp_denorm_src 0
		.amdhsa_exception_fp_ieee_div_zero 0
		.amdhsa_exception_fp_ieee_overflow 0
		.amdhsa_exception_fp_ieee_underflow 0
		.amdhsa_exception_fp_ieee_inexact 0
		.amdhsa_exception_int_div_zero 0
	.end_amdhsa_kernel
	.section	.text._ZN9rocsparseL23gebsrmvn_general_kernelILj64ELj16EdEEvi20rocsparse_direction_NS_24const_host_device_scalarIT1_EEPKiS6_PKS3_iiS8_S4_PS3_21rocsparse_index_base_b,"axG",@progbits,_ZN9rocsparseL23gebsrmvn_general_kernelILj64ELj16EdEEvi20rocsparse_direction_NS_24const_host_device_scalarIT1_EEPKiS6_PKS3_iiS8_S4_PS3_21rocsparse_index_base_b,comdat
.Lfunc_end72:
	.size	_ZN9rocsparseL23gebsrmvn_general_kernelILj64ELj16EdEEvi20rocsparse_direction_NS_24const_host_device_scalarIT1_EEPKiS6_PKS3_iiS8_S4_PS3_21rocsparse_index_base_b, .Lfunc_end72-_ZN9rocsparseL23gebsrmvn_general_kernelILj64ELj16EdEEvi20rocsparse_direction_NS_24const_host_device_scalarIT1_EEPKiS6_PKS3_iiS8_S4_PS3_21rocsparse_index_base_b
                                        ; -- End function
	.set _ZN9rocsparseL23gebsrmvn_general_kernelILj64ELj16EdEEvi20rocsparse_direction_NS_24const_host_device_scalarIT1_EEPKiS6_PKS3_iiS8_S4_PS3_21rocsparse_index_base_b.num_vgpr, 16
	.set _ZN9rocsparseL23gebsrmvn_general_kernelILj64ELj16EdEEvi20rocsparse_direction_NS_24const_host_device_scalarIT1_EEPKiS6_PKS3_iiS8_S4_PS3_21rocsparse_index_base_b.num_agpr, 0
	.set _ZN9rocsparseL23gebsrmvn_general_kernelILj64ELj16EdEEvi20rocsparse_direction_NS_24const_host_device_scalarIT1_EEPKiS6_PKS3_iiS8_S4_PS3_21rocsparse_index_base_b.numbered_sgpr, 38
	.set _ZN9rocsparseL23gebsrmvn_general_kernelILj64ELj16EdEEvi20rocsparse_direction_NS_24const_host_device_scalarIT1_EEPKiS6_PKS3_iiS8_S4_PS3_21rocsparse_index_base_b.num_named_barrier, 0
	.set _ZN9rocsparseL23gebsrmvn_general_kernelILj64ELj16EdEEvi20rocsparse_direction_NS_24const_host_device_scalarIT1_EEPKiS6_PKS3_iiS8_S4_PS3_21rocsparse_index_base_b.private_seg_size, 0
	.set _ZN9rocsparseL23gebsrmvn_general_kernelILj64ELj16EdEEvi20rocsparse_direction_NS_24const_host_device_scalarIT1_EEPKiS6_PKS3_iiS8_S4_PS3_21rocsparse_index_base_b.uses_vcc, 1
	.set _ZN9rocsparseL23gebsrmvn_general_kernelILj64ELj16EdEEvi20rocsparse_direction_NS_24const_host_device_scalarIT1_EEPKiS6_PKS3_iiS8_S4_PS3_21rocsparse_index_base_b.uses_flat_scratch, 0
	.set _ZN9rocsparseL23gebsrmvn_general_kernelILj64ELj16EdEEvi20rocsparse_direction_NS_24const_host_device_scalarIT1_EEPKiS6_PKS3_iiS8_S4_PS3_21rocsparse_index_base_b.has_dyn_sized_stack, 0
	.set _ZN9rocsparseL23gebsrmvn_general_kernelILj64ELj16EdEEvi20rocsparse_direction_NS_24const_host_device_scalarIT1_EEPKiS6_PKS3_iiS8_S4_PS3_21rocsparse_index_base_b.has_recursion, 0
	.set _ZN9rocsparseL23gebsrmvn_general_kernelILj64ELj16EdEEvi20rocsparse_direction_NS_24const_host_device_scalarIT1_EEPKiS6_PKS3_iiS8_S4_PS3_21rocsparse_index_base_b.has_indirect_call, 0
	.section	.AMDGPU.csdata,"",@progbits
; Kernel info:
; codeLenInByte = 780
; TotalNumSgprs: 44
; NumVgprs: 16
; NumAgprs: 0
; TotalNumVgprs: 16
; ScratchSize: 0
; MemoryBound: 0
; FloatMode: 240
; IeeeMode: 1
; LDSByteSize: 0 bytes/workgroup (compile time only)
; SGPRBlocks: 5
; VGPRBlocks: 1
; NumSGPRsForWavesPerEU: 44
; NumVGPRsForWavesPerEU: 16
; AccumOffset: 16
; Occupancy: 8
; WaveLimiterHint : 1
; COMPUTE_PGM_RSRC2:SCRATCH_EN: 0
; COMPUTE_PGM_RSRC2:USER_SGPR: 2
; COMPUTE_PGM_RSRC2:TRAP_HANDLER: 0
; COMPUTE_PGM_RSRC2:TGID_X_EN: 1
; COMPUTE_PGM_RSRC2:TGID_Y_EN: 0
; COMPUTE_PGM_RSRC2:TGID_Z_EN: 0
; COMPUTE_PGM_RSRC2:TIDIG_COMP_CNT: 0
; COMPUTE_PGM_RSRC3_GFX90A:ACCUM_OFFSET: 3
; COMPUTE_PGM_RSRC3_GFX90A:TG_SPLIT: 0
	.section	.text._ZN9rocsparseL23gebsrmvn_general_kernelILj128ELj32EdEEvi20rocsparse_direction_NS_24const_host_device_scalarIT1_EEPKiS6_PKS3_iiS8_S4_PS3_21rocsparse_index_base_b,"axG",@progbits,_ZN9rocsparseL23gebsrmvn_general_kernelILj128ELj32EdEEvi20rocsparse_direction_NS_24const_host_device_scalarIT1_EEPKiS6_PKS3_iiS8_S4_PS3_21rocsparse_index_base_b,comdat
	.globl	_ZN9rocsparseL23gebsrmvn_general_kernelILj128ELj32EdEEvi20rocsparse_direction_NS_24const_host_device_scalarIT1_EEPKiS6_PKS3_iiS8_S4_PS3_21rocsparse_index_base_b ; -- Begin function _ZN9rocsparseL23gebsrmvn_general_kernelILj128ELj32EdEEvi20rocsparse_direction_NS_24const_host_device_scalarIT1_EEPKiS6_PKS3_iiS8_S4_PS3_21rocsparse_index_base_b
	.p2align	8
	.type	_ZN9rocsparseL23gebsrmvn_general_kernelILj128ELj32EdEEvi20rocsparse_direction_NS_24const_host_device_scalarIT1_EEPKiS6_PKS3_iiS8_S4_PS3_21rocsparse_index_base_b,@function
_ZN9rocsparseL23gebsrmvn_general_kernelILj128ELj32EdEEvi20rocsparse_direction_NS_24const_host_device_scalarIT1_EEPKiS6_PKS3_iiS8_S4_PS3_21rocsparse_index_base_b: ; @_ZN9rocsparseL23gebsrmvn_general_kernelILj128ELj32EdEEvi20rocsparse_direction_NS_24const_host_device_scalarIT1_EEPKiS6_PKS3_iiS8_S4_PS3_21rocsparse_index_base_b
; %bb.0:
	s_load_dwordx2 s[12:13], s[0:1], 0x48
	s_load_dwordx2 s[8:9], s[0:1], 0x8
	;; [unrolled: 1-line block ×3, first 2 shown]
	s_waitcnt lgkmcnt(0)
	s_bitcmp1_b32 s13, 0
	s_cselect_b64 s[10:11], -1, 0
	s_xor_b64 s[6:7], s[10:11], -1
	s_and_b64 vcc, exec, s[10:11]
	v_mov_b64_e32 v[2:3], s[8:9]
	s_cbranch_vccnz .LBB73_2
; %bb.1:
	v_mov_b64_e32 v[2:3], s[8:9]
	flat_load_dwordx2 v[2:3], v[2:3]
.LBB73_2:
	s_andn2_b64 vcc, exec, s[6:7]
	v_mov_b64_e32 v[4:5], s[4:5]
	s_cbranch_vccnz .LBB73_4
; %bb.3:
	v_mov_b64_e32 v[4:5], s[4:5]
	flat_load_dwordx2 v[4:5], v[4:5]
.LBB73_4:
	s_waitcnt vmcnt(0) lgkmcnt(0)
	v_cmp_neq_f64_e32 vcc, 0, v[2:3]
	v_cmp_neq_f64_e64 s[4:5], 1.0, v[4:5]
	s_or_b64 s[4:5], vcc, s[4:5]
	s_and_saveexec_b64 s[6:7], s[4:5]
	s_cbranch_execz .LBB73_24
; %bb.5:
	s_load_dwordx2 s[14:15], s[0:1], 0x28
	v_lshrrev_b32_e32 v6, 5, v0
	s_waitcnt lgkmcnt(0)
	v_cmp_gt_i32_e32 vcc, s14, v6
	s_and_b64 exec, exec, vcc
	s_cbranch_execz .LBB73_24
; %bb.6:
	s_load_dwordx4 s[8:11], s[0:1], 0x10
	s_load_dword s22, s[0:1], 0x4
	s_ashr_i32 s3, s2, 31
	s_lshl_b64 s[4:5], s[2:3], 2
	s_mul_i32 s34, s14, s2
	s_waitcnt lgkmcnt(0)
	s_add_u32 s4, s8, s4
	s_addc_u32 s5, s9, s5
	s_load_dwordx2 s[6:7], s[4:5], 0x0
	s_load_dwordx2 s[16:17], s[0:1], 0x20
	;; [unrolled: 1-line block ×4, first 2 shown]
	v_and_b32_e32 v7, 31, v0
	s_waitcnt lgkmcnt(0)
	s_sub_i32 s13, s6, s12
	s_sub_i32 s33, s7, s12
	s_cmp_lt_i32 s6, s7
	s_mul_i32 s2, s14, s13
	s_cselect_b64 s[6:7], -1, 0
	v_add_u32_e32 v0, s2, v6
	s_cmp_lg_u32 s22, 0
	v_mul_lo_u32 v10, s15, v0
	v_cndmask_b32_e64 v0, 0, 1, s[6:7]
	v_cmp_gt_i32_e64 s[0:1], s15, v7
	s_cselect_b64 s[22:23], -1, 0
	v_cmp_eq_u32_e64 s[8:9], 31, v7
	s_mov_b64 s[24:25], 0
	v_cmp_eq_f64_e64 s[4:5], 0, v[4:5]
	s_lshl_b32 s35, s15, 2
	s_mul_i32 s36, s15, s14
	v_cmp_ne_u32_e64 s[6:7], 1, v0
	s_branch .LBB73_8
.LBB73_7:                               ;   in Loop: Header=BB73_8 Depth=1
	s_or_b64 exec, exec, s[2:3]
	v_add_u32_e32 v6, 4, v6
	v_cmp_le_i32_e32 vcc, s14, v6
	s_or_b64 s[24:25], vcc, s[24:25]
	v_add_u32_e32 v10, s35, v10
	s_andn2_b64 exec, exec, s[24:25]
	s_cbranch_execz .LBB73_24
.LBB73_8:                               ; =>This Loop Header: Depth=1
                                        ;     Child Loop BB73_12 Depth 2
                                        ;       Child Loop BB73_15 Depth 3
	s_and_b64 vcc, exec, s[6:7]
	v_mov_b64_e32 v[0:1], 0
	s_cbranch_vccnz .LBB73_19
; %bb.9:                                ;   in Loop: Header=BB73_8 Depth=1
	v_mov_b64_e32 v[0:1], 0
	v_mov_b32_e32 v11, v10
	s_mov_b32 s2, s13
	s_branch .LBB73_12
.LBB73_10:                              ;   in Loop: Header=BB73_12 Depth=2
	s_or_b64 exec, exec, s[28:29]
.LBB73_11:                              ;   in Loop: Header=BB73_12 Depth=2
	s_or_b64 exec, exec, s[26:27]
	s_add_i32 s2, s2, 1
	s_cmp_ge_i32 s2, s33
	v_add_u32_e32 v11, s36, v11
	s_cbranch_scc1 .LBB73_19
.LBB73_12:                              ;   Parent Loop BB73_8 Depth=1
                                        ; =>  This Loop Header: Depth=2
                                        ;       Child Loop BB73_15 Depth 3
	s_and_saveexec_b64 s[26:27], s[0:1]
	s_cbranch_execz .LBB73_11
; %bb.13:                               ;   in Loop: Header=BB73_12 Depth=2
	s_ashr_i32 s3, s2, 31
	s_lshl_b64 s[28:29], s[2:3], 2
	s_add_u32 s28, s10, s28
	s_addc_u32 s29, s11, s29
	s_load_dword s30, s[28:29], 0x0
	s_mul_i32 s3, s2, s15
	s_mov_b64 s[28:29], 0
	v_mov_b32_e32 v12, v7
	s_waitcnt lgkmcnt(0)
	s_sub_i32 s37, s30, s12
	s_mul_i32 s37, s37, s15
	s_branch .LBB73_15
.LBB73_14:                              ;   in Loop: Header=BB73_15 Depth=3
	v_add_u32_e32 v14, s37, v12
	v_ashrrev_i32_e32 v9, 31, v8
	v_ashrrev_i32_e32 v15, 31, v14
	v_lshl_add_u64 v[8:9], v[8:9], 3, s[16:17]
	v_lshl_add_u64 v[14:15], v[14:15], 3, s[18:19]
	global_load_dwordx2 v[8:9], v[8:9], off
	v_add_u32_e32 v12, 32, v12
	global_load_dwordx2 v[14:15], v[14:15], off
	v_cmp_le_i32_e32 vcc, s15, v12
	s_or_b64 s[28:29], vcc, s[28:29]
	s_waitcnt vmcnt(0)
	v_fmac_f64_e32 v[0:1], v[8:9], v[14:15]
	s_andn2_b64 exec, exec, s[28:29]
	s_cbranch_execz .LBB73_10
.LBB73_15:                              ;   Parent Loop BB73_8 Depth=1
                                        ;     Parent Loop BB73_12 Depth=2
                                        ; =>    This Inner Loop Header: Depth=3
	s_and_b64 vcc, exec, s[22:23]
	s_cbranch_vccz .LBB73_17
; %bb.16:                               ;   in Loop: Header=BB73_15 Depth=3
	v_add_u32_e32 v8, s3, v12
	v_mad_u64_u32 v[8:9], s[30:31], v8, s14, v[6:7]
	s_cbranch_execnz .LBB73_14
	s_branch .LBB73_18
.LBB73_17:                              ;   in Loop: Header=BB73_15 Depth=3
                                        ; implicit-def: $vgpr8
.LBB73_18:                              ;   in Loop: Header=BB73_15 Depth=3
	v_add_u32_e32 v8, v11, v12
	s_branch .LBB73_14
.LBB73_19:                              ;   in Loop: Header=BB73_8 Depth=1
	s_nop 0
	v_mov_b32_dpp v8, v0 row_shr:1 row_mask:0xf bank_mask:0xf
	v_mov_b32_dpp v9, v1 row_shr:1 row_mask:0xf bank_mask:0xf
	v_add_f64 v[0:1], v[0:1], v[8:9]
	s_nop 1
	v_mov_b32_dpp v8, v0 row_shr:2 row_mask:0xf bank_mask:0xf
	v_mov_b32_dpp v9, v1 row_shr:2 row_mask:0xf bank_mask:0xf
	v_add_f64 v[0:1], v[0:1], v[8:9]
	;; [unrolled: 4-line block ×4, first 2 shown]
	s_nop 1
	v_mov_b32_dpp v8, v0 row_bcast:15 row_mask:0xa bank_mask:0xf
	v_mov_b32_dpp v9, v1 row_bcast:15 row_mask:0xa bank_mask:0xf
	s_and_saveexec_b64 s[2:3], s[8:9]
	s_cbranch_execz .LBB73_7
; %bb.20:                               ;   in Loop: Header=BB73_8 Depth=1
	v_add_f64 v[0:1], v[0:1], v[8:9]
	v_add_u32_e32 v8, s34, v6
	v_mul_f64 v[0:1], v[2:3], v[0:1]
	v_ashrrev_i32_e32 v9, 31, v8
	s_and_saveexec_b64 s[26:27], s[4:5]
	s_xor_b64 s[26:27], exec, s[26:27]
	s_cbranch_execz .LBB73_22
; %bb.21:                               ;   in Loop: Header=BB73_8 Depth=1
	v_lshl_add_u64 v[8:9], v[8:9], 3, s[20:21]
	global_store_dwordx2 v[8:9], v[0:1], off
                                        ; implicit-def: $vgpr8
                                        ; implicit-def: $vgpr0_vgpr1
.LBB73_22:                              ;   in Loop: Header=BB73_8 Depth=1
	s_andn2_saveexec_b64 s[26:27], s[26:27]
	s_cbranch_execz .LBB73_7
; %bb.23:                               ;   in Loop: Header=BB73_8 Depth=1
	v_lshl_add_u64 v[8:9], v[8:9], 3, s[20:21]
	global_load_dwordx2 v[12:13], v[8:9], off
	s_waitcnt vmcnt(0)
	v_fmac_f64_e32 v[0:1], v[4:5], v[12:13]
	global_store_dwordx2 v[8:9], v[0:1], off
	s_branch .LBB73_7
.LBB73_24:
	s_endpgm
	.section	.rodata,"a",@progbits
	.p2align	6, 0x0
	.amdhsa_kernel _ZN9rocsparseL23gebsrmvn_general_kernelILj128ELj32EdEEvi20rocsparse_direction_NS_24const_host_device_scalarIT1_EEPKiS6_PKS3_iiS8_S4_PS3_21rocsparse_index_base_b
		.amdhsa_group_segment_fixed_size 0
		.amdhsa_private_segment_fixed_size 0
		.amdhsa_kernarg_size 80
		.amdhsa_user_sgpr_count 2
		.amdhsa_user_sgpr_dispatch_ptr 0
		.amdhsa_user_sgpr_queue_ptr 0
		.amdhsa_user_sgpr_kernarg_segment_ptr 1
		.amdhsa_user_sgpr_dispatch_id 0
		.amdhsa_user_sgpr_kernarg_preload_length 0
		.amdhsa_user_sgpr_kernarg_preload_offset 0
		.amdhsa_user_sgpr_private_segment_size 0
		.amdhsa_uses_dynamic_stack 0
		.amdhsa_enable_private_segment 0
		.amdhsa_system_sgpr_workgroup_id_x 1
		.amdhsa_system_sgpr_workgroup_id_y 0
		.amdhsa_system_sgpr_workgroup_id_z 0
		.amdhsa_system_sgpr_workgroup_info 0
		.amdhsa_system_vgpr_workitem_id 0
		.amdhsa_next_free_vgpr 16
		.amdhsa_next_free_sgpr 38
		.amdhsa_accum_offset 16
		.amdhsa_reserve_vcc 1
		.amdhsa_float_round_mode_32 0
		.amdhsa_float_round_mode_16_64 0
		.amdhsa_float_denorm_mode_32 3
		.amdhsa_float_denorm_mode_16_64 3
		.amdhsa_dx10_clamp 1
		.amdhsa_ieee_mode 1
		.amdhsa_fp16_overflow 0
		.amdhsa_tg_split 0
		.amdhsa_exception_fp_ieee_invalid_op 0
		.amdhsa_exception_fp_denorm_src 0
		.amdhsa_exception_fp_ieee_div_zero 0
		.amdhsa_exception_fp_ieee_overflow 0
		.amdhsa_exception_fp_ieee_underflow 0
		.amdhsa_exception_fp_ieee_inexact 0
		.amdhsa_exception_int_div_zero 0
	.end_amdhsa_kernel
	.section	.text._ZN9rocsparseL23gebsrmvn_general_kernelILj128ELj32EdEEvi20rocsparse_direction_NS_24const_host_device_scalarIT1_EEPKiS6_PKS3_iiS8_S4_PS3_21rocsparse_index_base_b,"axG",@progbits,_ZN9rocsparseL23gebsrmvn_general_kernelILj128ELj32EdEEvi20rocsparse_direction_NS_24const_host_device_scalarIT1_EEPKiS6_PKS3_iiS8_S4_PS3_21rocsparse_index_base_b,comdat
.Lfunc_end73:
	.size	_ZN9rocsparseL23gebsrmvn_general_kernelILj128ELj32EdEEvi20rocsparse_direction_NS_24const_host_device_scalarIT1_EEPKiS6_PKS3_iiS8_S4_PS3_21rocsparse_index_base_b, .Lfunc_end73-_ZN9rocsparseL23gebsrmvn_general_kernelILj128ELj32EdEEvi20rocsparse_direction_NS_24const_host_device_scalarIT1_EEPKiS6_PKS3_iiS8_S4_PS3_21rocsparse_index_base_b
                                        ; -- End function
	.set _ZN9rocsparseL23gebsrmvn_general_kernelILj128ELj32EdEEvi20rocsparse_direction_NS_24const_host_device_scalarIT1_EEPKiS6_PKS3_iiS8_S4_PS3_21rocsparse_index_base_b.num_vgpr, 16
	.set _ZN9rocsparseL23gebsrmvn_general_kernelILj128ELj32EdEEvi20rocsparse_direction_NS_24const_host_device_scalarIT1_EEPKiS6_PKS3_iiS8_S4_PS3_21rocsparse_index_base_b.num_agpr, 0
	.set _ZN9rocsparseL23gebsrmvn_general_kernelILj128ELj32EdEEvi20rocsparse_direction_NS_24const_host_device_scalarIT1_EEPKiS6_PKS3_iiS8_S4_PS3_21rocsparse_index_base_b.numbered_sgpr, 38
	.set _ZN9rocsparseL23gebsrmvn_general_kernelILj128ELj32EdEEvi20rocsparse_direction_NS_24const_host_device_scalarIT1_EEPKiS6_PKS3_iiS8_S4_PS3_21rocsparse_index_base_b.num_named_barrier, 0
	.set _ZN9rocsparseL23gebsrmvn_general_kernelILj128ELj32EdEEvi20rocsparse_direction_NS_24const_host_device_scalarIT1_EEPKiS6_PKS3_iiS8_S4_PS3_21rocsparse_index_base_b.private_seg_size, 0
	.set _ZN9rocsparseL23gebsrmvn_general_kernelILj128ELj32EdEEvi20rocsparse_direction_NS_24const_host_device_scalarIT1_EEPKiS6_PKS3_iiS8_S4_PS3_21rocsparse_index_base_b.uses_vcc, 1
	.set _ZN9rocsparseL23gebsrmvn_general_kernelILj128ELj32EdEEvi20rocsparse_direction_NS_24const_host_device_scalarIT1_EEPKiS6_PKS3_iiS8_S4_PS3_21rocsparse_index_base_b.uses_flat_scratch, 0
	.set _ZN9rocsparseL23gebsrmvn_general_kernelILj128ELj32EdEEvi20rocsparse_direction_NS_24const_host_device_scalarIT1_EEPKiS6_PKS3_iiS8_S4_PS3_21rocsparse_index_base_b.has_dyn_sized_stack, 0
	.set _ZN9rocsparseL23gebsrmvn_general_kernelILj128ELj32EdEEvi20rocsparse_direction_NS_24const_host_device_scalarIT1_EEPKiS6_PKS3_iiS8_S4_PS3_21rocsparse_index_base_b.has_recursion, 0
	.set _ZN9rocsparseL23gebsrmvn_general_kernelILj128ELj32EdEEvi20rocsparse_direction_NS_24const_host_device_scalarIT1_EEPKiS6_PKS3_iiS8_S4_PS3_21rocsparse_index_base_b.has_indirect_call, 0
	.section	.AMDGPU.csdata,"",@progbits
; Kernel info:
; codeLenInByte = 808
; TotalNumSgprs: 44
; NumVgprs: 16
; NumAgprs: 0
; TotalNumVgprs: 16
; ScratchSize: 0
; MemoryBound: 0
; FloatMode: 240
; IeeeMode: 1
; LDSByteSize: 0 bytes/workgroup (compile time only)
; SGPRBlocks: 5
; VGPRBlocks: 1
; NumSGPRsForWavesPerEU: 44
; NumVGPRsForWavesPerEU: 16
; AccumOffset: 16
; Occupancy: 8
; WaveLimiterHint : 1
; COMPUTE_PGM_RSRC2:SCRATCH_EN: 0
; COMPUTE_PGM_RSRC2:USER_SGPR: 2
; COMPUTE_PGM_RSRC2:TRAP_HANDLER: 0
; COMPUTE_PGM_RSRC2:TGID_X_EN: 1
; COMPUTE_PGM_RSRC2:TGID_Y_EN: 0
; COMPUTE_PGM_RSRC2:TGID_Z_EN: 0
; COMPUTE_PGM_RSRC2:TIDIG_COMP_CNT: 0
; COMPUTE_PGM_RSRC3_GFX90A:ACCUM_OFFSET: 3
; COMPUTE_PGM_RSRC3_GFX90A:TG_SPLIT: 0
	.section	.text._ZN9rocsparseL19gebsrmvn_4xn_kernelILj128ELj1ELj4E21rocsparse_complex_numIfEEEvi20rocsparse_direction_NS_24const_host_device_scalarIT2_EEPKiS8_PKS5_SA_S6_PS5_21rocsparse_index_base_b,"axG",@progbits,_ZN9rocsparseL19gebsrmvn_4xn_kernelILj128ELj1ELj4E21rocsparse_complex_numIfEEEvi20rocsparse_direction_NS_24const_host_device_scalarIT2_EEPKiS8_PKS5_SA_S6_PS5_21rocsparse_index_base_b,comdat
	.globl	_ZN9rocsparseL19gebsrmvn_4xn_kernelILj128ELj1ELj4E21rocsparse_complex_numIfEEEvi20rocsparse_direction_NS_24const_host_device_scalarIT2_EEPKiS8_PKS5_SA_S6_PS5_21rocsparse_index_base_b ; -- Begin function _ZN9rocsparseL19gebsrmvn_4xn_kernelILj128ELj1ELj4E21rocsparse_complex_numIfEEEvi20rocsparse_direction_NS_24const_host_device_scalarIT2_EEPKiS8_PKS5_SA_S6_PS5_21rocsparse_index_base_b
	.p2align	8
	.type	_ZN9rocsparseL19gebsrmvn_4xn_kernelILj128ELj1ELj4E21rocsparse_complex_numIfEEEvi20rocsparse_direction_NS_24const_host_device_scalarIT2_EEPKiS8_PKS5_SA_S6_PS5_21rocsparse_index_base_b,@function
_ZN9rocsparseL19gebsrmvn_4xn_kernelILj128ELj1ELj4E21rocsparse_complex_numIfEEEvi20rocsparse_direction_NS_24const_host_device_scalarIT2_EEPKiS8_PKS5_SA_S6_PS5_21rocsparse_index_base_b: ; @_ZN9rocsparseL19gebsrmvn_4xn_kernelILj128ELj1ELj4E21rocsparse_complex_numIfEEEvi20rocsparse_direction_NS_24const_host_device_scalarIT2_EEPKiS8_PKS5_SA_S6_PS5_21rocsparse_index_base_b
; %bb.0:
	s_load_dwordx2 s[4:5], s[0:1], 0x8
	s_load_dwordx2 s[6:7], s[0:1], 0x30
	;; [unrolled: 1-line block ×3, first 2 shown]
	s_add_u32 s3, s0, 8
	s_addc_u32 s8, s1, 0
	s_add_u32 s9, s0, 48
	s_addc_u32 s10, s1, 0
	s_waitcnt lgkmcnt(0)
	s_bitcmp1_b32 s13, 0
	s_cselect_b32 s3, s3, s4
	s_cselect_b32 s5, s8, s5
	v_mov_b32_e32 v2, s3
	s_cselect_b32 s3, s10, s7
	s_cselect_b32 s4, s9, s6
	v_mov_b32_e32 v3, s5
	v_mov_b32_e32 v4, s4
	;; [unrolled: 1-line block ×3, first 2 shown]
	flat_load_dwordx2 v[2:3], v[2:3]
	s_waitcnt vmcnt(0) lgkmcnt(0)
	v_cmp_eq_f32_e32 vcc, 0, v2
	flat_load_dwordx2 v[4:5], v[4:5]
	v_cmp_eq_f32_e64 s[4:5], 0, v3
	s_and_b64 s[4:5], vcc, s[4:5]
	s_waitcnt vmcnt(0) lgkmcnt(0)
	v_cmp_eq_f32_e64 s[6:7], 1.0, v4
	v_cmp_eq_f32_e64 s[8:9], 0, v5
	s_and_b64 s[6:7], s[6:7], s[8:9]
	s_and_b64 s[4:5], s[4:5], s[6:7]
	s_xor_b64 s[4:5], s[4:5], -1
	s_and_saveexec_b64 s[6:7], s[4:5]
	s_cbranch_execz .LBB74_19
; %bb.1:
	s_load_dwordx2 s[14:15], s[0:1], 0x0
	v_lshrrev_b32_e32 v1, 2, v0
	v_lshl_or_b32 v6, s2, 5, v1
	s_waitcnt lgkmcnt(0)
	v_cmp_gt_i32_e32 vcc, s14, v6
	s_and_b64 exec, exec, vcc
	s_cbranch_execz .LBB74_19
; %bb.2:
	s_load_dwordx8 s[4:11], s[0:1], 0x10
	v_ashrrev_i32_e32 v7, 31, v6
	s_cmp_lg_u32 s15, 0
	s_waitcnt lgkmcnt(0)
	v_lshl_add_u64 v[8:9], v[6:7], 2, s[4:5]
	global_load_dwordx2 v[8:9], v[8:9], off
	v_and_b32_e32 v7, 3, v0
	s_waitcnt vmcnt(0)
	v_subrev_u32_e32 v0, s12, v8
	v_subrev_u32_e32 v20, s12, v9
	v_add_u32_e32 v12, v0, v7
	v_cmp_lt_i32_e64 s[2:3], v12, v20
	s_cbranch_scc0 .LBB74_8
; %bb.3:
	v_mov_b32_e32 v11, 0
	v_mov_b32_e32 v10, v11
	v_mov_b32_e32 v1, v11
	v_mov_b32_e32 v0, v11
	v_mov_b32_e32 v9, v11
	v_mov_b32_e32 v8, v11
	v_mov_b32_e32 v15, v11
	v_mov_b32_e32 v14, v11
	s_and_saveexec_b64 s[4:5], s[2:3]
	s_cbranch_execz .LBB74_7
; %bb.4:
	v_mov_b32_e32 v17, 0
	v_lshlrev_b32_e32 v16, 2, v12
	s_mov_b64 s[14:15], 0
	v_mov_b32_e32 v18, v12
	v_mov_b32_e32 v14, v17
	;; [unrolled: 1-line block ×9, first 2 shown]
.LBB74_5:                               ; =>This Inner Loop Header: Depth=1
	v_ashrrev_i32_e32 v19, 31, v18
	v_lshl_add_u64 v[22:23], v[18:19], 2, s[6:7]
	global_load_dword v13, v[22:23], off
	v_lshl_add_u64 v[30:31], v[16:17], 3, s[8:9]
	v_mov_b32_e32 v33, v17
	global_load_dwordx4 v[22:25], v[30:31], off
	global_load_dwordx4 v[26:29], v[30:31], off offset:16
	v_add_u32_e32 v18, 4, v18
	v_cmp_ge_i32_e32 vcc, v18, v20
	v_add_u32_e32 v16, 16, v16
	s_or_b64 s[14:15], vcc, s[14:15]
	s_waitcnt vmcnt(2)
	v_subrev_u32_e32 v32, s12, v13
	v_lshl_add_u64 v[30:31], v[32:33], 3, s[10:11]
	global_load_dwordx2 v[30:31], v[30:31], off
	s_waitcnt vmcnt(2)
	v_xor_b32_e32 v32, 0x80000000, v25
	v_mov_b32_e32 v33, v24
	s_waitcnt vmcnt(1)
	v_xor_b32_e32 v34, 0x80000000, v29
	v_mov_b32_e32 v35, v28
	s_waitcnt vmcnt(0)
	v_pk_fma_f32 v[10:11], v[22:23], v[30:31], v[10:11] op_sel_hi:[1,0,1]
	v_pk_fma_f32 v[14:15], v[24:25], v[30:31], v[14:15] op_sel_hi:[1,0,1]
	;; [unrolled: 1-line block ×4, first 2 shown]
	v_pk_fma_f32 v[10:11], v[22:23], v[30:31], v[10:11] op_sel:[1,1,0] op_sel_hi:[0,1,1] neg_lo:[1,0,0]
	v_pk_fma_f32 v[14:15], v[32:33], v[30:31], v[14:15] op_sel:[0,1,0]
	v_pk_fma_f32 v[8:9], v[26:27], v[30:31], v[8:9] op_sel:[1,1,0] op_sel_hi:[0,1,1] neg_lo:[1,0,0]
	v_pk_fma_f32 v[0:1], v[34:35], v[30:31], v[0:1] op_sel:[0,1,0]
	s_andn2_b64 exec, exec, s[14:15]
	s_cbranch_execnz .LBB74_5
; %bb.6:
	s_or_b64 exec, exec, s[14:15]
.LBB74_7:
	s_or_b64 exec, exec, s[4:5]
	s_cbranch_execz .LBB74_9
	s_branch .LBB74_14
.LBB74_8:
                                        ; implicit-def: $vgpr11
                                        ; implicit-def: $vgpr1
                                        ; implicit-def: $vgpr9
                                        ; implicit-def: $vgpr15
.LBB74_9:
	v_mov_b32_e32 v11, 0
	v_mov_b32_e32 v10, v11
	;; [unrolled: 1-line block ×8, first 2 shown]
	s_and_saveexec_b64 s[4:5], s[2:3]
	s_cbranch_execz .LBB74_13
; %bb.10:
	v_mov_b32_e32 v17, 0
	v_lshlrev_b32_e32 v16, 2, v12
	s_mov_b64 s[2:3], 0
	v_mov_b32_e32 v14, v17
	v_mov_b32_e32 v15, v17
	;; [unrolled: 1-line block ×8, first 2 shown]
.LBB74_11:                              ; =>This Inner Loop Header: Depth=1
	v_ashrrev_i32_e32 v13, 31, v12
	v_lshl_add_u64 v[18:19], v[12:13], 2, s[6:7]
	global_load_dword v13, v[18:19], off
	v_lshl_add_u64 v[18:19], v[16:17], 3, s[8:9]
	v_mov_b32_e32 v31, v17
	global_load_dwordx4 v[22:25], v[18:19], off
	global_load_dwordx4 v[26:29], v[18:19], off offset:16
	v_add_u32_e32 v12, 4, v12
	v_cmp_ge_i32_e32 vcc, v12, v20
	v_add_u32_e32 v16, 16, v16
	s_or_b64 s[2:3], vcc, s[2:3]
	s_waitcnt vmcnt(2)
	v_subrev_u32_e32 v30, s12, v13
	v_lshl_add_u64 v[18:19], v[30:31], 3, s[10:11]
	global_load_dwordx2 v[18:19], v[18:19], off
	s_waitcnt vmcnt(2)
	v_xor_b32_e32 v30, 0x80000000, v25
	v_mov_b32_e32 v31, v24
	s_waitcnt vmcnt(1)
	v_xor_b32_e32 v32, 0x80000000, v29
	v_mov_b32_e32 v33, v28
	s_waitcnt vmcnt(0)
	v_pk_fma_f32 v[10:11], v[22:23], v[18:19], v[10:11] op_sel_hi:[1,0,1]
	v_pk_fma_f32 v[14:15], v[24:25], v[18:19], v[14:15] op_sel_hi:[1,0,1]
	;; [unrolled: 1-line block ×4, first 2 shown]
	v_pk_fma_f32 v[10:11], v[22:23], v[18:19], v[10:11] op_sel:[1,1,0] op_sel_hi:[0,1,1] neg_lo:[1,0,0]
	v_pk_fma_f32 v[14:15], v[30:31], v[18:19], v[14:15] op_sel:[0,1,0]
	v_pk_fma_f32 v[8:9], v[26:27], v[18:19], v[8:9] op_sel:[1,1,0] op_sel_hi:[0,1,1] neg_lo:[1,0,0]
	v_pk_fma_f32 v[0:1], v[32:33], v[18:19], v[0:1] op_sel:[0,1,0]
	s_andn2_b64 exec, exec, s[2:3]
	s_cbranch_execnz .LBB74_11
; %bb.12:
	s_or_b64 exec, exec, s[2:3]
.LBB74_13:
	s_or_b64 exec, exec, s[4:5]
.LBB74_14:
	v_mov_b32_dpp v18, v8 row_shr:1 row_mask:0xf bank_mask:0xf
	v_add_f32_e32 v8, v8, v18
	v_mov_b32_dpp v12, v10 row_shr:1 row_mask:0xf bank_mask:0xf
	v_mov_b32_dpp v18, v9 row_shr:1 row_mask:0xf bank_mask:0xf
	v_add_f32_e32 v9, v9, v18
	v_mov_b32_dpp v13, v11 row_shr:1 row_mask:0xf bank_mask:0xf
	v_mov_b32_dpp v18, v0 row_shr:1 row_mask:0xf bank_mask:0xf
	;; [unrolled: 1-line block ×4, first 2 shown]
	v_add_f32_e32 v0, v0, v18
	v_mov_b32_dpp v18, v1 row_shr:1 row_mask:0xf bank_mask:0xf
	v_add_f32_e32 v10, v10, v12
	v_add_f32_e32 v11, v11, v13
	;; [unrolled: 1-line block ×5, first 2 shown]
	v_mov_b32_dpp v12, v10 row_shr:2 row_mask:0xf bank_mask:0xf
	v_mov_b32_dpp v13, v11 row_shr:2 row_mask:0xf bank_mask:0xf
	;; [unrolled: 1-line block ×8, first 2 shown]
	v_cmp_eq_u32_e32 vcc, 3, v7
	s_and_b64 exec, exec, vcc
	s_cbranch_execz .LBB74_19
; %bb.15:
	s_load_dwordx2 s[2:3], s[0:1], 0x38
	v_cmp_eq_f32_e32 vcc, 0, v4
	v_cmp_eq_f32_e64 s[0:1], 0, v5
	v_add_f32_e32 v12, v10, v12
	v_add_f32_e32 v20, v11, v13
	;; [unrolled: 1-line block ×8, first 2 shown]
	s_and_b64 s[0:1], vcc, s[0:1]
	s_and_saveexec_b64 s[4:5], s[0:1]
	s_xor_b64 s[0:1], exec, s[4:5]
	s_cbranch_execz .LBB74_17
; %bb.16:
	v_lshlrev_b32_e32 v4, 2, v6
	v_xor_b32_e32 v22, 0x80000000, v3
	v_ashrrev_i32_e32 v5, 31, v4
	v_mov_b32_e32 v23, v2
	s_waitcnt lgkmcnt(0)
	v_lshl_add_u64 v[24:25], v[4:5], 3, s[2:3]
	v_pk_mul_f32 v[4:5], v[20:21], v[22:23] op_sel_hi:[0,1]
	v_pk_mul_f32 v[6:7], v[18:19], v[22:23] op_sel_hi:[0,1]
	v_pk_fma_f32 v[4:5], v[2:3], v[12:13], v[4:5] op_sel_hi:[1,0,1]
	v_pk_fma_f32 v[6:7], v[2:3], v[10:11], v[6:7] op_sel_hi:[1,0,1]
	global_store_dwordx4 v[24:25], v[4:7], off
                                        ; implicit-def: $vgpr12
                                        ; implicit-def: $vgpr20
                                        ; implicit-def: $vgpr10
                                        ; implicit-def: $vgpr18
	s_nop 1
	v_pk_mul_f32 v[4:5], v[16:17], v[22:23] op_sel_hi:[0,1]
	v_pk_mul_f32 v[6:7], v[14:15], v[22:23] op_sel_hi:[0,1]
	v_pk_fma_f32 v[4:5], v[2:3], v[8:9], v[4:5] op_sel_hi:[1,0,1]
	v_pk_fma_f32 v[6:7], v[2:3], v[0:1], v[6:7] op_sel_hi:[1,0,1]
	global_store_dwordx4 v[24:25], v[4:7], off offset:16
                                        ; implicit-def: $vgpr6
                                        ; implicit-def: $vgpr8
                                        ; implicit-def: $vgpr16
                                        ; implicit-def: $vgpr0
                                        ; implicit-def: $vgpr14
                                        ; implicit-def: $vgpr2_vgpr3
                                        ; implicit-def: $vgpr4_vgpr5
.LBB74_17:
	s_andn2_saveexec_b64 s[0:1], s[0:1]
	s_cbranch_execz .LBB74_19
; %bb.18:
	v_lshlrev_b32_e32 v6, 2, v6
	v_ashrrev_i32_e32 v7, 31, v6
	s_waitcnt lgkmcnt(0)
	v_lshl_add_u64 v[30:31], v[6:7], 3, s[2:3]
	global_load_dwordx4 v[22:25], v[30:31], off
	global_load_dwordx4 v[26:29], v[30:31], off offset:16
	v_xor_b32_e32 v6, 0x80000000, v3
	v_mov_b32_e32 v7, v2
	v_pk_mul_f32 v[20:21], v[20:21], v[6:7] op_sel_hi:[0,1]
	v_pk_mul_f32 v[18:19], v[18:19], v[6:7] op_sel_hi:[0,1]
	;; [unrolled: 1-line block ×4, first 2 shown]
	v_pk_fma_f32 v[12:13], v[2:3], v[12:13], v[20:21] op_sel_hi:[1,0,1]
	v_pk_fma_f32 v[10:11], v[2:3], v[10:11], v[18:19] op_sel_hi:[1,0,1]
	v_xor_b32_e32 v32, 0x80000000, v5
	v_mov_b32_e32 v33, v4
	v_pk_fma_f32 v[8:9], v[2:3], v[8:9], v[16:17] op_sel_hi:[1,0,1]
	v_pk_fma_f32 v[0:1], v[2:3], v[0:1], v[6:7] op_sel_hi:[1,0,1]
	s_waitcnt vmcnt(1)
	v_pk_fma_f32 v[2:3], v[4:5], v[22:23], v[12:13] op_sel_hi:[1,0,1]
	v_pk_fma_f32 v[6:7], v[4:5], v[24:25], v[10:11] op_sel_hi:[1,0,1]
	v_mov_b32_e32 v10, v25
	s_waitcnt vmcnt(0)
	v_pk_fma_f32 v[8:9], v[4:5], v[26:27], v[8:9] op_sel_hi:[1,0,1]
	v_pk_fma_f32 v[12:13], v[4:5], v[28:29], v[0:1] op_sel_hi:[1,0,1]
	v_mov_b32_e32 v14, v29
	v_pk_fma_f32 v[0:1], v[32:33], v[22:23], v[2:3] op_sel:[0,1,0]
	v_pk_fma_f32 v[2:3], v[32:33], v[10:11], v[6:7] op_sel_hi:[1,0,1]
	v_pk_fma_f32 v[4:5], v[32:33], v[26:27], v[8:9] op_sel:[0,1,0]
	v_pk_fma_f32 v[6:7], v[32:33], v[14:15], v[12:13] op_sel_hi:[1,0,1]
	global_store_dwordx4 v[30:31], v[0:3], off
	global_store_dwordx4 v[30:31], v[4:7], off offset:16
.LBB74_19:
	s_endpgm
	.section	.rodata,"a",@progbits
	.p2align	6, 0x0
	.amdhsa_kernel _ZN9rocsparseL19gebsrmvn_4xn_kernelILj128ELj1ELj4E21rocsparse_complex_numIfEEEvi20rocsparse_direction_NS_24const_host_device_scalarIT2_EEPKiS8_PKS5_SA_S6_PS5_21rocsparse_index_base_b
		.amdhsa_group_segment_fixed_size 0
		.amdhsa_private_segment_fixed_size 0
		.amdhsa_kernarg_size 72
		.amdhsa_user_sgpr_count 2
		.amdhsa_user_sgpr_dispatch_ptr 0
		.amdhsa_user_sgpr_queue_ptr 0
		.amdhsa_user_sgpr_kernarg_segment_ptr 1
		.amdhsa_user_sgpr_dispatch_id 0
		.amdhsa_user_sgpr_kernarg_preload_length 0
		.amdhsa_user_sgpr_kernarg_preload_offset 0
		.amdhsa_user_sgpr_private_segment_size 0
		.amdhsa_uses_dynamic_stack 0
		.amdhsa_enable_private_segment 0
		.amdhsa_system_sgpr_workgroup_id_x 1
		.amdhsa_system_sgpr_workgroup_id_y 0
		.amdhsa_system_sgpr_workgroup_id_z 0
		.amdhsa_system_sgpr_workgroup_info 0
		.amdhsa_system_vgpr_workitem_id 0
		.amdhsa_next_free_vgpr 36
		.amdhsa_next_free_sgpr 16
		.amdhsa_accum_offset 36
		.amdhsa_reserve_vcc 1
		.amdhsa_float_round_mode_32 0
		.amdhsa_float_round_mode_16_64 0
		.amdhsa_float_denorm_mode_32 3
		.amdhsa_float_denorm_mode_16_64 3
		.amdhsa_dx10_clamp 1
		.amdhsa_ieee_mode 1
		.amdhsa_fp16_overflow 0
		.amdhsa_tg_split 0
		.amdhsa_exception_fp_ieee_invalid_op 0
		.amdhsa_exception_fp_denorm_src 0
		.amdhsa_exception_fp_ieee_div_zero 0
		.amdhsa_exception_fp_ieee_overflow 0
		.amdhsa_exception_fp_ieee_underflow 0
		.amdhsa_exception_fp_ieee_inexact 0
		.amdhsa_exception_int_div_zero 0
	.end_amdhsa_kernel
	.section	.text._ZN9rocsparseL19gebsrmvn_4xn_kernelILj128ELj1ELj4E21rocsparse_complex_numIfEEEvi20rocsparse_direction_NS_24const_host_device_scalarIT2_EEPKiS8_PKS5_SA_S6_PS5_21rocsparse_index_base_b,"axG",@progbits,_ZN9rocsparseL19gebsrmvn_4xn_kernelILj128ELj1ELj4E21rocsparse_complex_numIfEEEvi20rocsparse_direction_NS_24const_host_device_scalarIT2_EEPKiS8_PKS5_SA_S6_PS5_21rocsparse_index_base_b,comdat
.Lfunc_end74:
	.size	_ZN9rocsparseL19gebsrmvn_4xn_kernelILj128ELj1ELj4E21rocsparse_complex_numIfEEEvi20rocsparse_direction_NS_24const_host_device_scalarIT2_EEPKiS8_PKS5_SA_S6_PS5_21rocsparse_index_base_b, .Lfunc_end74-_ZN9rocsparseL19gebsrmvn_4xn_kernelILj128ELj1ELj4E21rocsparse_complex_numIfEEEvi20rocsparse_direction_NS_24const_host_device_scalarIT2_EEPKiS8_PKS5_SA_S6_PS5_21rocsparse_index_base_b
                                        ; -- End function
	.set _ZN9rocsparseL19gebsrmvn_4xn_kernelILj128ELj1ELj4E21rocsparse_complex_numIfEEEvi20rocsparse_direction_NS_24const_host_device_scalarIT2_EEPKiS8_PKS5_SA_S6_PS5_21rocsparse_index_base_b.num_vgpr, 36
	.set _ZN9rocsparseL19gebsrmvn_4xn_kernelILj128ELj1ELj4E21rocsparse_complex_numIfEEEvi20rocsparse_direction_NS_24const_host_device_scalarIT2_EEPKiS8_PKS5_SA_S6_PS5_21rocsparse_index_base_b.num_agpr, 0
	.set _ZN9rocsparseL19gebsrmvn_4xn_kernelILj128ELj1ELj4E21rocsparse_complex_numIfEEEvi20rocsparse_direction_NS_24const_host_device_scalarIT2_EEPKiS8_PKS5_SA_S6_PS5_21rocsparse_index_base_b.numbered_sgpr, 16
	.set _ZN9rocsparseL19gebsrmvn_4xn_kernelILj128ELj1ELj4E21rocsparse_complex_numIfEEEvi20rocsparse_direction_NS_24const_host_device_scalarIT2_EEPKiS8_PKS5_SA_S6_PS5_21rocsparse_index_base_b.num_named_barrier, 0
	.set _ZN9rocsparseL19gebsrmvn_4xn_kernelILj128ELj1ELj4E21rocsparse_complex_numIfEEEvi20rocsparse_direction_NS_24const_host_device_scalarIT2_EEPKiS8_PKS5_SA_S6_PS5_21rocsparse_index_base_b.private_seg_size, 0
	.set _ZN9rocsparseL19gebsrmvn_4xn_kernelILj128ELj1ELj4E21rocsparse_complex_numIfEEEvi20rocsparse_direction_NS_24const_host_device_scalarIT2_EEPKiS8_PKS5_SA_S6_PS5_21rocsparse_index_base_b.uses_vcc, 1
	.set _ZN9rocsparseL19gebsrmvn_4xn_kernelILj128ELj1ELj4E21rocsparse_complex_numIfEEEvi20rocsparse_direction_NS_24const_host_device_scalarIT2_EEPKiS8_PKS5_SA_S6_PS5_21rocsparse_index_base_b.uses_flat_scratch, 0
	.set _ZN9rocsparseL19gebsrmvn_4xn_kernelILj128ELj1ELj4E21rocsparse_complex_numIfEEEvi20rocsparse_direction_NS_24const_host_device_scalarIT2_EEPKiS8_PKS5_SA_S6_PS5_21rocsparse_index_base_b.has_dyn_sized_stack, 0
	.set _ZN9rocsparseL19gebsrmvn_4xn_kernelILj128ELj1ELj4E21rocsparse_complex_numIfEEEvi20rocsparse_direction_NS_24const_host_device_scalarIT2_EEPKiS8_PKS5_SA_S6_PS5_21rocsparse_index_base_b.has_recursion, 0
	.set _ZN9rocsparseL19gebsrmvn_4xn_kernelILj128ELj1ELj4E21rocsparse_complex_numIfEEEvi20rocsparse_direction_NS_24const_host_device_scalarIT2_EEPKiS8_PKS5_SA_S6_PS5_21rocsparse_index_base_b.has_indirect_call, 0
	.section	.AMDGPU.csdata,"",@progbits
; Kernel info:
; codeLenInByte = 1436
; TotalNumSgprs: 22
; NumVgprs: 36
; NumAgprs: 0
; TotalNumVgprs: 36
; ScratchSize: 0
; MemoryBound: 0
; FloatMode: 240
; IeeeMode: 1
; LDSByteSize: 0 bytes/workgroup (compile time only)
; SGPRBlocks: 2
; VGPRBlocks: 4
; NumSGPRsForWavesPerEU: 22
; NumVGPRsForWavesPerEU: 36
; AccumOffset: 36
; Occupancy: 8
; WaveLimiterHint : 1
; COMPUTE_PGM_RSRC2:SCRATCH_EN: 0
; COMPUTE_PGM_RSRC2:USER_SGPR: 2
; COMPUTE_PGM_RSRC2:TRAP_HANDLER: 0
; COMPUTE_PGM_RSRC2:TGID_X_EN: 1
; COMPUTE_PGM_RSRC2:TGID_Y_EN: 0
; COMPUTE_PGM_RSRC2:TGID_Z_EN: 0
; COMPUTE_PGM_RSRC2:TIDIG_COMP_CNT: 0
; COMPUTE_PGM_RSRC3_GFX90A:ACCUM_OFFSET: 8
; COMPUTE_PGM_RSRC3_GFX90A:TG_SPLIT: 0
	.section	.text._ZN9rocsparseL19gebsrmvn_4xn_kernelILj128ELj1ELj8E21rocsparse_complex_numIfEEEvi20rocsparse_direction_NS_24const_host_device_scalarIT2_EEPKiS8_PKS5_SA_S6_PS5_21rocsparse_index_base_b,"axG",@progbits,_ZN9rocsparseL19gebsrmvn_4xn_kernelILj128ELj1ELj8E21rocsparse_complex_numIfEEEvi20rocsparse_direction_NS_24const_host_device_scalarIT2_EEPKiS8_PKS5_SA_S6_PS5_21rocsparse_index_base_b,comdat
	.globl	_ZN9rocsparseL19gebsrmvn_4xn_kernelILj128ELj1ELj8E21rocsparse_complex_numIfEEEvi20rocsparse_direction_NS_24const_host_device_scalarIT2_EEPKiS8_PKS5_SA_S6_PS5_21rocsparse_index_base_b ; -- Begin function _ZN9rocsparseL19gebsrmvn_4xn_kernelILj128ELj1ELj8E21rocsparse_complex_numIfEEEvi20rocsparse_direction_NS_24const_host_device_scalarIT2_EEPKiS8_PKS5_SA_S6_PS5_21rocsparse_index_base_b
	.p2align	8
	.type	_ZN9rocsparseL19gebsrmvn_4xn_kernelILj128ELj1ELj8E21rocsparse_complex_numIfEEEvi20rocsparse_direction_NS_24const_host_device_scalarIT2_EEPKiS8_PKS5_SA_S6_PS5_21rocsparse_index_base_b,@function
_ZN9rocsparseL19gebsrmvn_4xn_kernelILj128ELj1ELj8E21rocsparse_complex_numIfEEEvi20rocsparse_direction_NS_24const_host_device_scalarIT2_EEPKiS8_PKS5_SA_S6_PS5_21rocsparse_index_base_b: ; @_ZN9rocsparseL19gebsrmvn_4xn_kernelILj128ELj1ELj8E21rocsparse_complex_numIfEEEvi20rocsparse_direction_NS_24const_host_device_scalarIT2_EEPKiS8_PKS5_SA_S6_PS5_21rocsparse_index_base_b
; %bb.0:
	s_load_dwordx2 s[4:5], s[0:1], 0x8
	s_load_dwordx2 s[6:7], s[0:1], 0x30
	;; [unrolled: 1-line block ×3, first 2 shown]
	s_add_u32 s3, s0, 8
	s_addc_u32 s8, s1, 0
	s_add_u32 s9, s0, 48
	s_addc_u32 s10, s1, 0
	s_waitcnt lgkmcnt(0)
	s_bitcmp1_b32 s13, 0
	s_cselect_b32 s3, s3, s4
	s_cselect_b32 s5, s8, s5
	v_mov_b32_e32 v2, s3
	s_cselect_b32 s3, s10, s7
	s_cselect_b32 s4, s9, s6
	v_mov_b32_e32 v3, s5
	v_mov_b32_e32 v4, s4
	;; [unrolled: 1-line block ×3, first 2 shown]
	flat_load_dwordx2 v[2:3], v[2:3]
	s_waitcnt vmcnt(0) lgkmcnt(0)
	v_cmp_eq_f32_e32 vcc, 0, v2
	flat_load_dwordx2 v[4:5], v[4:5]
	v_cmp_eq_f32_e64 s[4:5], 0, v3
	s_and_b64 s[4:5], vcc, s[4:5]
	s_waitcnt vmcnt(0) lgkmcnt(0)
	v_cmp_eq_f32_e64 s[6:7], 1.0, v4
	v_cmp_eq_f32_e64 s[8:9], 0, v5
	s_and_b64 s[6:7], s[6:7], s[8:9]
	s_and_b64 s[4:5], s[4:5], s[6:7]
	s_xor_b64 s[4:5], s[4:5], -1
	s_and_saveexec_b64 s[6:7], s[4:5]
	s_cbranch_execz .LBB75_19
; %bb.1:
	s_load_dwordx2 s[14:15], s[0:1], 0x0
	v_lshrrev_b32_e32 v1, 3, v0
	v_lshl_or_b32 v6, s2, 4, v1
	s_waitcnt lgkmcnt(0)
	v_cmp_gt_i32_e32 vcc, s14, v6
	s_and_b64 exec, exec, vcc
	s_cbranch_execz .LBB75_19
; %bb.2:
	s_load_dwordx8 s[4:11], s[0:1], 0x10
	v_ashrrev_i32_e32 v7, 31, v6
	s_cmp_lg_u32 s15, 0
	s_waitcnt lgkmcnt(0)
	v_lshl_add_u64 v[8:9], v[6:7], 2, s[4:5]
	global_load_dwordx2 v[8:9], v[8:9], off
	v_and_b32_e32 v7, 7, v0
	s_waitcnt vmcnt(0)
	v_subrev_u32_e32 v0, s12, v8
	v_subrev_u32_e32 v20, s12, v9
	v_add_u32_e32 v14, v0, v7
	v_cmp_lt_i32_e64 s[2:3], v14, v20
	s_cbranch_scc0 .LBB75_8
; %bb.3:
	v_mov_b32_e32 v13, 0
	v_mov_b32_e32 v12, v13
	;; [unrolled: 1-line block ×8, first 2 shown]
	s_and_saveexec_b64 s[4:5], s[2:3]
	s_cbranch_execz .LBB75_7
; %bb.4:
	v_mov_b32_e32 v17, 0
	v_lshlrev_b32_e32 v16, 2, v14
	s_mov_b64 s[14:15], 0
	v_mov_b32_e32 v18, v14
	v_mov_b32_e32 v10, v17
	;; [unrolled: 1-line block ×9, first 2 shown]
.LBB75_5:                               ; =>This Inner Loop Header: Depth=1
	v_ashrrev_i32_e32 v19, 31, v18
	v_lshl_add_u64 v[22:23], v[18:19], 2, s[6:7]
	global_load_dword v15, v[22:23], off
	v_lshl_add_u64 v[30:31], v[16:17], 3, s[8:9]
	v_mov_b32_e32 v33, v17
	global_load_dwordx4 v[22:25], v[30:31], off
	global_load_dwordx4 v[26:29], v[30:31], off offset:16
	v_add_u32_e32 v18, 8, v18
	v_cmp_ge_i32_e32 vcc, v18, v20
	v_add_u32_e32 v16, 32, v16
	s_or_b64 s[14:15], vcc, s[14:15]
	s_waitcnt vmcnt(2)
	v_subrev_u32_e32 v32, s12, v15
	v_lshl_add_u64 v[30:31], v[32:33], 3, s[10:11]
	global_load_dwordx2 v[30:31], v[30:31], off
	s_waitcnt vmcnt(2)
	v_xor_b32_e32 v32, 0x80000000, v25
	v_mov_b32_e32 v33, v24
	s_waitcnt vmcnt(1)
	v_xor_b32_e32 v34, 0x80000000, v29
	v_mov_b32_e32 v35, v28
	s_waitcnt vmcnt(0)
	v_pk_fma_f32 v[12:13], v[22:23], v[30:31], v[12:13] op_sel_hi:[1,0,1]
	v_pk_fma_f32 v[10:11], v[24:25], v[30:31], v[10:11] op_sel_hi:[1,0,1]
	;; [unrolled: 1-line block ×4, first 2 shown]
	v_pk_fma_f32 v[12:13], v[22:23], v[30:31], v[12:13] op_sel:[1,1,0] op_sel_hi:[0,1,1] neg_lo:[1,0,0]
	v_pk_fma_f32 v[10:11], v[32:33], v[30:31], v[10:11] op_sel:[0,1,0]
	v_pk_fma_f32 v[8:9], v[26:27], v[30:31], v[8:9] op_sel:[1,1,0] op_sel_hi:[0,1,1] neg_lo:[1,0,0]
	v_pk_fma_f32 v[0:1], v[34:35], v[30:31], v[0:1] op_sel:[0,1,0]
	s_andn2_b64 exec, exec, s[14:15]
	s_cbranch_execnz .LBB75_5
; %bb.6:
	s_or_b64 exec, exec, s[14:15]
.LBB75_7:
	s_or_b64 exec, exec, s[4:5]
	s_cbranch_execz .LBB75_9
	s_branch .LBB75_14
.LBB75_8:
                                        ; implicit-def: $vgpr13
                                        ; implicit-def: $vgpr1
                                        ; implicit-def: $vgpr9
                                        ; implicit-def: $vgpr11
.LBB75_9:
	v_mov_b32_e32 v13, 0
	v_mov_b32_e32 v12, v13
	;; [unrolled: 1-line block ×8, first 2 shown]
	s_and_saveexec_b64 s[4:5], s[2:3]
	s_cbranch_execz .LBB75_13
; %bb.10:
	v_mov_b32_e32 v17, 0
	v_lshlrev_b32_e32 v16, 2, v14
	s_mov_b64 s[2:3], 0
	v_mov_b32_e32 v10, v17
	v_mov_b32_e32 v11, v17
	;; [unrolled: 1-line block ×8, first 2 shown]
.LBB75_11:                              ; =>This Inner Loop Header: Depth=1
	v_ashrrev_i32_e32 v15, 31, v14
	v_lshl_add_u64 v[18:19], v[14:15], 2, s[6:7]
	global_load_dword v15, v[18:19], off
	v_lshl_add_u64 v[18:19], v[16:17], 3, s[8:9]
	v_mov_b32_e32 v31, v17
	global_load_dwordx4 v[22:25], v[18:19], off
	global_load_dwordx4 v[26:29], v[18:19], off offset:16
	v_add_u32_e32 v14, 8, v14
	v_cmp_ge_i32_e32 vcc, v14, v20
	v_add_u32_e32 v16, 32, v16
	s_or_b64 s[2:3], vcc, s[2:3]
	s_waitcnt vmcnt(2)
	v_subrev_u32_e32 v30, s12, v15
	v_lshl_add_u64 v[18:19], v[30:31], 3, s[10:11]
	global_load_dwordx2 v[18:19], v[18:19], off
	s_waitcnt vmcnt(2)
	v_xor_b32_e32 v30, 0x80000000, v25
	v_mov_b32_e32 v31, v24
	s_waitcnt vmcnt(1)
	v_xor_b32_e32 v32, 0x80000000, v29
	v_mov_b32_e32 v33, v28
	s_waitcnt vmcnt(0)
	v_pk_fma_f32 v[12:13], v[22:23], v[18:19], v[12:13] op_sel_hi:[1,0,1]
	v_pk_fma_f32 v[10:11], v[24:25], v[18:19], v[10:11] op_sel_hi:[1,0,1]
	;; [unrolled: 1-line block ×4, first 2 shown]
	v_pk_fma_f32 v[12:13], v[22:23], v[18:19], v[12:13] op_sel:[1,1,0] op_sel_hi:[0,1,1] neg_lo:[1,0,0]
	v_pk_fma_f32 v[10:11], v[30:31], v[18:19], v[10:11] op_sel:[0,1,0]
	v_pk_fma_f32 v[8:9], v[26:27], v[18:19], v[8:9] op_sel:[1,1,0] op_sel_hi:[0,1,1] neg_lo:[1,0,0]
	v_pk_fma_f32 v[0:1], v[32:33], v[18:19], v[0:1] op_sel:[0,1,0]
	s_andn2_b64 exec, exec, s[2:3]
	s_cbranch_execnz .LBB75_11
; %bb.12:
	s_or_b64 exec, exec, s[2:3]
.LBB75_13:
	s_or_b64 exec, exec, s[4:5]
.LBB75_14:
	v_mov_b32_dpp v18, v8 row_shr:1 row_mask:0xf bank_mask:0xf
	v_add_f32_e32 v8, v8, v18
	v_mov_b32_dpp v14, v12 row_shr:1 row_mask:0xf bank_mask:0xf
	v_mov_b32_dpp v15, v13 row_shr:1 row_mask:0xf bank_mask:0xf
	;; [unrolled: 1-line block ×3, first 2 shown]
	v_add_f32_e32 v8, v8, v18
	v_mov_b32_dpp v16, v10 row_shr:1 row_mask:0xf bank_mask:0xf
	v_mov_b32_dpp v18, v9 row_shr:1 row_mask:0xf bank_mask:0xf
	v_add_f32_e32 v9, v9, v18
	v_mov_b32_dpp v17, v11 row_shr:1 row_mask:0xf bank_mask:0xf
	v_add_f32_e32 v12, v12, v14
	;; [unrolled: 2-line block ×3, first 2 shown]
	v_add_f32_e32 v13, v13, v15
	v_mov_b32_dpp v18, v0 row_shr:1 row_mask:0xf bank_mask:0xf
	v_add_f32_e32 v0, v0, v18
	v_add_f32_e32 v10, v10, v16
	;; [unrolled: 1-line block ×3, first 2 shown]
	v_mov_b32_dpp v18, v0 row_shr:2 row_mask:0xf bank_mask:0xf
	v_add_f32_e32 v0, v0, v18
	v_mov_b32_dpp v14, v12 row_shr:2 row_mask:0xf bank_mask:0xf
	v_mov_b32_dpp v18, v1 row_shr:1 row_mask:0xf bank_mask:0xf
	v_add_f32_e32 v1, v1, v18
	v_mov_b32_dpp v15, v13 row_shr:2 row_mask:0xf bank_mask:0xf
	v_mov_b32_dpp v16, v10 row_shr:2 row_mask:0xf bank_mask:0xf
	;; [unrolled: 1-line block ×4, first 2 shown]
	v_add_f32_e32 v12, v12, v14
	v_add_f32_e32 v13, v13, v15
	v_add_f32_e32 v10, v10, v16
	v_add_f32_e32 v11, v11, v17
	v_add_f32_e32 v1, v1, v18
	v_mov_b32_dpp v14, v12 row_shr:4 row_mask:0xf bank_mask:0xe
	v_mov_b32_dpp v15, v13 row_shr:4 row_mask:0xf bank_mask:0xe
	;; [unrolled: 1-line block ×8, first 2 shown]
	v_cmp_eq_u32_e32 vcc, 7, v7
	s_and_b64 exec, exec, vcc
	s_cbranch_execz .LBB75_19
; %bb.15:
	s_load_dwordx2 s[2:3], s[0:1], 0x38
	v_cmp_eq_f32_e32 vcc, 0, v4
	v_cmp_eq_f32_e64 s[0:1], 0, v5
	v_add_f32_e32 v12, v12, v14
	v_add_f32_e32 v20, v13, v15
	;; [unrolled: 1-line block ×8, first 2 shown]
	s_and_b64 s[0:1], vcc, s[0:1]
	s_and_saveexec_b64 s[4:5], s[0:1]
	s_xor_b64 s[0:1], exec, s[4:5]
	s_cbranch_execz .LBB75_17
; %bb.16:
	v_lshlrev_b32_e32 v4, 2, v6
	v_xor_b32_e32 v22, 0x80000000, v3
	v_ashrrev_i32_e32 v5, 31, v4
	v_mov_b32_e32 v23, v2
	s_waitcnt lgkmcnt(0)
	v_lshl_add_u64 v[24:25], v[4:5], 3, s[2:3]
	v_pk_mul_f32 v[4:5], v[20:21], v[22:23] op_sel_hi:[0,1]
	v_pk_mul_f32 v[6:7], v[18:19], v[22:23] op_sel_hi:[0,1]
	v_pk_fma_f32 v[4:5], v[2:3], v[12:13], v[4:5] op_sel_hi:[1,0,1]
	v_pk_fma_f32 v[6:7], v[2:3], v[10:11], v[6:7] op_sel_hi:[1,0,1]
	global_store_dwordx4 v[24:25], v[4:7], off
                                        ; implicit-def: $vgpr12
                                        ; implicit-def: $vgpr20
                                        ; implicit-def: $vgpr10
                                        ; implicit-def: $vgpr18
	s_nop 1
	v_pk_mul_f32 v[4:5], v[16:17], v[22:23] op_sel_hi:[0,1]
	v_pk_mul_f32 v[6:7], v[14:15], v[22:23] op_sel_hi:[0,1]
	v_pk_fma_f32 v[4:5], v[2:3], v[8:9], v[4:5] op_sel_hi:[1,0,1]
	v_pk_fma_f32 v[6:7], v[2:3], v[0:1], v[6:7] op_sel_hi:[1,0,1]
	global_store_dwordx4 v[24:25], v[4:7], off offset:16
                                        ; implicit-def: $vgpr6
                                        ; implicit-def: $vgpr8
                                        ; implicit-def: $vgpr16
                                        ; implicit-def: $vgpr0
                                        ; implicit-def: $vgpr14
                                        ; implicit-def: $vgpr2_vgpr3
                                        ; implicit-def: $vgpr4_vgpr5
.LBB75_17:
	s_andn2_saveexec_b64 s[0:1], s[0:1]
	s_cbranch_execz .LBB75_19
; %bb.18:
	v_lshlrev_b32_e32 v6, 2, v6
	v_ashrrev_i32_e32 v7, 31, v6
	s_waitcnt lgkmcnt(0)
	v_lshl_add_u64 v[30:31], v[6:7], 3, s[2:3]
	global_load_dwordx4 v[22:25], v[30:31], off
	global_load_dwordx4 v[26:29], v[30:31], off offset:16
	v_xor_b32_e32 v6, 0x80000000, v3
	v_mov_b32_e32 v7, v2
	v_pk_mul_f32 v[20:21], v[20:21], v[6:7] op_sel_hi:[0,1]
	v_pk_mul_f32 v[18:19], v[18:19], v[6:7] op_sel_hi:[0,1]
	;; [unrolled: 1-line block ×4, first 2 shown]
	v_pk_fma_f32 v[12:13], v[2:3], v[12:13], v[20:21] op_sel_hi:[1,0,1]
	v_pk_fma_f32 v[10:11], v[2:3], v[10:11], v[18:19] op_sel_hi:[1,0,1]
	v_xor_b32_e32 v32, 0x80000000, v5
	v_mov_b32_e32 v33, v4
	v_pk_fma_f32 v[8:9], v[2:3], v[8:9], v[16:17] op_sel_hi:[1,0,1]
	v_pk_fma_f32 v[0:1], v[2:3], v[0:1], v[6:7] op_sel_hi:[1,0,1]
	s_waitcnt vmcnt(1)
	v_pk_fma_f32 v[2:3], v[4:5], v[22:23], v[12:13] op_sel_hi:[1,0,1]
	v_pk_fma_f32 v[6:7], v[4:5], v[24:25], v[10:11] op_sel_hi:[1,0,1]
	v_mov_b32_e32 v10, v25
	s_waitcnt vmcnt(0)
	v_pk_fma_f32 v[8:9], v[4:5], v[26:27], v[8:9] op_sel_hi:[1,0,1]
	v_pk_fma_f32 v[12:13], v[4:5], v[28:29], v[0:1] op_sel_hi:[1,0,1]
	v_mov_b32_e32 v14, v29
	v_pk_fma_f32 v[0:1], v[32:33], v[22:23], v[2:3] op_sel:[0,1,0]
	v_pk_fma_f32 v[2:3], v[32:33], v[10:11], v[6:7] op_sel_hi:[1,0,1]
	v_pk_fma_f32 v[4:5], v[32:33], v[26:27], v[8:9] op_sel:[0,1,0]
	v_pk_fma_f32 v[6:7], v[32:33], v[14:15], v[12:13] op_sel_hi:[1,0,1]
	global_store_dwordx4 v[30:31], v[0:3], off
	global_store_dwordx4 v[30:31], v[4:7], off offset:16
.LBB75_19:
	s_endpgm
	.section	.rodata,"a",@progbits
	.p2align	6, 0x0
	.amdhsa_kernel _ZN9rocsparseL19gebsrmvn_4xn_kernelILj128ELj1ELj8E21rocsparse_complex_numIfEEEvi20rocsparse_direction_NS_24const_host_device_scalarIT2_EEPKiS8_PKS5_SA_S6_PS5_21rocsparse_index_base_b
		.amdhsa_group_segment_fixed_size 0
		.amdhsa_private_segment_fixed_size 0
		.amdhsa_kernarg_size 72
		.amdhsa_user_sgpr_count 2
		.amdhsa_user_sgpr_dispatch_ptr 0
		.amdhsa_user_sgpr_queue_ptr 0
		.amdhsa_user_sgpr_kernarg_segment_ptr 1
		.amdhsa_user_sgpr_dispatch_id 0
		.amdhsa_user_sgpr_kernarg_preload_length 0
		.amdhsa_user_sgpr_kernarg_preload_offset 0
		.amdhsa_user_sgpr_private_segment_size 0
		.amdhsa_uses_dynamic_stack 0
		.amdhsa_enable_private_segment 0
		.amdhsa_system_sgpr_workgroup_id_x 1
		.amdhsa_system_sgpr_workgroup_id_y 0
		.amdhsa_system_sgpr_workgroup_id_z 0
		.amdhsa_system_sgpr_workgroup_info 0
		.amdhsa_system_vgpr_workitem_id 0
		.amdhsa_next_free_vgpr 36
		.amdhsa_next_free_sgpr 16
		.amdhsa_accum_offset 36
		.amdhsa_reserve_vcc 1
		.amdhsa_float_round_mode_32 0
		.amdhsa_float_round_mode_16_64 0
		.amdhsa_float_denorm_mode_32 3
		.amdhsa_float_denorm_mode_16_64 3
		.amdhsa_dx10_clamp 1
		.amdhsa_ieee_mode 1
		.amdhsa_fp16_overflow 0
		.amdhsa_tg_split 0
		.amdhsa_exception_fp_ieee_invalid_op 0
		.amdhsa_exception_fp_denorm_src 0
		.amdhsa_exception_fp_ieee_div_zero 0
		.amdhsa_exception_fp_ieee_overflow 0
		.amdhsa_exception_fp_ieee_underflow 0
		.amdhsa_exception_fp_ieee_inexact 0
		.amdhsa_exception_int_div_zero 0
	.end_amdhsa_kernel
	.section	.text._ZN9rocsparseL19gebsrmvn_4xn_kernelILj128ELj1ELj8E21rocsparse_complex_numIfEEEvi20rocsparse_direction_NS_24const_host_device_scalarIT2_EEPKiS8_PKS5_SA_S6_PS5_21rocsparse_index_base_b,"axG",@progbits,_ZN9rocsparseL19gebsrmvn_4xn_kernelILj128ELj1ELj8E21rocsparse_complex_numIfEEEvi20rocsparse_direction_NS_24const_host_device_scalarIT2_EEPKiS8_PKS5_SA_S6_PS5_21rocsparse_index_base_b,comdat
.Lfunc_end75:
	.size	_ZN9rocsparseL19gebsrmvn_4xn_kernelILj128ELj1ELj8E21rocsparse_complex_numIfEEEvi20rocsparse_direction_NS_24const_host_device_scalarIT2_EEPKiS8_PKS5_SA_S6_PS5_21rocsparse_index_base_b, .Lfunc_end75-_ZN9rocsparseL19gebsrmvn_4xn_kernelILj128ELj1ELj8E21rocsparse_complex_numIfEEEvi20rocsparse_direction_NS_24const_host_device_scalarIT2_EEPKiS8_PKS5_SA_S6_PS5_21rocsparse_index_base_b
                                        ; -- End function
	.set _ZN9rocsparseL19gebsrmvn_4xn_kernelILj128ELj1ELj8E21rocsparse_complex_numIfEEEvi20rocsparse_direction_NS_24const_host_device_scalarIT2_EEPKiS8_PKS5_SA_S6_PS5_21rocsparse_index_base_b.num_vgpr, 36
	.set _ZN9rocsparseL19gebsrmvn_4xn_kernelILj128ELj1ELj8E21rocsparse_complex_numIfEEEvi20rocsparse_direction_NS_24const_host_device_scalarIT2_EEPKiS8_PKS5_SA_S6_PS5_21rocsparse_index_base_b.num_agpr, 0
	.set _ZN9rocsparseL19gebsrmvn_4xn_kernelILj128ELj1ELj8E21rocsparse_complex_numIfEEEvi20rocsparse_direction_NS_24const_host_device_scalarIT2_EEPKiS8_PKS5_SA_S6_PS5_21rocsparse_index_base_b.numbered_sgpr, 16
	.set _ZN9rocsparseL19gebsrmvn_4xn_kernelILj128ELj1ELj8E21rocsparse_complex_numIfEEEvi20rocsparse_direction_NS_24const_host_device_scalarIT2_EEPKiS8_PKS5_SA_S6_PS5_21rocsparse_index_base_b.num_named_barrier, 0
	.set _ZN9rocsparseL19gebsrmvn_4xn_kernelILj128ELj1ELj8E21rocsparse_complex_numIfEEEvi20rocsparse_direction_NS_24const_host_device_scalarIT2_EEPKiS8_PKS5_SA_S6_PS5_21rocsparse_index_base_b.private_seg_size, 0
	.set _ZN9rocsparseL19gebsrmvn_4xn_kernelILj128ELj1ELj8E21rocsparse_complex_numIfEEEvi20rocsparse_direction_NS_24const_host_device_scalarIT2_EEPKiS8_PKS5_SA_S6_PS5_21rocsparse_index_base_b.uses_vcc, 1
	.set _ZN9rocsparseL19gebsrmvn_4xn_kernelILj128ELj1ELj8E21rocsparse_complex_numIfEEEvi20rocsparse_direction_NS_24const_host_device_scalarIT2_EEPKiS8_PKS5_SA_S6_PS5_21rocsparse_index_base_b.uses_flat_scratch, 0
	.set _ZN9rocsparseL19gebsrmvn_4xn_kernelILj128ELj1ELj8E21rocsparse_complex_numIfEEEvi20rocsparse_direction_NS_24const_host_device_scalarIT2_EEPKiS8_PKS5_SA_S6_PS5_21rocsparse_index_base_b.has_dyn_sized_stack, 0
	.set _ZN9rocsparseL19gebsrmvn_4xn_kernelILj128ELj1ELj8E21rocsparse_complex_numIfEEEvi20rocsparse_direction_NS_24const_host_device_scalarIT2_EEPKiS8_PKS5_SA_S6_PS5_21rocsparse_index_base_b.has_recursion, 0
	.set _ZN9rocsparseL19gebsrmvn_4xn_kernelILj128ELj1ELj8E21rocsparse_complex_numIfEEEvi20rocsparse_direction_NS_24const_host_device_scalarIT2_EEPKiS8_PKS5_SA_S6_PS5_21rocsparse_index_base_b.has_indirect_call, 0
	.section	.AMDGPU.csdata,"",@progbits
; Kernel info:
; codeLenInByte = 1532
; TotalNumSgprs: 22
; NumVgprs: 36
; NumAgprs: 0
; TotalNumVgprs: 36
; ScratchSize: 0
; MemoryBound: 0
; FloatMode: 240
; IeeeMode: 1
; LDSByteSize: 0 bytes/workgroup (compile time only)
; SGPRBlocks: 2
; VGPRBlocks: 4
; NumSGPRsForWavesPerEU: 22
; NumVGPRsForWavesPerEU: 36
; AccumOffset: 36
; Occupancy: 8
; WaveLimiterHint : 1
; COMPUTE_PGM_RSRC2:SCRATCH_EN: 0
; COMPUTE_PGM_RSRC2:USER_SGPR: 2
; COMPUTE_PGM_RSRC2:TRAP_HANDLER: 0
; COMPUTE_PGM_RSRC2:TGID_X_EN: 1
; COMPUTE_PGM_RSRC2:TGID_Y_EN: 0
; COMPUTE_PGM_RSRC2:TGID_Z_EN: 0
; COMPUTE_PGM_RSRC2:TIDIG_COMP_CNT: 0
; COMPUTE_PGM_RSRC3_GFX90A:ACCUM_OFFSET: 8
; COMPUTE_PGM_RSRC3_GFX90A:TG_SPLIT: 0
	.section	.text._ZN9rocsparseL19gebsrmvn_4xn_kernelILj128ELj1ELj16E21rocsparse_complex_numIfEEEvi20rocsparse_direction_NS_24const_host_device_scalarIT2_EEPKiS8_PKS5_SA_S6_PS5_21rocsparse_index_base_b,"axG",@progbits,_ZN9rocsparseL19gebsrmvn_4xn_kernelILj128ELj1ELj16E21rocsparse_complex_numIfEEEvi20rocsparse_direction_NS_24const_host_device_scalarIT2_EEPKiS8_PKS5_SA_S6_PS5_21rocsparse_index_base_b,comdat
	.globl	_ZN9rocsparseL19gebsrmvn_4xn_kernelILj128ELj1ELj16E21rocsparse_complex_numIfEEEvi20rocsparse_direction_NS_24const_host_device_scalarIT2_EEPKiS8_PKS5_SA_S6_PS5_21rocsparse_index_base_b ; -- Begin function _ZN9rocsparseL19gebsrmvn_4xn_kernelILj128ELj1ELj16E21rocsparse_complex_numIfEEEvi20rocsparse_direction_NS_24const_host_device_scalarIT2_EEPKiS8_PKS5_SA_S6_PS5_21rocsparse_index_base_b
	.p2align	8
	.type	_ZN9rocsparseL19gebsrmvn_4xn_kernelILj128ELj1ELj16E21rocsparse_complex_numIfEEEvi20rocsparse_direction_NS_24const_host_device_scalarIT2_EEPKiS8_PKS5_SA_S6_PS5_21rocsparse_index_base_b,@function
_ZN9rocsparseL19gebsrmvn_4xn_kernelILj128ELj1ELj16E21rocsparse_complex_numIfEEEvi20rocsparse_direction_NS_24const_host_device_scalarIT2_EEPKiS8_PKS5_SA_S6_PS5_21rocsparse_index_base_b: ; @_ZN9rocsparseL19gebsrmvn_4xn_kernelILj128ELj1ELj16E21rocsparse_complex_numIfEEEvi20rocsparse_direction_NS_24const_host_device_scalarIT2_EEPKiS8_PKS5_SA_S6_PS5_21rocsparse_index_base_b
; %bb.0:
	s_load_dwordx2 s[4:5], s[0:1], 0x8
	s_load_dwordx2 s[6:7], s[0:1], 0x30
	;; [unrolled: 1-line block ×3, first 2 shown]
	s_add_u32 s3, s0, 8
	s_addc_u32 s8, s1, 0
	s_add_u32 s9, s0, 48
	s_addc_u32 s10, s1, 0
	s_waitcnt lgkmcnt(0)
	s_bitcmp1_b32 s13, 0
	s_cselect_b32 s3, s3, s4
	s_cselect_b32 s5, s8, s5
	v_mov_b32_e32 v2, s3
	s_cselect_b32 s3, s10, s7
	s_cselect_b32 s4, s9, s6
	v_mov_b32_e32 v3, s5
	v_mov_b32_e32 v4, s4
	;; [unrolled: 1-line block ×3, first 2 shown]
	flat_load_dwordx2 v[2:3], v[2:3]
	s_waitcnt vmcnt(0) lgkmcnt(0)
	v_cmp_eq_f32_e32 vcc, 0, v2
	flat_load_dwordx2 v[4:5], v[4:5]
	v_cmp_eq_f32_e64 s[4:5], 0, v3
	s_and_b64 s[4:5], vcc, s[4:5]
	s_waitcnt vmcnt(0) lgkmcnt(0)
	v_cmp_eq_f32_e64 s[6:7], 1.0, v4
	v_cmp_eq_f32_e64 s[8:9], 0, v5
	s_and_b64 s[6:7], s[6:7], s[8:9]
	s_and_b64 s[4:5], s[4:5], s[6:7]
	s_xor_b64 s[4:5], s[4:5], -1
	s_and_saveexec_b64 s[6:7], s[4:5]
	s_cbranch_execz .LBB76_19
; %bb.1:
	s_load_dwordx2 s[14:15], s[0:1], 0x0
	v_lshrrev_b32_e32 v1, 4, v0
	v_lshl_or_b32 v6, s2, 3, v1
	s_waitcnt lgkmcnt(0)
	v_cmp_gt_i32_e32 vcc, s14, v6
	s_and_b64 exec, exec, vcc
	s_cbranch_execz .LBB76_19
; %bb.2:
	s_load_dwordx8 s[4:11], s[0:1], 0x10
	v_ashrrev_i32_e32 v7, 31, v6
	s_cmp_lg_u32 s15, 0
	s_waitcnt lgkmcnt(0)
	v_lshl_add_u64 v[8:9], v[6:7], 2, s[4:5]
	global_load_dwordx2 v[8:9], v[8:9], off
	v_and_b32_e32 v7, 15, v0
	s_waitcnt vmcnt(0)
	v_subrev_u32_e32 v0, s12, v8
	v_subrev_u32_e32 v20, s12, v9
	v_add_u32_e32 v14, v0, v7
	v_cmp_lt_i32_e64 s[2:3], v14, v20
	s_cbranch_scc0 .LBB76_8
; %bb.3:
	v_mov_b32_e32 v13, 0
	v_mov_b32_e32 v12, v13
	;; [unrolled: 1-line block ×8, first 2 shown]
	s_and_saveexec_b64 s[4:5], s[2:3]
	s_cbranch_execz .LBB76_7
; %bb.4:
	v_mov_b32_e32 v17, 0
	v_lshlrev_b32_e32 v16, 2, v14
	s_mov_b64 s[14:15], 0
	v_mov_b32_e32 v18, v14
	v_mov_b32_e32 v10, v17
	;; [unrolled: 1-line block ×9, first 2 shown]
.LBB76_5:                               ; =>This Inner Loop Header: Depth=1
	v_ashrrev_i32_e32 v19, 31, v18
	v_lshl_add_u64 v[22:23], v[18:19], 2, s[6:7]
	global_load_dword v15, v[22:23], off
	v_lshl_add_u64 v[30:31], v[16:17], 3, s[8:9]
	v_mov_b32_e32 v33, v17
	global_load_dwordx4 v[22:25], v[30:31], off
	global_load_dwordx4 v[26:29], v[30:31], off offset:16
	v_add_u32_e32 v18, 16, v18
	v_cmp_ge_i32_e32 vcc, v18, v20
	v_add_u32_e32 v16, 64, v16
	s_or_b64 s[14:15], vcc, s[14:15]
	s_waitcnt vmcnt(2)
	v_subrev_u32_e32 v32, s12, v15
	v_lshl_add_u64 v[30:31], v[32:33], 3, s[10:11]
	global_load_dwordx2 v[30:31], v[30:31], off
	s_waitcnt vmcnt(2)
	v_xor_b32_e32 v32, 0x80000000, v25
	v_mov_b32_e32 v33, v24
	s_waitcnt vmcnt(1)
	v_xor_b32_e32 v34, 0x80000000, v29
	v_mov_b32_e32 v35, v28
	s_waitcnt vmcnt(0)
	v_pk_fma_f32 v[12:13], v[22:23], v[30:31], v[12:13] op_sel_hi:[1,0,1]
	v_pk_fma_f32 v[10:11], v[24:25], v[30:31], v[10:11] op_sel_hi:[1,0,1]
	;; [unrolled: 1-line block ×4, first 2 shown]
	v_pk_fma_f32 v[12:13], v[22:23], v[30:31], v[12:13] op_sel:[1,1,0] op_sel_hi:[0,1,1] neg_lo:[1,0,0]
	v_pk_fma_f32 v[10:11], v[32:33], v[30:31], v[10:11] op_sel:[0,1,0]
	v_pk_fma_f32 v[8:9], v[26:27], v[30:31], v[8:9] op_sel:[1,1,0] op_sel_hi:[0,1,1] neg_lo:[1,0,0]
	v_pk_fma_f32 v[0:1], v[34:35], v[30:31], v[0:1] op_sel:[0,1,0]
	s_andn2_b64 exec, exec, s[14:15]
	s_cbranch_execnz .LBB76_5
; %bb.6:
	s_or_b64 exec, exec, s[14:15]
.LBB76_7:
	s_or_b64 exec, exec, s[4:5]
	s_cbranch_execz .LBB76_9
	s_branch .LBB76_14
.LBB76_8:
                                        ; implicit-def: $vgpr13
                                        ; implicit-def: $vgpr1
                                        ; implicit-def: $vgpr9
                                        ; implicit-def: $vgpr11
.LBB76_9:
	v_mov_b32_e32 v13, 0
	v_mov_b32_e32 v12, v13
	;; [unrolled: 1-line block ×8, first 2 shown]
	s_and_saveexec_b64 s[4:5], s[2:3]
	s_cbranch_execz .LBB76_13
; %bb.10:
	v_mov_b32_e32 v17, 0
	v_lshlrev_b32_e32 v16, 2, v14
	s_mov_b64 s[2:3], 0
	v_mov_b32_e32 v10, v17
	v_mov_b32_e32 v11, v17
	;; [unrolled: 1-line block ×8, first 2 shown]
.LBB76_11:                              ; =>This Inner Loop Header: Depth=1
	v_ashrrev_i32_e32 v15, 31, v14
	v_lshl_add_u64 v[18:19], v[14:15], 2, s[6:7]
	global_load_dword v15, v[18:19], off
	v_lshl_add_u64 v[18:19], v[16:17], 3, s[8:9]
	v_mov_b32_e32 v31, v17
	global_load_dwordx4 v[22:25], v[18:19], off
	global_load_dwordx4 v[26:29], v[18:19], off offset:16
	v_add_u32_e32 v14, 16, v14
	v_cmp_ge_i32_e32 vcc, v14, v20
	v_add_u32_e32 v16, 64, v16
	s_or_b64 s[2:3], vcc, s[2:3]
	s_waitcnt vmcnt(2)
	v_subrev_u32_e32 v30, s12, v15
	v_lshl_add_u64 v[18:19], v[30:31], 3, s[10:11]
	global_load_dwordx2 v[18:19], v[18:19], off
	s_waitcnt vmcnt(2)
	v_xor_b32_e32 v30, 0x80000000, v25
	v_mov_b32_e32 v31, v24
	s_waitcnt vmcnt(1)
	v_xor_b32_e32 v32, 0x80000000, v29
	v_mov_b32_e32 v33, v28
	s_waitcnt vmcnt(0)
	v_pk_fma_f32 v[12:13], v[22:23], v[18:19], v[12:13] op_sel_hi:[1,0,1]
	v_pk_fma_f32 v[10:11], v[24:25], v[18:19], v[10:11] op_sel_hi:[1,0,1]
	;; [unrolled: 1-line block ×4, first 2 shown]
	v_pk_fma_f32 v[12:13], v[22:23], v[18:19], v[12:13] op_sel:[1,1,0] op_sel_hi:[0,1,1] neg_lo:[1,0,0]
	v_pk_fma_f32 v[10:11], v[30:31], v[18:19], v[10:11] op_sel:[0,1,0]
	v_pk_fma_f32 v[8:9], v[26:27], v[18:19], v[8:9] op_sel:[1,1,0] op_sel_hi:[0,1,1] neg_lo:[1,0,0]
	v_pk_fma_f32 v[0:1], v[32:33], v[18:19], v[0:1] op_sel:[0,1,0]
	s_andn2_b64 exec, exec, s[2:3]
	s_cbranch_execnz .LBB76_11
; %bb.12:
	s_or_b64 exec, exec, s[2:3]
.LBB76_13:
	s_or_b64 exec, exec, s[4:5]
.LBB76_14:
	v_mov_b32_dpp v18, v8 row_shr:1 row_mask:0xf bank_mask:0xf
	v_add_f32_e32 v8, v8, v18
	v_mov_b32_dpp v14, v12 row_shr:1 row_mask:0xf bank_mask:0xf
	v_mov_b32_dpp v15, v13 row_shr:1 row_mask:0xf bank_mask:0xf
	;; [unrolled: 1-line block ×3, first 2 shown]
	v_add_f32_e32 v8, v8, v18
	v_mov_b32_dpp v16, v10 row_shr:1 row_mask:0xf bank_mask:0xf
	v_mov_b32_dpp v17, v11 row_shr:1 row_mask:0xf bank_mask:0xf
	;; [unrolled: 1-line block ×3, first 2 shown]
	v_add_f32_e32 v8, v8, v18
	v_add_f32_e32 v12, v12, v14
	v_mov_b32_dpp v18, v9 row_shr:1 row_mask:0xf bank_mask:0xf
	v_add_f32_e32 v9, v9, v18
	v_add_f32_e32 v13, v13, v15
	;; [unrolled: 1-line block ×3, first 2 shown]
	v_mov_b32_dpp v18, v9 row_shr:2 row_mask:0xf bank_mask:0xf
	v_add_f32_e32 v9, v9, v18
	v_add_f32_e32 v11, v11, v17
	v_mov_b32_dpp v14, v12 row_shr:2 row_mask:0xf bank_mask:0xf
	v_mov_b32_dpp v18, v9 row_shr:4 row_mask:0xf bank_mask:0xe
	v_add_f32_e32 v9, v9, v18
	v_mov_b32_dpp v15, v13 row_shr:2 row_mask:0xf bank_mask:0xf
	v_mov_b32_dpp v18, v0 row_shr:1 row_mask:0xf bank_mask:0xf
	;; [unrolled: 3-line block ×3, first 2 shown]
	v_mov_b32_dpp v18, v0 row_shr:2 row_mask:0xf bank_mask:0xf
	v_add_f32_e32 v0, v0, v18
	v_add_f32_e32 v12, v12, v14
	v_add_f32_e32 v13, v13, v15
	v_mov_b32_dpp v18, v0 row_shr:4 row_mask:0xf bank_mask:0xe
	v_add_f32_e32 v0, v0, v18
	v_add_f32_e32 v10, v10, v16
	v_mov_b32_dpp v18, v1 row_shr:1 row_mask:0xf bank_mask:0xf
	v_add_f32_e32 v1, v1, v18
	v_add_f32_e32 v11, v11, v17
	v_mov_b32_dpp v14, v12 row_shr:4 row_mask:0xf bank_mask:0xe
	v_mov_b32_dpp v18, v1 row_shr:2 row_mask:0xf bank_mask:0xf
	v_add_f32_e32 v1, v1, v18
	v_mov_b32_dpp v15, v13 row_shr:4 row_mask:0xf bank_mask:0xe
	v_mov_b32_dpp v16, v10 row_shr:4 row_mask:0xf bank_mask:0xe
	;; [unrolled: 1-line block ×4, first 2 shown]
	v_add_f32_e32 v12, v12, v14
	v_add_f32_e32 v13, v13, v15
	;; [unrolled: 1-line block ×5, first 2 shown]
	v_mov_b32_dpp v14, v12 row_shr:8 row_mask:0xf bank_mask:0xc
	v_mov_b32_dpp v15, v13 row_shr:8 row_mask:0xf bank_mask:0xc
	;; [unrolled: 1-line block ×8, first 2 shown]
	v_cmp_eq_u32_e32 vcc, 15, v7
	s_and_b64 exec, exec, vcc
	s_cbranch_execz .LBB76_19
; %bb.15:
	s_load_dwordx2 s[2:3], s[0:1], 0x38
	v_cmp_eq_f32_e32 vcc, 0, v4
	v_cmp_eq_f32_e64 s[0:1], 0, v5
	v_add_f32_e32 v12, v12, v14
	v_add_f32_e32 v20, v13, v15
	;; [unrolled: 1-line block ×8, first 2 shown]
	s_and_b64 s[0:1], vcc, s[0:1]
	s_and_saveexec_b64 s[4:5], s[0:1]
	s_xor_b64 s[0:1], exec, s[4:5]
	s_cbranch_execz .LBB76_17
; %bb.16:
	v_lshlrev_b32_e32 v4, 2, v6
	v_xor_b32_e32 v22, 0x80000000, v3
	v_ashrrev_i32_e32 v5, 31, v4
	v_mov_b32_e32 v23, v2
	s_waitcnt lgkmcnt(0)
	v_lshl_add_u64 v[24:25], v[4:5], 3, s[2:3]
	v_pk_mul_f32 v[4:5], v[20:21], v[22:23] op_sel_hi:[0,1]
	v_pk_mul_f32 v[6:7], v[18:19], v[22:23] op_sel_hi:[0,1]
	v_pk_fma_f32 v[4:5], v[2:3], v[12:13], v[4:5] op_sel_hi:[1,0,1]
	v_pk_fma_f32 v[6:7], v[2:3], v[10:11], v[6:7] op_sel_hi:[1,0,1]
	global_store_dwordx4 v[24:25], v[4:7], off
                                        ; implicit-def: $vgpr12
                                        ; implicit-def: $vgpr20
                                        ; implicit-def: $vgpr10
                                        ; implicit-def: $vgpr18
	s_nop 1
	v_pk_mul_f32 v[4:5], v[16:17], v[22:23] op_sel_hi:[0,1]
	v_pk_mul_f32 v[6:7], v[14:15], v[22:23] op_sel_hi:[0,1]
	v_pk_fma_f32 v[4:5], v[2:3], v[8:9], v[4:5] op_sel_hi:[1,0,1]
	v_pk_fma_f32 v[6:7], v[2:3], v[0:1], v[6:7] op_sel_hi:[1,0,1]
	global_store_dwordx4 v[24:25], v[4:7], off offset:16
                                        ; implicit-def: $vgpr6
                                        ; implicit-def: $vgpr8
                                        ; implicit-def: $vgpr16
                                        ; implicit-def: $vgpr0
                                        ; implicit-def: $vgpr14
                                        ; implicit-def: $vgpr2_vgpr3
                                        ; implicit-def: $vgpr4_vgpr5
.LBB76_17:
	s_andn2_saveexec_b64 s[0:1], s[0:1]
	s_cbranch_execz .LBB76_19
; %bb.18:
	v_lshlrev_b32_e32 v6, 2, v6
	v_ashrrev_i32_e32 v7, 31, v6
	s_waitcnt lgkmcnt(0)
	v_lshl_add_u64 v[30:31], v[6:7], 3, s[2:3]
	global_load_dwordx4 v[22:25], v[30:31], off
	global_load_dwordx4 v[26:29], v[30:31], off offset:16
	v_xor_b32_e32 v6, 0x80000000, v3
	v_mov_b32_e32 v7, v2
	v_pk_mul_f32 v[20:21], v[20:21], v[6:7] op_sel_hi:[0,1]
	v_pk_mul_f32 v[18:19], v[18:19], v[6:7] op_sel_hi:[0,1]
	;; [unrolled: 1-line block ×4, first 2 shown]
	v_pk_fma_f32 v[12:13], v[2:3], v[12:13], v[20:21] op_sel_hi:[1,0,1]
	v_pk_fma_f32 v[10:11], v[2:3], v[10:11], v[18:19] op_sel_hi:[1,0,1]
	v_xor_b32_e32 v32, 0x80000000, v5
	v_mov_b32_e32 v33, v4
	v_pk_fma_f32 v[8:9], v[2:3], v[8:9], v[16:17] op_sel_hi:[1,0,1]
	v_pk_fma_f32 v[0:1], v[2:3], v[0:1], v[6:7] op_sel_hi:[1,0,1]
	s_waitcnt vmcnt(1)
	v_pk_fma_f32 v[2:3], v[4:5], v[22:23], v[12:13] op_sel_hi:[1,0,1]
	v_pk_fma_f32 v[6:7], v[4:5], v[24:25], v[10:11] op_sel_hi:[1,0,1]
	v_mov_b32_e32 v10, v25
	s_waitcnt vmcnt(0)
	v_pk_fma_f32 v[8:9], v[4:5], v[26:27], v[8:9] op_sel_hi:[1,0,1]
	v_pk_fma_f32 v[12:13], v[4:5], v[28:29], v[0:1] op_sel_hi:[1,0,1]
	v_mov_b32_e32 v14, v29
	v_pk_fma_f32 v[0:1], v[32:33], v[22:23], v[2:3] op_sel:[0,1,0]
	v_pk_fma_f32 v[2:3], v[32:33], v[10:11], v[6:7] op_sel_hi:[1,0,1]
	v_pk_fma_f32 v[4:5], v[32:33], v[26:27], v[8:9] op_sel:[0,1,0]
	v_pk_fma_f32 v[6:7], v[32:33], v[14:15], v[12:13] op_sel_hi:[1,0,1]
	global_store_dwordx4 v[30:31], v[0:3], off
	global_store_dwordx4 v[30:31], v[4:7], off offset:16
.LBB76_19:
	s_endpgm
	.section	.rodata,"a",@progbits
	.p2align	6, 0x0
	.amdhsa_kernel _ZN9rocsparseL19gebsrmvn_4xn_kernelILj128ELj1ELj16E21rocsparse_complex_numIfEEEvi20rocsparse_direction_NS_24const_host_device_scalarIT2_EEPKiS8_PKS5_SA_S6_PS5_21rocsparse_index_base_b
		.amdhsa_group_segment_fixed_size 0
		.amdhsa_private_segment_fixed_size 0
		.amdhsa_kernarg_size 72
		.amdhsa_user_sgpr_count 2
		.amdhsa_user_sgpr_dispatch_ptr 0
		.amdhsa_user_sgpr_queue_ptr 0
		.amdhsa_user_sgpr_kernarg_segment_ptr 1
		.amdhsa_user_sgpr_dispatch_id 0
		.amdhsa_user_sgpr_kernarg_preload_length 0
		.amdhsa_user_sgpr_kernarg_preload_offset 0
		.amdhsa_user_sgpr_private_segment_size 0
		.amdhsa_uses_dynamic_stack 0
		.amdhsa_enable_private_segment 0
		.amdhsa_system_sgpr_workgroup_id_x 1
		.amdhsa_system_sgpr_workgroup_id_y 0
		.amdhsa_system_sgpr_workgroup_id_z 0
		.amdhsa_system_sgpr_workgroup_info 0
		.amdhsa_system_vgpr_workitem_id 0
		.amdhsa_next_free_vgpr 36
		.amdhsa_next_free_sgpr 16
		.amdhsa_accum_offset 36
		.amdhsa_reserve_vcc 1
		.amdhsa_float_round_mode_32 0
		.amdhsa_float_round_mode_16_64 0
		.amdhsa_float_denorm_mode_32 3
		.amdhsa_float_denorm_mode_16_64 3
		.amdhsa_dx10_clamp 1
		.amdhsa_ieee_mode 1
		.amdhsa_fp16_overflow 0
		.amdhsa_tg_split 0
		.amdhsa_exception_fp_ieee_invalid_op 0
		.amdhsa_exception_fp_denorm_src 0
		.amdhsa_exception_fp_ieee_div_zero 0
		.amdhsa_exception_fp_ieee_overflow 0
		.amdhsa_exception_fp_ieee_underflow 0
		.amdhsa_exception_fp_ieee_inexact 0
		.amdhsa_exception_int_div_zero 0
	.end_amdhsa_kernel
	.section	.text._ZN9rocsparseL19gebsrmvn_4xn_kernelILj128ELj1ELj16E21rocsparse_complex_numIfEEEvi20rocsparse_direction_NS_24const_host_device_scalarIT2_EEPKiS8_PKS5_SA_S6_PS5_21rocsparse_index_base_b,"axG",@progbits,_ZN9rocsparseL19gebsrmvn_4xn_kernelILj128ELj1ELj16E21rocsparse_complex_numIfEEEvi20rocsparse_direction_NS_24const_host_device_scalarIT2_EEPKiS8_PKS5_SA_S6_PS5_21rocsparse_index_base_b,comdat
.Lfunc_end76:
	.size	_ZN9rocsparseL19gebsrmvn_4xn_kernelILj128ELj1ELj16E21rocsparse_complex_numIfEEEvi20rocsparse_direction_NS_24const_host_device_scalarIT2_EEPKiS8_PKS5_SA_S6_PS5_21rocsparse_index_base_b, .Lfunc_end76-_ZN9rocsparseL19gebsrmvn_4xn_kernelILj128ELj1ELj16E21rocsparse_complex_numIfEEEvi20rocsparse_direction_NS_24const_host_device_scalarIT2_EEPKiS8_PKS5_SA_S6_PS5_21rocsparse_index_base_b
                                        ; -- End function
	.set _ZN9rocsparseL19gebsrmvn_4xn_kernelILj128ELj1ELj16E21rocsparse_complex_numIfEEEvi20rocsparse_direction_NS_24const_host_device_scalarIT2_EEPKiS8_PKS5_SA_S6_PS5_21rocsparse_index_base_b.num_vgpr, 36
	.set _ZN9rocsparseL19gebsrmvn_4xn_kernelILj128ELj1ELj16E21rocsparse_complex_numIfEEEvi20rocsparse_direction_NS_24const_host_device_scalarIT2_EEPKiS8_PKS5_SA_S6_PS5_21rocsparse_index_base_b.num_agpr, 0
	.set _ZN9rocsparseL19gebsrmvn_4xn_kernelILj128ELj1ELj16E21rocsparse_complex_numIfEEEvi20rocsparse_direction_NS_24const_host_device_scalarIT2_EEPKiS8_PKS5_SA_S6_PS5_21rocsparse_index_base_b.numbered_sgpr, 16
	.set _ZN9rocsparseL19gebsrmvn_4xn_kernelILj128ELj1ELj16E21rocsparse_complex_numIfEEEvi20rocsparse_direction_NS_24const_host_device_scalarIT2_EEPKiS8_PKS5_SA_S6_PS5_21rocsparse_index_base_b.num_named_barrier, 0
	.set _ZN9rocsparseL19gebsrmvn_4xn_kernelILj128ELj1ELj16E21rocsparse_complex_numIfEEEvi20rocsparse_direction_NS_24const_host_device_scalarIT2_EEPKiS8_PKS5_SA_S6_PS5_21rocsparse_index_base_b.private_seg_size, 0
	.set _ZN9rocsparseL19gebsrmvn_4xn_kernelILj128ELj1ELj16E21rocsparse_complex_numIfEEEvi20rocsparse_direction_NS_24const_host_device_scalarIT2_EEPKiS8_PKS5_SA_S6_PS5_21rocsparse_index_base_b.uses_vcc, 1
	.set _ZN9rocsparseL19gebsrmvn_4xn_kernelILj128ELj1ELj16E21rocsparse_complex_numIfEEEvi20rocsparse_direction_NS_24const_host_device_scalarIT2_EEPKiS8_PKS5_SA_S6_PS5_21rocsparse_index_base_b.uses_flat_scratch, 0
	.set _ZN9rocsparseL19gebsrmvn_4xn_kernelILj128ELj1ELj16E21rocsparse_complex_numIfEEEvi20rocsparse_direction_NS_24const_host_device_scalarIT2_EEPKiS8_PKS5_SA_S6_PS5_21rocsparse_index_base_b.has_dyn_sized_stack, 0
	.set _ZN9rocsparseL19gebsrmvn_4xn_kernelILj128ELj1ELj16E21rocsparse_complex_numIfEEEvi20rocsparse_direction_NS_24const_host_device_scalarIT2_EEPKiS8_PKS5_SA_S6_PS5_21rocsparse_index_base_b.has_recursion, 0
	.set _ZN9rocsparseL19gebsrmvn_4xn_kernelILj128ELj1ELj16E21rocsparse_complex_numIfEEEvi20rocsparse_direction_NS_24const_host_device_scalarIT2_EEPKiS8_PKS5_SA_S6_PS5_21rocsparse_index_base_b.has_indirect_call, 0
	.section	.AMDGPU.csdata,"",@progbits
; Kernel info:
; codeLenInByte = 1628
; TotalNumSgprs: 22
; NumVgprs: 36
; NumAgprs: 0
; TotalNumVgprs: 36
; ScratchSize: 0
; MemoryBound: 0
; FloatMode: 240
; IeeeMode: 1
; LDSByteSize: 0 bytes/workgroup (compile time only)
; SGPRBlocks: 2
; VGPRBlocks: 4
; NumSGPRsForWavesPerEU: 22
; NumVGPRsForWavesPerEU: 36
; AccumOffset: 36
; Occupancy: 8
; WaveLimiterHint : 1
; COMPUTE_PGM_RSRC2:SCRATCH_EN: 0
; COMPUTE_PGM_RSRC2:USER_SGPR: 2
; COMPUTE_PGM_RSRC2:TRAP_HANDLER: 0
; COMPUTE_PGM_RSRC2:TGID_X_EN: 1
; COMPUTE_PGM_RSRC2:TGID_Y_EN: 0
; COMPUTE_PGM_RSRC2:TGID_Z_EN: 0
; COMPUTE_PGM_RSRC2:TIDIG_COMP_CNT: 0
; COMPUTE_PGM_RSRC3_GFX90A:ACCUM_OFFSET: 8
; COMPUTE_PGM_RSRC3_GFX90A:TG_SPLIT: 0
	.section	.text._ZN9rocsparseL19gebsrmvn_4xn_kernelILj128ELj1ELj32E21rocsparse_complex_numIfEEEvi20rocsparse_direction_NS_24const_host_device_scalarIT2_EEPKiS8_PKS5_SA_S6_PS5_21rocsparse_index_base_b,"axG",@progbits,_ZN9rocsparseL19gebsrmvn_4xn_kernelILj128ELj1ELj32E21rocsparse_complex_numIfEEEvi20rocsparse_direction_NS_24const_host_device_scalarIT2_EEPKiS8_PKS5_SA_S6_PS5_21rocsparse_index_base_b,comdat
	.globl	_ZN9rocsparseL19gebsrmvn_4xn_kernelILj128ELj1ELj32E21rocsparse_complex_numIfEEEvi20rocsparse_direction_NS_24const_host_device_scalarIT2_EEPKiS8_PKS5_SA_S6_PS5_21rocsparse_index_base_b ; -- Begin function _ZN9rocsparseL19gebsrmvn_4xn_kernelILj128ELj1ELj32E21rocsparse_complex_numIfEEEvi20rocsparse_direction_NS_24const_host_device_scalarIT2_EEPKiS8_PKS5_SA_S6_PS5_21rocsparse_index_base_b
	.p2align	8
	.type	_ZN9rocsparseL19gebsrmvn_4xn_kernelILj128ELj1ELj32E21rocsparse_complex_numIfEEEvi20rocsparse_direction_NS_24const_host_device_scalarIT2_EEPKiS8_PKS5_SA_S6_PS5_21rocsparse_index_base_b,@function
_ZN9rocsparseL19gebsrmvn_4xn_kernelILj128ELj1ELj32E21rocsparse_complex_numIfEEEvi20rocsparse_direction_NS_24const_host_device_scalarIT2_EEPKiS8_PKS5_SA_S6_PS5_21rocsparse_index_base_b: ; @_ZN9rocsparseL19gebsrmvn_4xn_kernelILj128ELj1ELj32E21rocsparse_complex_numIfEEEvi20rocsparse_direction_NS_24const_host_device_scalarIT2_EEPKiS8_PKS5_SA_S6_PS5_21rocsparse_index_base_b
; %bb.0:
	s_load_dwordx2 s[4:5], s[0:1], 0x8
	s_load_dwordx2 s[6:7], s[0:1], 0x30
	;; [unrolled: 1-line block ×3, first 2 shown]
	s_add_u32 s3, s0, 8
	s_addc_u32 s8, s1, 0
	s_add_u32 s9, s0, 48
	s_addc_u32 s10, s1, 0
	s_waitcnt lgkmcnt(0)
	s_bitcmp1_b32 s13, 0
	s_cselect_b32 s3, s3, s4
	s_cselect_b32 s5, s8, s5
	v_mov_b32_e32 v2, s3
	s_cselect_b32 s3, s10, s7
	s_cselect_b32 s4, s9, s6
	v_mov_b32_e32 v3, s5
	v_mov_b32_e32 v4, s4
	;; [unrolled: 1-line block ×3, first 2 shown]
	flat_load_dwordx2 v[2:3], v[2:3]
	s_waitcnt vmcnt(0) lgkmcnt(0)
	v_cmp_eq_f32_e32 vcc, 0, v2
	flat_load_dwordx2 v[4:5], v[4:5]
	v_cmp_eq_f32_e64 s[4:5], 0, v3
	s_and_b64 s[4:5], vcc, s[4:5]
	s_waitcnt vmcnt(0) lgkmcnt(0)
	v_cmp_eq_f32_e64 s[6:7], 1.0, v4
	v_cmp_eq_f32_e64 s[8:9], 0, v5
	s_and_b64 s[6:7], s[6:7], s[8:9]
	s_and_b64 s[4:5], s[4:5], s[6:7]
	s_xor_b64 s[4:5], s[4:5], -1
	s_and_saveexec_b64 s[6:7], s[4:5]
	s_cbranch_execz .LBB77_19
; %bb.1:
	s_load_dwordx2 s[14:15], s[0:1], 0x0
	v_lshrrev_b32_e32 v1, 5, v0
	v_lshl_or_b32 v6, s2, 2, v1
	s_waitcnt lgkmcnt(0)
	v_cmp_gt_i32_e32 vcc, s14, v6
	s_and_b64 exec, exec, vcc
	s_cbranch_execz .LBB77_19
; %bb.2:
	s_load_dwordx8 s[4:11], s[0:1], 0x10
	v_ashrrev_i32_e32 v7, 31, v6
	s_cmp_lg_u32 s15, 0
	s_waitcnt lgkmcnt(0)
	v_lshl_add_u64 v[8:9], v[6:7], 2, s[4:5]
	global_load_dwordx2 v[8:9], v[8:9], off
	v_and_b32_e32 v7, 31, v0
	s_waitcnt vmcnt(0)
	v_subrev_u32_e32 v0, s12, v8
	v_subrev_u32_e32 v20, s12, v9
	v_add_u32_e32 v14, v0, v7
	v_cmp_lt_i32_e64 s[2:3], v14, v20
	s_cbranch_scc0 .LBB77_8
; %bb.3:
	v_mov_b32_e32 v13, 0
	v_mov_b32_e32 v12, v13
	;; [unrolled: 1-line block ×8, first 2 shown]
	s_and_saveexec_b64 s[4:5], s[2:3]
	s_cbranch_execz .LBB77_7
; %bb.4:
	v_mov_b32_e32 v17, 0
	v_lshlrev_b32_e32 v16, 2, v14
	s_mov_b64 s[14:15], 0
	v_mov_b32_e32 v18, v14
	v_mov_b32_e32 v10, v17
	v_mov_b32_e32 v11, v17
	v_mov_b32_e32 v8, v17
	v_mov_b32_e32 v9, v17
	v_mov_b32_e32 v0, v17
	v_mov_b32_e32 v1, v17
	v_mov_b32_e32 v12, v17
	v_mov_b32_e32 v13, v17
.LBB77_5:                               ; =>This Inner Loop Header: Depth=1
	v_ashrrev_i32_e32 v19, 31, v18
	v_lshl_add_u64 v[22:23], v[18:19], 2, s[6:7]
	global_load_dword v15, v[22:23], off
	v_lshl_add_u64 v[30:31], v[16:17], 3, s[8:9]
	v_mov_b32_e32 v33, v17
	global_load_dwordx4 v[22:25], v[30:31], off
	global_load_dwordx4 v[26:29], v[30:31], off offset:16
	v_add_u32_e32 v18, 32, v18
	v_cmp_ge_i32_e32 vcc, v18, v20
	v_add_u32_e32 v16, 0x80, v16
	s_or_b64 s[14:15], vcc, s[14:15]
	s_waitcnt vmcnt(2)
	v_subrev_u32_e32 v32, s12, v15
	v_lshl_add_u64 v[30:31], v[32:33], 3, s[10:11]
	global_load_dwordx2 v[30:31], v[30:31], off
	s_waitcnt vmcnt(2)
	v_xor_b32_e32 v32, 0x80000000, v25
	v_mov_b32_e32 v33, v24
	s_waitcnt vmcnt(1)
	v_xor_b32_e32 v34, 0x80000000, v29
	v_mov_b32_e32 v35, v28
	s_waitcnt vmcnt(0)
	v_pk_fma_f32 v[12:13], v[22:23], v[30:31], v[12:13] op_sel_hi:[1,0,1]
	v_pk_fma_f32 v[10:11], v[24:25], v[30:31], v[10:11] op_sel_hi:[1,0,1]
	;; [unrolled: 1-line block ×4, first 2 shown]
	v_pk_fma_f32 v[12:13], v[22:23], v[30:31], v[12:13] op_sel:[1,1,0] op_sel_hi:[0,1,1] neg_lo:[1,0,0]
	v_pk_fma_f32 v[10:11], v[32:33], v[30:31], v[10:11] op_sel:[0,1,0]
	v_pk_fma_f32 v[8:9], v[26:27], v[30:31], v[8:9] op_sel:[1,1,0] op_sel_hi:[0,1,1] neg_lo:[1,0,0]
	v_pk_fma_f32 v[0:1], v[34:35], v[30:31], v[0:1] op_sel:[0,1,0]
	s_andn2_b64 exec, exec, s[14:15]
	s_cbranch_execnz .LBB77_5
; %bb.6:
	s_or_b64 exec, exec, s[14:15]
.LBB77_7:
	s_or_b64 exec, exec, s[4:5]
	s_cbranch_execz .LBB77_9
	s_branch .LBB77_14
.LBB77_8:
                                        ; implicit-def: $vgpr13
                                        ; implicit-def: $vgpr1
                                        ; implicit-def: $vgpr9
                                        ; implicit-def: $vgpr11
.LBB77_9:
	v_mov_b32_e32 v13, 0
	v_mov_b32_e32 v12, v13
	;; [unrolled: 1-line block ×8, first 2 shown]
	s_and_saveexec_b64 s[4:5], s[2:3]
	s_cbranch_execz .LBB77_13
; %bb.10:
	v_mov_b32_e32 v17, 0
	v_lshlrev_b32_e32 v16, 2, v14
	s_mov_b64 s[2:3], 0
	v_mov_b32_e32 v10, v17
	v_mov_b32_e32 v11, v17
	;; [unrolled: 1-line block ×8, first 2 shown]
.LBB77_11:                              ; =>This Inner Loop Header: Depth=1
	v_ashrrev_i32_e32 v15, 31, v14
	v_lshl_add_u64 v[18:19], v[14:15], 2, s[6:7]
	global_load_dword v15, v[18:19], off
	v_lshl_add_u64 v[18:19], v[16:17], 3, s[8:9]
	v_mov_b32_e32 v31, v17
	global_load_dwordx4 v[22:25], v[18:19], off
	global_load_dwordx4 v[26:29], v[18:19], off offset:16
	v_add_u32_e32 v14, 32, v14
	v_cmp_ge_i32_e32 vcc, v14, v20
	v_add_u32_e32 v16, 0x80, v16
	s_or_b64 s[2:3], vcc, s[2:3]
	s_waitcnt vmcnt(2)
	v_subrev_u32_e32 v30, s12, v15
	v_lshl_add_u64 v[18:19], v[30:31], 3, s[10:11]
	global_load_dwordx2 v[18:19], v[18:19], off
	s_waitcnt vmcnt(2)
	v_xor_b32_e32 v30, 0x80000000, v25
	v_mov_b32_e32 v31, v24
	s_waitcnt vmcnt(1)
	v_xor_b32_e32 v32, 0x80000000, v29
	v_mov_b32_e32 v33, v28
	s_waitcnt vmcnt(0)
	v_pk_fma_f32 v[12:13], v[22:23], v[18:19], v[12:13] op_sel_hi:[1,0,1]
	v_pk_fma_f32 v[10:11], v[24:25], v[18:19], v[10:11] op_sel_hi:[1,0,1]
	;; [unrolled: 1-line block ×4, first 2 shown]
	v_pk_fma_f32 v[12:13], v[22:23], v[18:19], v[12:13] op_sel:[1,1,0] op_sel_hi:[0,1,1] neg_lo:[1,0,0]
	v_pk_fma_f32 v[10:11], v[30:31], v[18:19], v[10:11] op_sel:[0,1,0]
	v_pk_fma_f32 v[8:9], v[26:27], v[18:19], v[8:9] op_sel:[1,1,0] op_sel_hi:[0,1,1] neg_lo:[1,0,0]
	v_pk_fma_f32 v[0:1], v[32:33], v[18:19], v[0:1] op_sel:[0,1,0]
	s_andn2_b64 exec, exec, s[2:3]
	s_cbranch_execnz .LBB77_11
; %bb.12:
	s_or_b64 exec, exec, s[2:3]
.LBB77_13:
	s_or_b64 exec, exec, s[4:5]
.LBB77_14:
	v_mov_b32_dpp v18, v8 row_shr:1 row_mask:0xf bank_mask:0xf
	v_add_f32_e32 v8, v8, v18
	v_mov_b32_dpp v14, v12 row_shr:1 row_mask:0xf bank_mask:0xf
	v_mov_b32_dpp v15, v13 row_shr:1 row_mask:0xf bank_mask:0xf
	;; [unrolled: 1-line block ×3, first 2 shown]
	v_add_f32_e32 v8, v8, v18
	v_mov_b32_dpp v16, v10 row_shr:1 row_mask:0xf bank_mask:0xf
	v_mov_b32_dpp v17, v11 row_shr:1 row_mask:0xf bank_mask:0xf
	;; [unrolled: 1-line block ×3, first 2 shown]
	v_add_f32_e32 v8, v8, v18
	v_add_f32_e32 v12, v12, v14
	;; [unrolled: 1-line block ×3, first 2 shown]
	v_mov_b32_dpp v18, v8 row_shr:8 row_mask:0xf bank_mask:0xc
	v_add_f32_e32 v8, v8, v18
	v_add_f32_e32 v10, v10, v16
	v_mov_b32_dpp v18, v9 row_shr:1 row_mask:0xf bank_mask:0xf
	v_add_f32_e32 v9, v9, v18
	v_add_f32_e32 v11, v11, v17
	v_mov_b32_dpp v14, v12 row_shr:2 row_mask:0xf bank_mask:0xf
	v_mov_b32_dpp v18, v9 row_shr:2 row_mask:0xf bank_mask:0xf
	v_add_f32_e32 v9, v9, v18
	v_mov_b32_dpp v15, v13 row_shr:2 row_mask:0xf bank_mask:0xf
	v_mov_b32_dpp v16, v10 row_shr:2 row_mask:0xf bank_mask:0xf
	;; [unrolled: 1-line block ×3, first 2 shown]
	v_add_f32_e32 v9, v9, v18
	v_mov_b32_dpp v17, v11 row_shr:2 row_mask:0xf bank_mask:0xf
	v_add_f32_e32 v12, v12, v14
	v_mov_b32_dpp v18, v9 row_shr:8 row_mask:0xf bank_mask:0xc
	v_add_f32_e32 v9, v9, v18
	v_add_f32_e32 v13, v13, v15
	v_mov_b32_dpp v18, v0 row_shr:1 row_mask:0xf bank_mask:0xf
	v_add_f32_e32 v0, v0, v18
	v_add_f32_e32 v10, v10, v16
	v_add_f32_e32 v11, v11, v17
	v_mov_b32_dpp v18, v0 row_shr:2 row_mask:0xf bank_mask:0xf
	v_add_f32_e32 v0, v0, v18
	v_mov_b32_dpp v14, v12 row_shr:4 row_mask:0xf bank_mask:0xe
	v_mov_b32_dpp v15, v13 row_shr:4 row_mask:0xf bank_mask:0xe
	;; [unrolled: 1-line block ×3, first 2 shown]
	v_add_f32_e32 v0, v0, v18
	v_mov_b32_dpp v16, v10 row_shr:4 row_mask:0xf bank_mask:0xe
	v_mov_b32_dpp v17, v11 row_shr:4 row_mask:0xf bank_mask:0xe
	;; [unrolled: 1-line block ×3, first 2 shown]
	v_add_f32_e32 v0, v0, v18
	v_add_f32_e32 v12, v12, v14
	v_mov_b32_dpp v18, v1 row_shr:1 row_mask:0xf bank_mask:0xf
	v_add_f32_e32 v1, v1, v18
	v_add_f32_e32 v13, v13, v15
	;; [unrolled: 1-line block ×3, first 2 shown]
	v_mov_b32_dpp v18, v1 row_shr:2 row_mask:0xf bank_mask:0xf
	v_add_f32_e32 v1, v1, v18
	v_add_f32_e32 v11, v11, v17
	v_mov_b32_dpp v14, v12 row_shr:8 row_mask:0xf bank_mask:0xc
	v_mov_b32_dpp v18, v1 row_shr:4 row_mask:0xf bank_mask:0xe
	v_add_f32_e32 v1, v1, v18
	v_mov_b32_dpp v15, v13 row_shr:8 row_mask:0xf bank_mask:0xc
	v_mov_b32_dpp v16, v10 row_shr:8 row_mask:0xf bank_mask:0xc
	;; [unrolled: 1-line block ×4, first 2 shown]
	v_add_f32_e32 v12, v12, v14
	v_add_f32_e32 v13, v13, v15
	;; [unrolled: 1-line block ×5, first 2 shown]
	v_mov_b32_dpp v14, v12 row_bcast:15 row_mask:0xa bank_mask:0xf
	v_mov_b32_dpp v15, v13 row_bcast:15 row_mask:0xa bank_mask:0xf
	;; [unrolled: 1-line block ×8, first 2 shown]
	v_cmp_eq_u32_e32 vcc, 31, v7
	s_and_b64 exec, exec, vcc
	s_cbranch_execz .LBB77_19
; %bb.15:
	s_load_dwordx2 s[2:3], s[0:1], 0x38
	v_cmp_eq_f32_e32 vcc, 0, v4
	v_cmp_eq_f32_e64 s[0:1], 0, v5
	v_add_f32_e32 v12, v12, v14
	v_add_f32_e32 v20, v13, v15
	;; [unrolled: 1-line block ×8, first 2 shown]
	s_and_b64 s[0:1], vcc, s[0:1]
	s_and_saveexec_b64 s[4:5], s[0:1]
	s_xor_b64 s[0:1], exec, s[4:5]
	s_cbranch_execz .LBB77_17
; %bb.16:
	v_lshlrev_b32_e32 v4, 2, v6
	v_xor_b32_e32 v22, 0x80000000, v3
	v_ashrrev_i32_e32 v5, 31, v4
	v_mov_b32_e32 v23, v2
	s_waitcnt lgkmcnt(0)
	v_lshl_add_u64 v[24:25], v[4:5], 3, s[2:3]
	v_pk_mul_f32 v[4:5], v[20:21], v[22:23] op_sel_hi:[0,1]
	v_pk_mul_f32 v[6:7], v[18:19], v[22:23] op_sel_hi:[0,1]
	v_pk_fma_f32 v[4:5], v[2:3], v[12:13], v[4:5] op_sel_hi:[1,0,1]
	v_pk_fma_f32 v[6:7], v[2:3], v[10:11], v[6:7] op_sel_hi:[1,0,1]
	global_store_dwordx4 v[24:25], v[4:7], off
                                        ; implicit-def: $vgpr12
                                        ; implicit-def: $vgpr20
                                        ; implicit-def: $vgpr10
                                        ; implicit-def: $vgpr18
	s_nop 1
	v_pk_mul_f32 v[4:5], v[16:17], v[22:23] op_sel_hi:[0,1]
	v_pk_mul_f32 v[6:7], v[14:15], v[22:23] op_sel_hi:[0,1]
	v_pk_fma_f32 v[4:5], v[2:3], v[8:9], v[4:5] op_sel_hi:[1,0,1]
	v_pk_fma_f32 v[6:7], v[2:3], v[0:1], v[6:7] op_sel_hi:[1,0,1]
	global_store_dwordx4 v[24:25], v[4:7], off offset:16
                                        ; implicit-def: $vgpr6
                                        ; implicit-def: $vgpr8
                                        ; implicit-def: $vgpr16
                                        ; implicit-def: $vgpr0
                                        ; implicit-def: $vgpr14
                                        ; implicit-def: $vgpr2_vgpr3
                                        ; implicit-def: $vgpr4_vgpr5
.LBB77_17:
	s_andn2_saveexec_b64 s[0:1], s[0:1]
	s_cbranch_execz .LBB77_19
; %bb.18:
	v_lshlrev_b32_e32 v6, 2, v6
	v_ashrrev_i32_e32 v7, 31, v6
	s_waitcnt lgkmcnt(0)
	v_lshl_add_u64 v[30:31], v[6:7], 3, s[2:3]
	global_load_dwordx4 v[22:25], v[30:31], off
	global_load_dwordx4 v[26:29], v[30:31], off offset:16
	v_xor_b32_e32 v6, 0x80000000, v3
	v_mov_b32_e32 v7, v2
	v_pk_mul_f32 v[20:21], v[20:21], v[6:7] op_sel_hi:[0,1]
	v_pk_mul_f32 v[18:19], v[18:19], v[6:7] op_sel_hi:[0,1]
	;; [unrolled: 1-line block ×4, first 2 shown]
	v_pk_fma_f32 v[12:13], v[2:3], v[12:13], v[20:21] op_sel_hi:[1,0,1]
	v_pk_fma_f32 v[10:11], v[2:3], v[10:11], v[18:19] op_sel_hi:[1,0,1]
	v_xor_b32_e32 v32, 0x80000000, v5
	v_mov_b32_e32 v33, v4
	v_pk_fma_f32 v[8:9], v[2:3], v[8:9], v[16:17] op_sel_hi:[1,0,1]
	v_pk_fma_f32 v[0:1], v[2:3], v[0:1], v[6:7] op_sel_hi:[1,0,1]
	s_waitcnt vmcnt(1)
	v_pk_fma_f32 v[2:3], v[4:5], v[22:23], v[12:13] op_sel_hi:[1,0,1]
	v_pk_fma_f32 v[6:7], v[4:5], v[24:25], v[10:11] op_sel_hi:[1,0,1]
	v_mov_b32_e32 v10, v25
	s_waitcnt vmcnt(0)
	v_pk_fma_f32 v[8:9], v[4:5], v[26:27], v[8:9] op_sel_hi:[1,0,1]
	v_pk_fma_f32 v[12:13], v[4:5], v[28:29], v[0:1] op_sel_hi:[1,0,1]
	v_mov_b32_e32 v14, v29
	v_pk_fma_f32 v[0:1], v[32:33], v[22:23], v[2:3] op_sel:[0,1,0]
	v_pk_fma_f32 v[2:3], v[32:33], v[10:11], v[6:7] op_sel_hi:[1,0,1]
	v_pk_fma_f32 v[4:5], v[32:33], v[26:27], v[8:9] op_sel:[0,1,0]
	v_pk_fma_f32 v[6:7], v[32:33], v[14:15], v[12:13] op_sel_hi:[1,0,1]
	global_store_dwordx4 v[30:31], v[0:3], off
	global_store_dwordx4 v[30:31], v[4:7], off offset:16
.LBB77_19:
	s_endpgm
	.section	.rodata,"a",@progbits
	.p2align	6, 0x0
	.amdhsa_kernel _ZN9rocsparseL19gebsrmvn_4xn_kernelILj128ELj1ELj32E21rocsparse_complex_numIfEEEvi20rocsparse_direction_NS_24const_host_device_scalarIT2_EEPKiS8_PKS5_SA_S6_PS5_21rocsparse_index_base_b
		.amdhsa_group_segment_fixed_size 0
		.amdhsa_private_segment_fixed_size 0
		.amdhsa_kernarg_size 72
		.amdhsa_user_sgpr_count 2
		.amdhsa_user_sgpr_dispatch_ptr 0
		.amdhsa_user_sgpr_queue_ptr 0
		.amdhsa_user_sgpr_kernarg_segment_ptr 1
		.amdhsa_user_sgpr_dispatch_id 0
		.amdhsa_user_sgpr_kernarg_preload_length 0
		.amdhsa_user_sgpr_kernarg_preload_offset 0
		.amdhsa_user_sgpr_private_segment_size 0
		.amdhsa_uses_dynamic_stack 0
		.amdhsa_enable_private_segment 0
		.amdhsa_system_sgpr_workgroup_id_x 1
		.amdhsa_system_sgpr_workgroup_id_y 0
		.amdhsa_system_sgpr_workgroup_id_z 0
		.amdhsa_system_sgpr_workgroup_info 0
		.amdhsa_system_vgpr_workitem_id 0
		.amdhsa_next_free_vgpr 36
		.amdhsa_next_free_sgpr 16
		.amdhsa_accum_offset 36
		.amdhsa_reserve_vcc 1
		.amdhsa_float_round_mode_32 0
		.amdhsa_float_round_mode_16_64 0
		.amdhsa_float_denorm_mode_32 3
		.amdhsa_float_denorm_mode_16_64 3
		.amdhsa_dx10_clamp 1
		.amdhsa_ieee_mode 1
		.amdhsa_fp16_overflow 0
		.amdhsa_tg_split 0
		.amdhsa_exception_fp_ieee_invalid_op 0
		.amdhsa_exception_fp_denorm_src 0
		.amdhsa_exception_fp_ieee_div_zero 0
		.amdhsa_exception_fp_ieee_overflow 0
		.amdhsa_exception_fp_ieee_underflow 0
		.amdhsa_exception_fp_ieee_inexact 0
		.amdhsa_exception_int_div_zero 0
	.end_amdhsa_kernel
	.section	.text._ZN9rocsparseL19gebsrmvn_4xn_kernelILj128ELj1ELj32E21rocsparse_complex_numIfEEEvi20rocsparse_direction_NS_24const_host_device_scalarIT2_EEPKiS8_PKS5_SA_S6_PS5_21rocsparse_index_base_b,"axG",@progbits,_ZN9rocsparseL19gebsrmvn_4xn_kernelILj128ELj1ELj32E21rocsparse_complex_numIfEEEvi20rocsparse_direction_NS_24const_host_device_scalarIT2_EEPKiS8_PKS5_SA_S6_PS5_21rocsparse_index_base_b,comdat
.Lfunc_end77:
	.size	_ZN9rocsparseL19gebsrmvn_4xn_kernelILj128ELj1ELj32E21rocsparse_complex_numIfEEEvi20rocsparse_direction_NS_24const_host_device_scalarIT2_EEPKiS8_PKS5_SA_S6_PS5_21rocsparse_index_base_b, .Lfunc_end77-_ZN9rocsparseL19gebsrmvn_4xn_kernelILj128ELj1ELj32E21rocsparse_complex_numIfEEEvi20rocsparse_direction_NS_24const_host_device_scalarIT2_EEPKiS8_PKS5_SA_S6_PS5_21rocsparse_index_base_b
                                        ; -- End function
	.set _ZN9rocsparseL19gebsrmvn_4xn_kernelILj128ELj1ELj32E21rocsparse_complex_numIfEEEvi20rocsparse_direction_NS_24const_host_device_scalarIT2_EEPKiS8_PKS5_SA_S6_PS5_21rocsparse_index_base_b.num_vgpr, 36
	.set _ZN9rocsparseL19gebsrmvn_4xn_kernelILj128ELj1ELj32E21rocsparse_complex_numIfEEEvi20rocsparse_direction_NS_24const_host_device_scalarIT2_EEPKiS8_PKS5_SA_S6_PS5_21rocsparse_index_base_b.num_agpr, 0
	.set _ZN9rocsparseL19gebsrmvn_4xn_kernelILj128ELj1ELj32E21rocsparse_complex_numIfEEEvi20rocsparse_direction_NS_24const_host_device_scalarIT2_EEPKiS8_PKS5_SA_S6_PS5_21rocsparse_index_base_b.numbered_sgpr, 16
	.set _ZN9rocsparseL19gebsrmvn_4xn_kernelILj128ELj1ELj32E21rocsparse_complex_numIfEEEvi20rocsparse_direction_NS_24const_host_device_scalarIT2_EEPKiS8_PKS5_SA_S6_PS5_21rocsparse_index_base_b.num_named_barrier, 0
	.set _ZN9rocsparseL19gebsrmvn_4xn_kernelILj128ELj1ELj32E21rocsparse_complex_numIfEEEvi20rocsparse_direction_NS_24const_host_device_scalarIT2_EEPKiS8_PKS5_SA_S6_PS5_21rocsparse_index_base_b.private_seg_size, 0
	.set _ZN9rocsparseL19gebsrmvn_4xn_kernelILj128ELj1ELj32E21rocsparse_complex_numIfEEEvi20rocsparse_direction_NS_24const_host_device_scalarIT2_EEPKiS8_PKS5_SA_S6_PS5_21rocsparse_index_base_b.uses_vcc, 1
	.set _ZN9rocsparseL19gebsrmvn_4xn_kernelILj128ELj1ELj32E21rocsparse_complex_numIfEEEvi20rocsparse_direction_NS_24const_host_device_scalarIT2_EEPKiS8_PKS5_SA_S6_PS5_21rocsparse_index_base_b.uses_flat_scratch, 0
	.set _ZN9rocsparseL19gebsrmvn_4xn_kernelILj128ELj1ELj32E21rocsparse_complex_numIfEEEvi20rocsparse_direction_NS_24const_host_device_scalarIT2_EEPKiS8_PKS5_SA_S6_PS5_21rocsparse_index_base_b.has_dyn_sized_stack, 0
	.set _ZN9rocsparseL19gebsrmvn_4xn_kernelILj128ELj1ELj32E21rocsparse_complex_numIfEEEvi20rocsparse_direction_NS_24const_host_device_scalarIT2_EEPKiS8_PKS5_SA_S6_PS5_21rocsparse_index_base_b.has_recursion, 0
	.set _ZN9rocsparseL19gebsrmvn_4xn_kernelILj128ELj1ELj32E21rocsparse_complex_numIfEEEvi20rocsparse_direction_NS_24const_host_device_scalarIT2_EEPKiS8_PKS5_SA_S6_PS5_21rocsparse_index_base_b.has_indirect_call, 0
	.section	.AMDGPU.csdata,"",@progbits
; Kernel info:
; codeLenInByte = 1732
; TotalNumSgprs: 22
; NumVgprs: 36
; NumAgprs: 0
; TotalNumVgprs: 36
; ScratchSize: 0
; MemoryBound: 0
; FloatMode: 240
; IeeeMode: 1
; LDSByteSize: 0 bytes/workgroup (compile time only)
; SGPRBlocks: 2
; VGPRBlocks: 4
; NumSGPRsForWavesPerEU: 22
; NumVGPRsForWavesPerEU: 36
; AccumOffset: 36
; Occupancy: 8
; WaveLimiterHint : 1
; COMPUTE_PGM_RSRC2:SCRATCH_EN: 0
; COMPUTE_PGM_RSRC2:USER_SGPR: 2
; COMPUTE_PGM_RSRC2:TRAP_HANDLER: 0
; COMPUTE_PGM_RSRC2:TGID_X_EN: 1
; COMPUTE_PGM_RSRC2:TGID_Y_EN: 0
; COMPUTE_PGM_RSRC2:TGID_Z_EN: 0
; COMPUTE_PGM_RSRC2:TIDIG_COMP_CNT: 0
; COMPUTE_PGM_RSRC3_GFX90A:ACCUM_OFFSET: 8
; COMPUTE_PGM_RSRC3_GFX90A:TG_SPLIT: 0
	.section	.text._ZN9rocsparseL19gebsrmvn_4xn_kernelILj128ELj1ELj64E21rocsparse_complex_numIfEEEvi20rocsparse_direction_NS_24const_host_device_scalarIT2_EEPKiS8_PKS5_SA_S6_PS5_21rocsparse_index_base_b,"axG",@progbits,_ZN9rocsparseL19gebsrmvn_4xn_kernelILj128ELj1ELj64E21rocsparse_complex_numIfEEEvi20rocsparse_direction_NS_24const_host_device_scalarIT2_EEPKiS8_PKS5_SA_S6_PS5_21rocsparse_index_base_b,comdat
	.globl	_ZN9rocsparseL19gebsrmvn_4xn_kernelILj128ELj1ELj64E21rocsparse_complex_numIfEEEvi20rocsparse_direction_NS_24const_host_device_scalarIT2_EEPKiS8_PKS5_SA_S6_PS5_21rocsparse_index_base_b ; -- Begin function _ZN9rocsparseL19gebsrmvn_4xn_kernelILj128ELj1ELj64E21rocsparse_complex_numIfEEEvi20rocsparse_direction_NS_24const_host_device_scalarIT2_EEPKiS8_PKS5_SA_S6_PS5_21rocsparse_index_base_b
	.p2align	8
	.type	_ZN9rocsparseL19gebsrmvn_4xn_kernelILj128ELj1ELj64E21rocsparse_complex_numIfEEEvi20rocsparse_direction_NS_24const_host_device_scalarIT2_EEPKiS8_PKS5_SA_S6_PS5_21rocsparse_index_base_b,@function
_ZN9rocsparseL19gebsrmvn_4xn_kernelILj128ELj1ELj64E21rocsparse_complex_numIfEEEvi20rocsparse_direction_NS_24const_host_device_scalarIT2_EEPKiS8_PKS5_SA_S6_PS5_21rocsparse_index_base_b: ; @_ZN9rocsparseL19gebsrmvn_4xn_kernelILj128ELj1ELj64E21rocsparse_complex_numIfEEEvi20rocsparse_direction_NS_24const_host_device_scalarIT2_EEPKiS8_PKS5_SA_S6_PS5_21rocsparse_index_base_b
; %bb.0:
	s_load_dwordx2 s[4:5], s[0:1], 0x8
	s_load_dwordx2 s[6:7], s[0:1], 0x30
	;; [unrolled: 1-line block ×3, first 2 shown]
	s_add_u32 s3, s0, 8
	s_addc_u32 s8, s1, 0
	s_add_u32 s9, s0, 48
	s_addc_u32 s10, s1, 0
	s_waitcnt lgkmcnt(0)
	s_bitcmp1_b32 s13, 0
	s_cselect_b32 s3, s3, s4
	s_cselect_b32 s5, s8, s5
	v_mov_b32_e32 v2, s3
	s_cselect_b32 s3, s10, s7
	s_cselect_b32 s4, s9, s6
	v_mov_b32_e32 v3, s5
	v_mov_b32_e32 v4, s4
	;; [unrolled: 1-line block ×3, first 2 shown]
	flat_load_dwordx2 v[2:3], v[2:3]
	s_waitcnt vmcnt(0) lgkmcnt(0)
	v_cmp_eq_f32_e32 vcc, 0, v2
	flat_load_dwordx2 v[4:5], v[4:5]
	v_cmp_eq_f32_e64 s[4:5], 0, v3
	s_and_b64 s[4:5], vcc, s[4:5]
	s_waitcnt vmcnt(0) lgkmcnt(0)
	v_cmp_eq_f32_e64 s[6:7], 1.0, v4
	v_cmp_eq_f32_e64 s[8:9], 0, v5
	s_and_b64 s[6:7], s[6:7], s[8:9]
	s_and_b64 s[4:5], s[4:5], s[6:7]
	s_xor_b64 s[4:5], s[4:5], -1
	s_and_saveexec_b64 s[6:7], s[4:5]
	s_cbranch_execz .LBB78_19
; %bb.1:
	s_load_dwordx2 s[14:15], s[0:1], 0x0
	v_lshrrev_b32_e32 v1, 6, v0
	v_lshl_or_b32 v6, s2, 1, v1
	s_waitcnt lgkmcnt(0)
	v_cmp_gt_i32_e32 vcc, s14, v6
	s_and_b64 exec, exec, vcc
	s_cbranch_execz .LBB78_19
; %bb.2:
	s_load_dwordx8 s[4:11], s[0:1], 0x10
	v_ashrrev_i32_e32 v7, 31, v6
	s_cmp_lg_u32 s15, 0
	s_waitcnt lgkmcnt(0)
	v_lshl_add_u64 v[8:9], v[6:7], 2, s[4:5]
	global_load_dwordx2 v[8:9], v[8:9], off
	v_and_b32_e32 v7, 63, v0
	s_waitcnt vmcnt(0)
	v_subrev_u32_e32 v0, s12, v8
	v_subrev_u32_e32 v20, s12, v9
	v_add_u32_e32 v14, v0, v7
	v_cmp_lt_i32_e64 s[2:3], v14, v20
	s_cbranch_scc0 .LBB78_8
; %bb.3:
	v_mov_b32_e32 v13, 0
	v_mov_b32_e32 v12, v13
	;; [unrolled: 1-line block ×8, first 2 shown]
	s_and_saveexec_b64 s[4:5], s[2:3]
	s_cbranch_execz .LBB78_7
; %bb.4:
	v_mov_b32_e32 v17, 0
	v_lshlrev_b32_e32 v16, 2, v14
	s_mov_b64 s[14:15], 0
	v_mov_b32_e32 v18, v14
	v_mov_b32_e32 v10, v17
	;; [unrolled: 1-line block ×9, first 2 shown]
.LBB78_5:                               ; =>This Inner Loop Header: Depth=1
	v_ashrrev_i32_e32 v19, 31, v18
	v_lshl_add_u64 v[22:23], v[18:19], 2, s[6:7]
	global_load_dword v15, v[22:23], off
	v_lshl_add_u64 v[30:31], v[16:17], 3, s[8:9]
	v_mov_b32_e32 v33, v17
	global_load_dwordx4 v[22:25], v[30:31], off
	global_load_dwordx4 v[26:29], v[30:31], off offset:16
	v_add_u32_e32 v18, 64, v18
	v_cmp_ge_i32_e32 vcc, v18, v20
	v_add_u32_e32 v16, 0x100, v16
	s_or_b64 s[14:15], vcc, s[14:15]
	s_waitcnt vmcnt(2)
	v_subrev_u32_e32 v32, s12, v15
	v_lshl_add_u64 v[30:31], v[32:33], 3, s[10:11]
	global_load_dwordx2 v[30:31], v[30:31], off
	s_waitcnt vmcnt(2)
	v_xor_b32_e32 v32, 0x80000000, v25
	v_mov_b32_e32 v33, v24
	s_waitcnt vmcnt(1)
	v_xor_b32_e32 v34, 0x80000000, v29
	v_mov_b32_e32 v35, v28
	s_waitcnt vmcnt(0)
	v_pk_fma_f32 v[12:13], v[22:23], v[30:31], v[12:13] op_sel_hi:[1,0,1]
	v_pk_fma_f32 v[10:11], v[24:25], v[30:31], v[10:11] op_sel_hi:[1,0,1]
	;; [unrolled: 1-line block ×4, first 2 shown]
	v_pk_fma_f32 v[12:13], v[22:23], v[30:31], v[12:13] op_sel:[1,1,0] op_sel_hi:[0,1,1] neg_lo:[1,0,0]
	v_pk_fma_f32 v[10:11], v[32:33], v[30:31], v[10:11] op_sel:[0,1,0]
	v_pk_fma_f32 v[8:9], v[26:27], v[30:31], v[8:9] op_sel:[1,1,0] op_sel_hi:[0,1,1] neg_lo:[1,0,0]
	v_pk_fma_f32 v[0:1], v[34:35], v[30:31], v[0:1] op_sel:[0,1,0]
	s_andn2_b64 exec, exec, s[14:15]
	s_cbranch_execnz .LBB78_5
; %bb.6:
	s_or_b64 exec, exec, s[14:15]
.LBB78_7:
	s_or_b64 exec, exec, s[4:5]
	s_cbranch_execz .LBB78_9
	s_branch .LBB78_14
.LBB78_8:
                                        ; implicit-def: $vgpr13
                                        ; implicit-def: $vgpr1
                                        ; implicit-def: $vgpr9
                                        ; implicit-def: $vgpr11
.LBB78_9:
	v_mov_b32_e32 v13, 0
	v_mov_b32_e32 v12, v13
	;; [unrolled: 1-line block ×8, first 2 shown]
	s_and_saveexec_b64 s[4:5], s[2:3]
	s_cbranch_execz .LBB78_13
; %bb.10:
	v_mov_b32_e32 v17, 0
	v_lshlrev_b32_e32 v16, 2, v14
	s_mov_b64 s[2:3], 0
	v_mov_b32_e32 v10, v17
	v_mov_b32_e32 v11, v17
	;; [unrolled: 1-line block ×8, first 2 shown]
.LBB78_11:                              ; =>This Inner Loop Header: Depth=1
	v_ashrrev_i32_e32 v15, 31, v14
	v_lshl_add_u64 v[18:19], v[14:15], 2, s[6:7]
	global_load_dword v15, v[18:19], off
	v_lshl_add_u64 v[18:19], v[16:17], 3, s[8:9]
	v_mov_b32_e32 v31, v17
	global_load_dwordx4 v[22:25], v[18:19], off
	global_load_dwordx4 v[26:29], v[18:19], off offset:16
	v_add_u32_e32 v14, 64, v14
	v_cmp_ge_i32_e32 vcc, v14, v20
	v_add_u32_e32 v16, 0x100, v16
	s_or_b64 s[2:3], vcc, s[2:3]
	s_waitcnt vmcnt(2)
	v_subrev_u32_e32 v30, s12, v15
	v_lshl_add_u64 v[18:19], v[30:31], 3, s[10:11]
	global_load_dwordx2 v[18:19], v[18:19], off
	s_waitcnt vmcnt(2)
	v_xor_b32_e32 v30, 0x80000000, v25
	v_mov_b32_e32 v31, v24
	s_waitcnt vmcnt(1)
	v_xor_b32_e32 v32, 0x80000000, v29
	v_mov_b32_e32 v33, v28
	s_waitcnt vmcnt(0)
	v_pk_fma_f32 v[12:13], v[22:23], v[18:19], v[12:13] op_sel_hi:[1,0,1]
	v_pk_fma_f32 v[10:11], v[24:25], v[18:19], v[10:11] op_sel_hi:[1,0,1]
	;; [unrolled: 1-line block ×4, first 2 shown]
	v_pk_fma_f32 v[12:13], v[22:23], v[18:19], v[12:13] op_sel:[1,1,0] op_sel_hi:[0,1,1] neg_lo:[1,0,0]
	v_pk_fma_f32 v[10:11], v[30:31], v[18:19], v[10:11] op_sel:[0,1,0]
	v_pk_fma_f32 v[8:9], v[26:27], v[18:19], v[8:9] op_sel:[1,1,0] op_sel_hi:[0,1,1] neg_lo:[1,0,0]
	v_pk_fma_f32 v[0:1], v[32:33], v[18:19], v[0:1] op_sel:[0,1,0]
	s_andn2_b64 exec, exec, s[2:3]
	s_cbranch_execnz .LBB78_11
; %bb.12:
	s_or_b64 exec, exec, s[2:3]
.LBB78_13:
	s_or_b64 exec, exec, s[4:5]
.LBB78_14:
	v_mov_b32_dpp v18, v8 row_shr:1 row_mask:0xf bank_mask:0xf
	v_add_f32_e32 v8, v8, v18
	v_mov_b32_dpp v14, v12 row_shr:1 row_mask:0xf bank_mask:0xf
	v_mov_b32_dpp v15, v13 row_shr:1 row_mask:0xf bank_mask:0xf
	;; [unrolled: 1-line block ×3, first 2 shown]
	v_add_f32_e32 v8, v8, v18
	v_mov_b32_dpp v16, v10 row_shr:1 row_mask:0xf bank_mask:0xf
	v_mov_b32_dpp v17, v11 row_shr:1 row_mask:0xf bank_mask:0xf
	;; [unrolled: 1-line block ×3, first 2 shown]
	v_add_f32_e32 v8, v8, v18
	v_add_f32_e32 v12, v12, v14
	;; [unrolled: 1-line block ×3, first 2 shown]
	v_mov_b32_dpp v18, v8 row_shr:8 row_mask:0xf bank_mask:0xc
	v_add_f32_e32 v8, v8, v18
	v_add_f32_e32 v10, v10, v16
	;; [unrolled: 1-line block ×3, first 2 shown]
	v_mov_b32_dpp v18, v8 row_bcast:15 row_mask:0xa bank_mask:0xf
	v_add_f32_e32 v8, v8, v18
	v_mov_b32_dpp v14, v12 row_shr:2 row_mask:0xf bank_mask:0xf
	v_mov_b32_dpp v18, v9 row_shr:1 row_mask:0xf bank_mask:0xf
	v_add_f32_e32 v9, v9, v18
	v_mov_b32_dpp v15, v13 row_shr:2 row_mask:0xf bank_mask:0xf
	v_mov_b32_dpp v16, v10 row_shr:2 row_mask:0xf bank_mask:0xf
	;; [unrolled: 1-line block ×3, first 2 shown]
	v_add_f32_e32 v9, v9, v18
	v_mov_b32_dpp v17, v11 row_shr:2 row_mask:0xf bank_mask:0xf
	v_add_f32_e32 v12, v12, v14
	v_mov_b32_dpp v18, v9 row_shr:4 row_mask:0xf bank_mask:0xe
	v_add_f32_e32 v9, v9, v18
	v_add_f32_e32 v13, v13, v15
	;; [unrolled: 1-line block ×3, first 2 shown]
	v_mov_b32_dpp v18, v9 row_shr:8 row_mask:0xf bank_mask:0xc
	v_add_f32_e32 v9, v9, v18
	v_add_f32_e32 v11, v11, v17
	v_mov_b32_dpp v14, v12 row_shr:4 row_mask:0xf bank_mask:0xe
	v_mov_b32_dpp v18, v9 row_bcast:15 row_mask:0xa bank_mask:0xf
	v_add_f32_e32 v9, v9, v18
	v_mov_b32_dpp v15, v13 row_shr:4 row_mask:0xf bank_mask:0xe
	v_mov_b32_dpp v18, v0 row_shr:1 row_mask:0xf bank_mask:0xf
	v_add_f32_e32 v0, v0, v18
	v_mov_b32_dpp v16, v10 row_shr:4 row_mask:0xf bank_mask:0xe
	v_mov_b32_dpp v17, v11 row_shr:4 row_mask:0xf bank_mask:0xe
	;; [unrolled: 1-line block ×3, first 2 shown]
	v_add_f32_e32 v0, v0, v18
	v_add_f32_e32 v12, v12, v14
	;; [unrolled: 1-line block ×3, first 2 shown]
	v_mov_b32_dpp v18, v0 row_shr:4 row_mask:0xf bank_mask:0xe
	v_add_f32_e32 v0, v0, v18
	v_add_f32_e32 v10, v10, v16
	;; [unrolled: 1-line block ×3, first 2 shown]
	v_mov_b32_dpp v18, v0 row_shr:8 row_mask:0xf bank_mask:0xc
	v_add_f32_e32 v0, v0, v18
	v_mov_b32_dpp v14, v12 row_shr:8 row_mask:0xf bank_mask:0xc
	v_mov_b32_dpp v15, v13 row_shr:8 row_mask:0xf bank_mask:0xc
	v_mov_b32_dpp v18, v0 row_bcast:15 row_mask:0xa bank_mask:0xf
	v_add_f32_e32 v0, v0, v18
	v_mov_b32_dpp v16, v10 row_shr:8 row_mask:0xf bank_mask:0xc
	v_mov_b32_dpp v18, v1 row_shr:1 row_mask:0xf bank_mask:0xf
	v_add_f32_e32 v1, v1, v18
	v_mov_b32_dpp v17, v11 row_shr:8 row_mask:0xf bank_mask:0xc
	v_add_f32_e32 v12, v12, v14
	;; [unrolled: 2-line block ×3, first 2 shown]
	v_add_f32_e32 v13, v13, v15
	v_add_f32_e32 v10, v10, v16
	v_mov_b32_dpp v18, v1 row_shr:4 row_mask:0xf bank_mask:0xe
	v_add_f32_e32 v1, v1, v18
	v_add_f32_e32 v11, v11, v17
	v_mov_b32_dpp v14, v12 row_bcast:15 row_mask:0xa bank_mask:0xf
	v_mov_b32_dpp v18, v1 row_shr:8 row_mask:0xf bank_mask:0xc
	v_add_f32_e32 v1, v1, v18
	v_mov_b32_dpp v15, v13 row_bcast:15 row_mask:0xa bank_mask:0xf
	v_mov_b32_dpp v16, v10 row_bcast:15 row_mask:0xa bank_mask:0xf
	;; [unrolled: 1-line block ×4, first 2 shown]
	v_add_f32_e32 v12, v12, v14
	v_add_f32_e32 v13, v13, v15
	v_add_f32_e32 v10, v10, v16
	v_add_f32_e32 v11, v11, v17
	v_add_f32_e32 v1, v1, v18
	v_mov_b32_dpp v14, v12 row_bcast:31 row_mask:0xc bank_mask:0xf
	v_mov_b32_dpp v15, v13 row_bcast:31 row_mask:0xc bank_mask:0xf
	;; [unrolled: 1-line block ×8, first 2 shown]
	v_cmp_eq_u32_e32 vcc, 63, v7
	s_and_b64 exec, exec, vcc
	s_cbranch_execz .LBB78_19
; %bb.15:
	s_load_dwordx2 s[2:3], s[0:1], 0x38
	v_cmp_eq_f32_e32 vcc, 0, v4
	v_cmp_eq_f32_e64 s[0:1], 0, v5
	v_add_f32_e32 v12, v12, v14
	v_add_f32_e32 v20, v13, v15
	v_add_f32_e32 v10, v10, v16
	v_add_f32_e32 v18, v11, v17
	v_add_f32_e32 v8, v8, v19
	v_add_f32_e32 v16, v9, v21
	v_add_f32_e32 v0, v0, v22
	v_add_f32_e32 v14, v1, v23
	s_and_b64 s[0:1], vcc, s[0:1]
	s_and_saveexec_b64 s[4:5], s[0:1]
	s_xor_b64 s[0:1], exec, s[4:5]
	s_cbranch_execz .LBB78_17
; %bb.16:
	v_lshlrev_b32_e32 v4, 2, v6
	v_xor_b32_e32 v22, 0x80000000, v3
	v_ashrrev_i32_e32 v5, 31, v4
	v_mov_b32_e32 v23, v2
	s_waitcnt lgkmcnt(0)
	v_lshl_add_u64 v[24:25], v[4:5], 3, s[2:3]
	v_pk_mul_f32 v[4:5], v[20:21], v[22:23] op_sel_hi:[0,1]
	v_pk_mul_f32 v[6:7], v[18:19], v[22:23] op_sel_hi:[0,1]
	v_pk_fma_f32 v[4:5], v[2:3], v[12:13], v[4:5] op_sel_hi:[1,0,1]
	v_pk_fma_f32 v[6:7], v[2:3], v[10:11], v[6:7] op_sel_hi:[1,0,1]
	global_store_dwordx4 v[24:25], v[4:7], off
                                        ; implicit-def: $vgpr12
                                        ; implicit-def: $vgpr20
                                        ; implicit-def: $vgpr10
                                        ; implicit-def: $vgpr18
	s_nop 1
	v_pk_mul_f32 v[4:5], v[16:17], v[22:23] op_sel_hi:[0,1]
	v_pk_mul_f32 v[6:7], v[14:15], v[22:23] op_sel_hi:[0,1]
	v_pk_fma_f32 v[4:5], v[2:3], v[8:9], v[4:5] op_sel_hi:[1,0,1]
	v_pk_fma_f32 v[6:7], v[2:3], v[0:1], v[6:7] op_sel_hi:[1,0,1]
	global_store_dwordx4 v[24:25], v[4:7], off offset:16
                                        ; implicit-def: $vgpr6
                                        ; implicit-def: $vgpr8
                                        ; implicit-def: $vgpr16
                                        ; implicit-def: $vgpr0
                                        ; implicit-def: $vgpr14
                                        ; implicit-def: $vgpr2_vgpr3
                                        ; implicit-def: $vgpr4_vgpr5
.LBB78_17:
	s_andn2_saveexec_b64 s[0:1], s[0:1]
	s_cbranch_execz .LBB78_19
; %bb.18:
	v_lshlrev_b32_e32 v6, 2, v6
	v_ashrrev_i32_e32 v7, 31, v6
	s_waitcnt lgkmcnt(0)
	v_lshl_add_u64 v[30:31], v[6:7], 3, s[2:3]
	global_load_dwordx4 v[22:25], v[30:31], off
	global_load_dwordx4 v[26:29], v[30:31], off offset:16
	v_xor_b32_e32 v6, 0x80000000, v3
	v_mov_b32_e32 v7, v2
	v_pk_mul_f32 v[20:21], v[20:21], v[6:7] op_sel_hi:[0,1]
	v_pk_mul_f32 v[18:19], v[18:19], v[6:7] op_sel_hi:[0,1]
	;; [unrolled: 1-line block ×4, first 2 shown]
	v_pk_fma_f32 v[12:13], v[2:3], v[12:13], v[20:21] op_sel_hi:[1,0,1]
	v_pk_fma_f32 v[10:11], v[2:3], v[10:11], v[18:19] op_sel_hi:[1,0,1]
	v_xor_b32_e32 v32, 0x80000000, v5
	v_mov_b32_e32 v33, v4
	v_pk_fma_f32 v[8:9], v[2:3], v[8:9], v[16:17] op_sel_hi:[1,0,1]
	v_pk_fma_f32 v[0:1], v[2:3], v[0:1], v[6:7] op_sel_hi:[1,0,1]
	s_waitcnt vmcnt(1)
	v_pk_fma_f32 v[2:3], v[4:5], v[22:23], v[12:13] op_sel_hi:[1,0,1]
	v_pk_fma_f32 v[6:7], v[4:5], v[24:25], v[10:11] op_sel_hi:[1,0,1]
	v_mov_b32_e32 v10, v25
	s_waitcnt vmcnt(0)
	v_pk_fma_f32 v[8:9], v[4:5], v[26:27], v[8:9] op_sel_hi:[1,0,1]
	v_pk_fma_f32 v[12:13], v[4:5], v[28:29], v[0:1] op_sel_hi:[1,0,1]
	v_mov_b32_e32 v14, v29
	v_pk_fma_f32 v[0:1], v[32:33], v[22:23], v[2:3] op_sel:[0,1,0]
	v_pk_fma_f32 v[2:3], v[32:33], v[10:11], v[6:7] op_sel_hi:[1,0,1]
	v_pk_fma_f32 v[4:5], v[32:33], v[26:27], v[8:9] op_sel:[0,1,0]
	v_pk_fma_f32 v[6:7], v[32:33], v[14:15], v[12:13] op_sel_hi:[1,0,1]
	global_store_dwordx4 v[30:31], v[0:3], off
	global_store_dwordx4 v[30:31], v[4:7], off offset:16
.LBB78_19:
	s_endpgm
	.section	.rodata,"a",@progbits
	.p2align	6, 0x0
	.amdhsa_kernel _ZN9rocsparseL19gebsrmvn_4xn_kernelILj128ELj1ELj64E21rocsparse_complex_numIfEEEvi20rocsparse_direction_NS_24const_host_device_scalarIT2_EEPKiS8_PKS5_SA_S6_PS5_21rocsparse_index_base_b
		.amdhsa_group_segment_fixed_size 0
		.amdhsa_private_segment_fixed_size 0
		.amdhsa_kernarg_size 72
		.amdhsa_user_sgpr_count 2
		.amdhsa_user_sgpr_dispatch_ptr 0
		.amdhsa_user_sgpr_queue_ptr 0
		.amdhsa_user_sgpr_kernarg_segment_ptr 1
		.amdhsa_user_sgpr_dispatch_id 0
		.amdhsa_user_sgpr_kernarg_preload_length 0
		.amdhsa_user_sgpr_kernarg_preload_offset 0
		.amdhsa_user_sgpr_private_segment_size 0
		.amdhsa_uses_dynamic_stack 0
		.amdhsa_enable_private_segment 0
		.amdhsa_system_sgpr_workgroup_id_x 1
		.amdhsa_system_sgpr_workgroup_id_y 0
		.amdhsa_system_sgpr_workgroup_id_z 0
		.amdhsa_system_sgpr_workgroup_info 0
		.amdhsa_system_vgpr_workitem_id 0
		.amdhsa_next_free_vgpr 36
		.amdhsa_next_free_sgpr 16
		.amdhsa_accum_offset 36
		.amdhsa_reserve_vcc 1
		.amdhsa_float_round_mode_32 0
		.amdhsa_float_round_mode_16_64 0
		.amdhsa_float_denorm_mode_32 3
		.amdhsa_float_denorm_mode_16_64 3
		.amdhsa_dx10_clamp 1
		.amdhsa_ieee_mode 1
		.amdhsa_fp16_overflow 0
		.amdhsa_tg_split 0
		.amdhsa_exception_fp_ieee_invalid_op 0
		.amdhsa_exception_fp_denorm_src 0
		.amdhsa_exception_fp_ieee_div_zero 0
		.amdhsa_exception_fp_ieee_overflow 0
		.amdhsa_exception_fp_ieee_underflow 0
		.amdhsa_exception_fp_ieee_inexact 0
		.amdhsa_exception_int_div_zero 0
	.end_amdhsa_kernel
	.section	.text._ZN9rocsparseL19gebsrmvn_4xn_kernelILj128ELj1ELj64E21rocsparse_complex_numIfEEEvi20rocsparse_direction_NS_24const_host_device_scalarIT2_EEPKiS8_PKS5_SA_S6_PS5_21rocsparse_index_base_b,"axG",@progbits,_ZN9rocsparseL19gebsrmvn_4xn_kernelILj128ELj1ELj64E21rocsparse_complex_numIfEEEvi20rocsparse_direction_NS_24const_host_device_scalarIT2_EEPKiS8_PKS5_SA_S6_PS5_21rocsparse_index_base_b,comdat
.Lfunc_end78:
	.size	_ZN9rocsparseL19gebsrmvn_4xn_kernelILj128ELj1ELj64E21rocsparse_complex_numIfEEEvi20rocsparse_direction_NS_24const_host_device_scalarIT2_EEPKiS8_PKS5_SA_S6_PS5_21rocsparse_index_base_b, .Lfunc_end78-_ZN9rocsparseL19gebsrmvn_4xn_kernelILj128ELj1ELj64E21rocsparse_complex_numIfEEEvi20rocsparse_direction_NS_24const_host_device_scalarIT2_EEPKiS8_PKS5_SA_S6_PS5_21rocsparse_index_base_b
                                        ; -- End function
	.set _ZN9rocsparseL19gebsrmvn_4xn_kernelILj128ELj1ELj64E21rocsparse_complex_numIfEEEvi20rocsparse_direction_NS_24const_host_device_scalarIT2_EEPKiS8_PKS5_SA_S6_PS5_21rocsparse_index_base_b.num_vgpr, 36
	.set _ZN9rocsparseL19gebsrmvn_4xn_kernelILj128ELj1ELj64E21rocsparse_complex_numIfEEEvi20rocsparse_direction_NS_24const_host_device_scalarIT2_EEPKiS8_PKS5_SA_S6_PS5_21rocsparse_index_base_b.num_agpr, 0
	.set _ZN9rocsparseL19gebsrmvn_4xn_kernelILj128ELj1ELj64E21rocsparse_complex_numIfEEEvi20rocsparse_direction_NS_24const_host_device_scalarIT2_EEPKiS8_PKS5_SA_S6_PS5_21rocsparse_index_base_b.numbered_sgpr, 16
	.set _ZN9rocsparseL19gebsrmvn_4xn_kernelILj128ELj1ELj64E21rocsparse_complex_numIfEEEvi20rocsparse_direction_NS_24const_host_device_scalarIT2_EEPKiS8_PKS5_SA_S6_PS5_21rocsparse_index_base_b.num_named_barrier, 0
	.set _ZN9rocsparseL19gebsrmvn_4xn_kernelILj128ELj1ELj64E21rocsparse_complex_numIfEEEvi20rocsparse_direction_NS_24const_host_device_scalarIT2_EEPKiS8_PKS5_SA_S6_PS5_21rocsparse_index_base_b.private_seg_size, 0
	.set _ZN9rocsparseL19gebsrmvn_4xn_kernelILj128ELj1ELj64E21rocsparse_complex_numIfEEEvi20rocsparse_direction_NS_24const_host_device_scalarIT2_EEPKiS8_PKS5_SA_S6_PS5_21rocsparse_index_base_b.uses_vcc, 1
	.set _ZN9rocsparseL19gebsrmvn_4xn_kernelILj128ELj1ELj64E21rocsparse_complex_numIfEEEvi20rocsparse_direction_NS_24const_host_device_scalarIT2_EEPKiS8_PKS5_SA_S6_PS5_21rocsparse_index_base_b.uses_flat_scratch, 0
	.set _ZN9rocsparseL19gebsrmvn_4xn_kernelILj128ELj1ELj64E21rocsparse_complex_numIfEEEvi20rocsparse_direction_NS_24const_host_device_scalarIT2_EEPKiS8_PKS5_SA_S6_PS5_21rocsparse_index_base_b.has_dyn_sized_stack, 0
	.set _ZN9rocsparseL19gebsrmvn_4xn_kernelILj128ELj1ELj64E21rocsparse_complex_numIfEEEvi20rocsparse_direction_NS_24const_host_device_scalarIT2_EEPKiS8_PKS5_SA_S6_PS5_21rocsparse_index_base_b.has_recursion, 0
	.set _ZN9rocsparseL19gebsrmvn_4xn_kernelILj128ELj1ELj64E21rocsparse_complex_numIfEEEvi20rocsparse_direction_NS_24const_host_device_scalarIT2_EEPKiS8_PKS5_SA_S6_PS5_21rocsparse_index_base_b.has_indirect_call, 0
	.section	.AMDGPU.csdata,"",@progbits
; Kernel info:
; codeLenInByte = 1828
; TotalNumSgprs: 22
; NumVgprs: 36
; NumAgprs: 0
; TotalNumVgprs: 36
; ScratchSize: 0
; MemoryBound: 0
; FloatMode: 240
; IeeeMode: 1
; LDSByteSize: 0 bytes/workgroup (compile time only)
; SGPRBlocks: 2
; VGPRBlocks: 4
; NumSGPRsForWavesPerEU: 22
; NumVGPRsForWavesPerEU: 36
; AccumOffset: 36
; Occupancy: 8
; WaveLimiterHint : 1
; COMPUTE_PGM_RSRC2:SCRATCH_EN: 0
; COMPUTE_PGM_RSRC2:USER_SGPR: 2
; COMPUTE_PGM_RSRC2:TRAP_HANDLER: 0
; COMPUTE_PGM_RSRC2:TGID_X_EN: 1
; COMPUTE_PGM_RSRC2:TGID_Y_EN: 0
; COMPUTE_PGM_RSRC2:TGID_Z_EN: 0
; COMPUTE_PGM_RSRC2:TIDIG_COMP_CNT: 0
; COMPUTE_PGM_RSRC3_GFX90A:ACCUM_OFFSET: 8
; COMPUTE_PGM_RSRC3_GFX90A:TG_SPLIT: 0
	.section	.text._ZN9rocsparseL19gebsrmvn_4xn_kernelILj128ELj2ELj4E21rocsparse_complex_numIfEEEvi20rocsparse_direction_NS_24const_host_device_scalarIT2_EEPKiS8_PKS5_SA_S6_PS5_21rocsparse_index_base_b,"axG",@progbits,_ZN9rocsparseL19gebsrmvn_4xn_kernelILj128ELj2ELj4E21rocsparse_complex_numIfEEEvi20rocsparse_direction_NS_24const_host_device_scalarIT2_EEPKiS8_PKS5_SA_S6_PS5_21rocsparse_index_base_b,comdat
	.globl	_ZN9rocsparseL19gebsrmvn_4xn_kernelILj128ELj2ELj4E21rocsparse_complex_numIfEEEvi20rocsparse_direction_NS_24const_host_device_scalarIT2_EEPKiS8_PKS5_SA_S6_PS5_21rocsparse_index_base_b ; -- Begin function _ZN9rocsparseL19gebsrmvn_4xn_kernelILj128ELj2ELj4E21rocsparse_complex_numIfEEEvi20rocsparse_direction_NS_24const_host_device_scalarIT2_EEPKiS8_PKS5_SA_S6_PS5_21rocsparse_index_base_b
	.p2align	8
	.type	_ZN9rocsparseL19gebsrmvn_4xn_kernelILj128ELj2ELj4E21rocsparse_complex_numIfEEEvi20rocsparse_direction_NS_24const_host_device_scalarIT2_EEPKiS8_PKS5_SA_S6_PS5_21rocsparse_index_base_b,@function
_ZN9rocsparseL19gebsrmvn_4xn_kernelILj128ELj2ELj4E21rocsparse_complex_numIfEEEvi20rocsparse_direction_NS_24const_host_device_scalarIT2_EEPKiS8_PKS5_SA_S6_PS5_21rocsparse_index_base_b: ; @_ZN9rocsparseL19gebsrmvn_4xn_kernelILj128ELj2ELj4E21rocsparse_complex_numIfEEEvi20rocsparse_direction_NS_24const_host_device_scalarIT2_EEPKiS8_PKS5_SA_S6_PS5_21rocsparse_index_base_b
; %bb.0:
	s_load_dwordx2 s[4:5], s[0:1], 0x8
	s_load_dwordx2 s[6:7], s[0:1], 0x30
	;; [unrolled: 1-line block ×3, first 2 shown]
	s_add_u32 s3, s0, 8
	s_addc_u32 s8, s1, 0
	s_add_u32 s9, s0, 48
	s_addc_u32 s10, s1, 0
	s_waitcnt lgkmcnt(0)
	s_bitcmp1_b32 s13, 0
	s_cselect_b32 s3, s3, s4
	s_cselect_b32 s5, s8, s5
	v_mov_b32_e32 v2, s3
	s_cselect_b32 s3, s10, s7
	s_cselect_b32 s4, s9, s6
	v_mov_b32_e32 v3, s5
	v_mov_b32_e32 v4, s4
	;; [unrolled: 1-line block ×3, first 2 shown]
	flat_load_dwordx2 v[2:3], v[2:3]
	s_waitcnt vmcnt(0) lgkmcnt(0)
	v_cmp_eq_f32_e32 vcc, 0, v2
	flat_load_dwordx2 v[4:5], v[4:5]
	v_cmp_eq_f32_e64 s[4:5], 0, v3
	s_and_b64 s[4:5], vcc, s[4:5]
	s_waitcnt vmcnt(0) lgkmcnt(0)
	v_cmp_eq_f32_e64 s[6:7], 1.0, v4
	v_cmp_eq_f32_e64 s[8:9], 0, v5
	s_and_b64 s[6:7], s[6:7], s[8:9]
	s_and_b64 s[4:5], s[4:5], s[6:7]
	s_xor_b64 s[4:5], s[4:5], -1
	s_and_saveexec_b64 s[6:7], s[4:5]
	s_cbranch_execz .LBB79_19
; %bb.1:
	s_load_dwordx2 s[14:15], s[0:1], 0x0
	v_lshrrev_b32_e32 v1, 2, v0
	v_lshl_or_b32 v6, s2, 5, v1
	s_waitcnt lgkmcnt(0)
	v_cmp_gt_i32_e32 vcc, s14, v6
	s_and_b64 exec, exec, vcc
	s_cbranch_execz .LBB79_19
; %bb.2:
	s_load_dwordx8 s[4:11], s[0:1], 0x10
	v_ashrrev_i32_e32 v7, 31, v6
	s_cmp_lg_u32 s15, 0
	s_waitcnt lgkmcnt(0)
	v_lshl_add_u64 v[8:9], v[6:7], 2, s[4:5]
	global_load_dwordx2 v[8:9], v[8:9], off
	v_and_b32_e32 v7, 3, v0
	s_waitcnt vmcnt(0)
	v_subrev_u32_e32 v0, s12, v8
	v_subrev_u32_e32 v20, s12, v9
	v_add_u32_e32 v0, v0, v7
	v_cmp_lt_i32_e64 s[2:3], v0, v20
	s_cbranch_scc0 .LBB79_8
; %bb.3:
	v_mov_b32_e32 v15, 0
	v_mov_b32_e32 v14, v15
	;; [unrolled: 1-line block ×8, first 2 shown]
	s_and_saveexec_b64 s[4:5], s[2:3]
	s_cbranch_execz .LBB79_7
; %bb.4:
	v_mov_b32_e32 v17, 0
	v_lshlrev_b32_e32 v16, 3, v0
	s_mov_b64 s[14:15], 0
	v_mov_b32_e32 v18, v0
	v_mov_b32_e32 v12, v17
	;; [unrolled: 1-line block ×9, first 2 shown]
.LBB79_5:                               ; =>This Inner Loop Header: Depth=1
	v_ashrrev_i32_e32 v19, 31, v18
	v_lshl_add_u64 v[22:23], v[18:19], 2, s[6:7]
	global_load_dword v1, v[22:23], off
	v_mov_b32_e32 v35, v17
	v_lshl_add_u64 v[42:43], v[16:17], 3, s[8:9]
	global_load_dwordx4 v[22:25], v[42:43], off offset:16
	global_load_dwordx4 v[26:29], v[42:43], off
	global_load_dwordx4 v[30:33], v[42:43], off offset:32
	v_add_u32_e32 v18, 4, v18
	v_cmp_ge_i32_e32 vcc, v18, v20
	v_add_u32_e32 v16, 32, v16
	s_or_b64 s[14:15], vcc, s[14:15]
	s_waitcnt vmcnt(3)
	v_subrev_u32_e32 v1, s12, v1
	v_lshlrev_b32_e32 v34, 1, v1
	v_lshl_add_u64 v[44:45], v[34:35], 3, s[10:11]
	global_load_dwordx4 v[34:37], v[44:45], off
	global_load_dwordx4 v[38:41], v[42:43], off offset:48
	s_waitcnt vmcnt(3)
	v_xor_b32_e32 v42, 0x80000000, v29
	v_mov_b32_e32 v43, v28
	v_xor_b32_e32 v46, 0x80000000, v25
	v_mov_b32_e32 v47, v24
	s_waitcnt vmcnt(2)
	v_xor_b32_e32 v44, 0x80000000, v33
	v_mov_b32_e32 v45, v32
	s_waitcnt vmcnt(1)
	v_pk_fma_f32 v[14:15], v[26:27], v[34:35], v[14:15] op_sel_hi:[1,0,1]
	v_pk_fma_f32 v[12:13], v[28:29], v[34:35], v[12:13] op_sel_hi:[1,0,1]
	;; [unrolled: 1-line block ×4, first 2 shown]
	v_pk_fma_f32 v[14:15], v[26:27], v[34:35], v[14:15] op_sel:[1,1,0] op_sel_hi:[0,1,1] neg_lo:[1,0,0]
	v_pk_fma_f32 v[12:13], v[42:43], v[34:35], v[12:13] op_sel:[0,1,0]
	v_pk_fma_f32 v[10:11], v[22:23], v[34:35], v[10:11] op_sel:[1,1,0] op_sel_hi:[0,1,1] neg_lo:[1,0,0]
	v_pk_fma_f32 v[8:9], v[46:47], v[34:35], v[8:9] op_sel:[0,1,0]
	s_waitcnt vmcnt(0)
	v_xor_b32_e32 v48, 0x80000000, v41
	v_mov_b32_e32 v49, v40
	v_mov_b32_e32 v50, v37
	v_pk_fma_f32 v[14:15], v[30:31], v[36:37], v[14:15] op_sel_hi:[1,0,1]
	v_pk_fma_f32 v[12:13], v[32:33], v[36:37], v[12:13] op_sel_hi:[1,0,1]
	;; [unrolled: 1-line block ×4, first 2 shown]
	v_pk_fma_f32 v[14:15], v[30:31], v[50:51], v[14:15] op_sel:[1,0,0] op_sel_hi:[0,0,1] neg_lo:[1,0,0]
	v_pk_fma_f32 v[12:13], v[44:45], v[50:51], v[12:13] op_sel_hi:[1,0,1]
	v_pk_fma_f32 v[10:11], v[38:39], v[50:51], v[10:11] op_sel:[1,0,0] op_sel_hi:[0,0,1] neg_lo:[1,0,0]
	v_pk_fma_f32 v[8:9], v[48:49], v[50:51], v[8:9] op_sel_hi:[1,0,1]
	s_andn2_b64 exec, exec, s[14:15]
	s_cbranch_execnz .LBB79_5
; %bb.6:
	s_or_b64 exec, exec, s[14:15]
.LBB79_7:
	s_or_b64 exec, exec, s[4:5]
	s_cbranch_execz .LBB79_9
	s_branch .LBB79_14
.LBB79_8:
                                        ; implicit-def: $vgpr15
                                        ; implicit-def: $vgpr9
                                        ; implicit-def: $vgpr11
                                        ; implicit-def: $vgpr13
.LBB79_9:
	v_mov_b32_e32 v15, 0
	v_mov_b32_e32 v14, v15
	;; [unrolled: 1-line block ×8, first 2 shown]
	s_and_saveexec_b64 s[4:5], s[2:3]
	s_cbranch_execz .LBB79_13
; %bb.10:
	v_mov_b32_e32 v17, 0
	v_lshlrev_b32_e32 v16, 3, v0
	s_mov_b64 s[2:3], 0
	v_mov_b32_e32 v12, v17
	v_mov_b32_e32 v13, v17
	v_mov_b32_e32 v10, v17
	v_mov_b32_e32 v11, v17
	v_mov_b32_e32 v8, v17
	v_mov_b32_e32 v9, v17
	v_mov_b32_e32 v14, v17
	v_mov_b32_e32 v15, v17
.LBB79_11:                              ; =>This Inner Loop Header: Depth=1
	v_ashrrev_i32_e32 v1, 31, v0
	v_lshl_add_u64 v[18:19], v[0:1], 2, s[6:7]
	global_load_dword v1, v[18:19], off
	v_lshl_add_u64 v[18:19], v[16:17], 3, s[8:9]
	v_mov_b32_e32 v39, v17
	global_load_dwordx4 v[22:25], v[18:19], off
	global_load_dwordx4 v[26:29], v[18:19], off offset:16
	global_load_dwordx4 v[30:33], v[18:19], off offset:48
	;; [unrolled: 1-line block ×3, first 2 shown]
	v_add_u32_e32 v0, 4, v0
	v_cmp_ge_i32_e32 vcc, v0, v20
	v_add_u32_e32 v16, 32, v16
	s_or_b64 s[2:3], vcc, s[2:3]
	s_waitcnt vmcnt(4)
	v_subrev_u32_e32 v1, s12, v1
	v_lshlrev_b32_e32 v38, 1, v1
	v_lshl_add_u64 v[18:19], v[38:39], 3, s[10:11]
	global_load_dwordx4 v[38:41], v[18:19], off
	s_waitcnt vmcnt(4)
	v_xor_b32_e32 v18, 0x80000000, v25
	v_mov_b32_e32 v19, v24
	s_waitcnt vmcnt(3)
	v_xor_b32_e32 v42, 0x80000000, v29
	v_mov_b32_e32 v43, v28
	;; [unrolled: 3-line block ×3, first 2 shown]
	v_xor_b32_e32 v46, 0x80000000, v33
	v_mov_b32_e32 v47, v32
	s_waitcnt vmcnt(0)
	v_pk_fma_f32 v[14:15], v[22:23], v[38:39], v[14:15] op_sel_hi:[1,0,1]
	v_pk_fma_f32 v[12:13], v[26:27], v[38:39], v[12:13] op_sel_hi:[1,0,1]
	;; [unrolled: 1-line block ×4, first 2 shown]
	v_pk_fma_f32 v[14:15], v[22:23], v[38:39], v[14:15] op_sel:[1,1,0] op_sel_hi:[0,1,1] neg_lo:[1,0,0]
	v_pk_fma_f32 v[12:13], v[26:27], v[38:39], v[12:13] op_sel:[1,1,0] op_sel_hi:[0,1,1] neg_lo:[1,0,0]
	;; [unrolled: 1-line block ×4, first 2 shown]
	v_mov_b32_e32 v48, v41
	v_pk_fma_f32 v[14:15], v[24:25], v[40:41], v[14:15] op_sel_hi:[1,0,1]
	v_pk_fma_f32 v[12:13], v[28:29], v[40:41], v[12:13] op_sel_hi:[1,0,1]
	;; [unrolled: 1-line block ×8, first 2 shown]
	s_andn2_b64 exec, exec, s[2:3]
	s_cbranch_execnz .LBB79_11
; %bb.12:
	s_or_b64 exec, exec, s[2:3]
.LBB79_13:
	s_or_b64 exec, exec, s[4:5]
.LBB79_14:
	v_mov_b32_dpp v16, v12 row_shr:1 row_mask:0xf bank_mask:0xf
	v_add_f32_e32 v16, v12, v16
	v_mov_b32_dpp v12, v13 row_shr:1 row_mask:0xf bank_mask:0xf
	v_add_f32_e32 v13, v13, v12
	v_mov_b32_dpp v0, v14 row_shr:1 row_mask:0xf bank_mask:0xf
	v_mov_b32_dpp v12, v10 row_shr:1 row_mask:0xf bank_mask:0xf
	v_add_f32_e32 v19, v10, v12
	v_mov_b32_dpp v10, v11 row_shr:1 row_mask:0xf bank_mask:0xf
	v_add_f32_e32 v11, v11, v10
	v_add_f32_e32 v0, v14, v0
	v_mov_b32_dpp v10, v8 row_shr:1 row_mask:0xf bank_mask:0xf
	v_mov_b32_dpp v14, v15 row_shr:1 row_mask:0xf bank_mask:0xf
	v_add_f32_e32 v23, v8, v10
	v_mov_b32_dpp v8, v9 row_shr:1 row_mask:0xf bank_mask:0xf
	v_add_f32_e32 v14, v15, v14
	v_add_f32_e32 v9, v9, v8
	v_mov_b32_dpp v1, v0 row_shr:2 row_mask:0xf bank_mask:0xf
	v_mov_b32_dpp v15, v14 row_shr:2 row_mask:0xf bank_mask:0xf
	;; [unrolled: 1-line block ×8, first 2 shown]
	v_cmp_eq_u32_e32 vcc, 3, v7
	s_and_b64 exec, exec, vcc
	s_cbranch_execz .LBB79_19
; %bb.15:
	s_load_dwordx2 s[2:3], s[0:1], 0x38
	v_cmp_eq_f32_e32 vcc, 0, v4
	v_cmp_eq_f32_e64 s[0:1], 0, v5
	v_add_f32_e32 v12, v0, v1
	v_add_f32_e32 v20, v14, v15
	;; [unrolled: 1-line block ×8, first 2 shown]
	s_and_b64 s[0:1], vcc, s[0:1]
	s_and_saveexec_b64 s[4:5], s[0:1]
	s_xor_b64 s[0:1], exec, s[4:5]
	s_cbranch_execz .LBB79_17
; %bb.16:
	v_lshlrev_b32_e32 v4, 2, v6
	v_xor_b32_e32 v22, 0x80000000, v3
	v_ashrrev_i32_e32 v5, 31, v4
	v_mov_b32_e32 v23, v2
	s_waitcnt lgkmcnt(0)
	v_lshl_add_u64 v[24:25], v[4:5], 3, s[2:3]
	v_pk_mul_f32 v[4:5], v[20:21], v[22:23] op_sel_hi:[0,1]
	v_pk_mul_f32 v[6:7], v[18:19], v[22:23] op_sel_hi:[0,1]
	v_pk_fma_f32 v[4:5], v[2:3], v[12:13], v[4:5] op_sel_hi:[1,0,1]
	v_pk_fma_f32 v[6:7], v[2:3], v[10:11], v[6:7] op_sel_hi:[1,0,1]
	global_store_dwordx4 v[24:25], v[4:7], off
                                        ; implicit-def: $vgpr12
                                        ; implicit-def: $vgpr20
                                        ; implicit-def: $vgpr10
                                        ; implicit-def: $vgpr18
	s_nop 1
	v_pk_mul_f32 v[4:5], v[16:17], v[22:23] op_sel_hi:[0,1]
	v_pk_mul_f32 v[6:7], v[14:15], v[22:23] op_sel_hi:[0,1]
	v_pk_fma_f32 v[4:5], v[2:3], v[8:9], v[4:5] op_sel_hi:[1,0,1]
	v_pk_fma_f32 v[6:7], v[2:3], v[0:1], v[6:7] op_sel_hi:[1,0,1]
	global_store_dwordx4 v[24:25], v[4:7], off offset:16
                                        ; implicit-def: $vgpr6
                                        ; implicit-def: $vgpr8
                                        ; implicit-def: $vgpr16
                                        ; implicit-def: $vgpr0
                                        ; implicit-def: $vgpr14
                                        ; implicit-def: $vgpr2_vgpr3
                                        ; implicit-def: $vgpr4_vgpr5
.LBB79_17:
	s_andn2_saveexec_b64 s[0:1], s[0:1]
	s_cbranch_execz .LBB79_19
; %bb.18:
	v_lshlrev_b32_e32 v6, 2, v6
	v_ashrrev_i32_e32 v7, 31, v6
	s_waitcnt lgkmcnt(0)
	v_lshl_add_u64 v[30:31], v[6:7], 3, s[2:3]
	global_load_dwordx4 v[22:25], v[30:31], off
	global_load_dwordx4 v[26:29], v[30:31], off offset:16
	v_xor_b32_e32 v6, 0x80000000, v3
	v_mov_b32_e32 v7, v2
	v_pk_mul_f32 v[20:21], v[20:21], v[6:7] op_sel_hi:[0,1]
	v_pk_mul_f32 v[18:19], v[18:19], v[6:7] op_sel_hi:[0,1]
	;; [unrolled: 1-line block ×4, first 2 shown]
	v_pk_fma_f32 v[12:13], v[2:3], v[12:13], v[20:21] op_sel_hi:[1,0,1]
	v_pk_fma_f32 v[10:11], v[2:3], v[10:11], v[18:19] op_sel_hi:[1,0,1]
	v_xor_b32_e32 v32, 0x80000000, v5
	v_mov_b32_e32 v33, v4
	v_pk_fma_f32 v[8:9], v[2:3], v[8:9], v[16:17] op_sel_hi:[1,0,1]
	v_pk_fma_f32 v[0:1], v[2:3], v[0:1], v[6:7] op_sel_hi:[1,0,1]
	s_waitcnt vmcnt(1)
	v_pk_fma_f32 v[2:3], v[4:5], v[22:23], v[12:13] op_sel_hi:[1,0,1]
	v_pk_fma_f32 v[6:7], v[4:5], v[24:25], v[10:11] op_sel_hi:[1,0,1]
	v_mov_b32_e32 v10, v25
	s_waitcnt vmcnt(0)
	v_pk_fma_f32 v[8:9], v[4:5], v[26:27], v[8:9] op_sel_hi:[1,0,1]
	v_pk_fma_f32 v[12:13], v[4:5], v[28:29], v[0:1] op_sel_hi:[1,0,1]
	v_mov_b32_e32 v14, v29
	v_pk_fma_f32 v[0:1], v[32:33], v[22:23], v[2:3] op_sel:[0,1,0]
	v_pk_fma_f32 v[2:3], v[32:33], v[10:11], v[6:7] op_sel_hi:[1,0,1]
	v_pk_fma_f32 v[4:5], v[32:33], v[26:27], v[8:9] op_sel:[0,1,0]
	v_pk_fma_f32 v[6:7], v[32:33], v[14:15], v[12:13] op_sel_hi:[1,0,1]
	global_store_dwordx4 v[30:31], v[0:3], off
	global_store_dwordx4 v[30:31], v[4:7], off offset:16
.LBB79_19:
	s_endpgm
	.section	.rodata,"a",@progbits
	.p2align	6, 0x0
	.amdhsa_kernel _ZN9rocsparseL19gebsrmvn_4xn_kernelILj128ELj2ELj4E21rocsparse_complex_numIfEEEvi20rocsparse_direction_NS_24const_host_device_scalarIT2_EEPKiS8_PKS5_SA_S6_PS5_21rocsparse_index_base_b
		.amdhsa_group_segment_fixed_size 0
		.amdhsa_private_segment_fixed_size 0
		.amdhsa_kernarg_size 72
		.amdhsa_user_sgpr_count 2
		.amdhsa_user_sgpr_dispatch_ptr 0
		.amdhsa_user_sgpr_queue_ptr 0
		.amdhsa_user_sgpr_kernarg_segment_ptr 1
		.amdhsa_user_sgpr_dispatch_id 0
		.amdhsa_user_sgpr_kernarg_preload_length 0
		.amdhsa_user_sgpr_kernarg_preload_offset 0
		.amdhsa_user_sgpr_private_segment_size 0
		.amdhsa_uses_dynamic_stack 0
		.amdhsa_enable_private_segment 0
		.amdhsa_system_sgpr_workgroup_id_x 1
		.amdhsa_system_sgpr_workgroup_id_y 0
		.amdhsa_system_sgpr_workgroup_id_z 0
		.amdhsa_system_sgpr_workgroup_info 0
		.amdhsa_system_vgpr_workitem_id 0
		.amdhsa_next_free_vgpr 52
		.amdhsa_next_free_sgpr 16
		.amdhsa_accum_offset 52
		.amdhsa_reserve_vcc 1
		.amdhsa_float_round_mode_32 0
		.amdhsa_float_round_mode_16_64 0
		.amdhsa_float_denorm_mode_32 3
		.amdhsa_float_denorm_mode_16_64 3
		.amdhsa_dx10_clamp 1
		.amdhsa_ieee_mode 1
		.amdhsa_fp16_overflow 0
		.amdhsa_tg_split 0
		.amdhsa_exception_fp_ieee_invalid_op 0
		.amdhsa_exception_fp_denorm_src 0
		.amdhsa_exception_fp_ieee_div_zero 0
		.amdhsa_exception_fp_ieee_overflow 0
		.amdhsa_exception_fp_ieee_underflow 0
		.amdhsa_exception_fp_ieee_inexact 0
		.amdhsa_exception_int_div_zero 0
	.end_amdhsa_kernel
	.section	.text._ZN9rocsparseL19gebsrmvn_4xn_kernelILj128ELj2ELj4E21rocsparse_complex_numIfEEEvi20rocsparse_direction_NS_24const_host_device_scalarIT2_EEPKiS8_PKS5_SA_S6_PS5_21rocsparse_index_base_b,"axG",@progbits,_ZN9rocsparseL19gebsrmvn_4xn_kernelILj128ELj2ELj4E21rocsparse_complex_numIfEEEvi20rocsparse_direction_NS_24const_host_device_scalarIT2_EEPKiS8_PKS5_SA_S6_PS5_21rocsparse_index_base_b,comdat
.Lfunc_end79:
	.size	_ZN9rocsparseL19gebsrmvn_4xn_kernelILj128ELj2ELj4E21rocsparse_complex_numIfEEEvi20rocsparse_direction_NS_24const_host_device_scalarIT2_EEPKiS8_PKS5_SA_S6_PS5_21rocsparse_index_base_b, .Lfunc_end79-_ZN9rocsparseL19gebsrmvn_4xn_kernelILj128ELj2ELj4E21rocsparse_complex_numIfEEEvi20rocsparse_direction_NS_24const_host_device_scalarIT2_EEPKiS8_PKS5_SA_S6_PS5_21rocsparse_index_base_b
                                        ; -- End function
	.set _ZN9rocsparseL19gebsrmvn_4xn_kernelILj128ELj2ELj4E21rocsparse_complex_numIfEEEvi20rocsparse_direction_NS_24const_host_device_scalarIT2_EEPKiS8_PKS5_SA_S6_PS5_21rocsparse_index_base_b.num_vgpr, 52
	.set _ZN9rocsparseL19gebsrmvn_4xn_kernelILj128ELj2ELj4E21rocsparse_complex_numIfEEEvi20rocsparse_direction_NS_24const_host_device_scalarIT2_EEPKiS8_PKS5_SA_S6_PS5_21rocsparse_index_base_b.num_agpr, 0
	.set _ZN9rocsparseL19gebsrmvn_4xn_kernelILj128ELj2ELj4E21rocsparse_complex_numIfEEEvi20rocsparse_direction_NS_24const_host_device_scalarIT2_EEPKiS8_PKS5_SA_S6_PS5_21rocsparse_index_base_b.numbered_sgpr, 16
	.set _ZN9rocsparseL19gebsrmvn_4xn_kernelILj128ELj2ELj4E21rocsparse_complex_numIfEEEvi20rocsparse_direction_NS_24const_host_device_scalarIT2_EEPKiS8_PKS5_SA_S6_PS5_21rocsparse_index_base_b.num_named_barrier, 0
	.set _ZN9rocsparseL19gebsrmvn_4xn_kernelILj128ELj2ELj4E21rocsparse_complex_numIfEEEvi20rocsparse_direction_NS_24const_host_device_scalarIT2_EEPKiS8_PKS5_SA_S6_PS5_21rocsparse_index_base_b.private_seg_size, 0
	.set _ZN9rocsparseL19gebsrmvn_4xn_kernelILj128ELj2ELj4E21rocsparse_complex_numIfEEEvi20rocsparse_direction_NS_24const_host_device_scalarIT2_EEPKiS8_PKS5_SA_S6_PS5_21rocsparse_index_base_b.uses_vcc, 1
	.set _ZN9rocsparseL19gebsrmvn_4xn_kernelILj128ELj2ELj4E21rocsparse_complex_numIfEEEvi20rocsparse_direction_NS_24const_host_device_scalarIT2_EEPKiS8_PKS5_SA_S6_PS5_21rocsparse_index_base_b.uses_flat_scratch, 0
	.set _ZN9rocsparseL19gebsrmvn_4xn_kernelILj128ELj2ELj4E21rocsparse_complex_numIfEEEvi20rocsparse_direction_NS_24const_host_device_scalarIT2_EEPKiS8_PKS5_SA_S6_PS5_21rocsparse_index_base_b.has_dyn_sized_stack, 0
	.set _ZN9rocsparseL19gebsrmvn_4xn_kernelILj128ELj2ELj4E21rocsparse_complex_numIfEEEvi20rocsparse_direction_NS_24const_host_device_scalarIT2_EEPKiS8_PKS5_SA_S6_PS5_21rocsparse_index_base_b.has_recursion, 0
	.set _ZN9rocsparseL19gebsrmvn_4xn_kernelILj128ELj2ELj4E21rocsparse_complex_numIfEEEvi20rocsparse_direction_NS_24const_host_device_scalarIT2_EEPKiS8_PKS5_SA_S6_PS5_21rocsparse_index_base_b.has_indirect_call, 0
	.section	.AMDGPU.csdata,"",@progbits
; Kernel info:
; codeLenInByte = 1668
; TotalNumSgprs: 22
; NumVgprs: 52
; NumAgprs: 0
; TotalNumVgprs: 52
; ScratchSize: 0
; MemoryBound: 0
; FloatMode: 240
; IeeeMode: 1
; LDSByteSize: 0 bytes/workgroup (compile time only)
; SGPRBlocks: 2
; VGPRBlocks: 6
; NumSGPRsForWavesPerEU: 22
; NumVGPRsForWavesPerEU: 52
; AccumOffset: 52
; Occupancy: 8
; WaveLimiterHint : 1
; COMPUTE_PGM_RSRC2:SCRATCH_EN: 0
; COMPUTE_PGM_RSRC2:USER_SGPR: 2
; COMPUTE_PGM_RSRC2:TRAP_HANDLER: 0
; COMPUTE_PGM_RSRC2:TGID_X_EN: 1
; COMPUTE_PGM_RSRC2:TGID_Y_EN: 0
; COMPUTE_PGM_RSRC2:TGID_Z_EN: 0
; COMPUTE_PGM_RSRC2:TIDIG_COMP_CNT: 0
; COMPUTE_PGM_RSRC3_GFX90A:ACCUM_OFFSET: 12
; COMPUTE_PGM_RSRC3_GFX90A:TG_SPLIT: 0
	.section	.text._ZN9rocsparseL19gebsrmvn_4xn_kernelILj128ELj2ELj8E21rocsparse_complex_numIfEEEvi20rocsparse_direction_NS_24const_host_device_scalarIT2_EEPKiS8_PKS5_SA_S6_PS5_21rocsparse_index_base_b,"axG",@progbits,_ZN9rocsparseL19gebsrmvn_4xn_kernelILj128ELj2ELj8E21rocsparse_complex_numIfEEEvi20rocsparse_direction_NS_24const_host_device_scalarIT2_EEPKiS8_PKS5_SA_S6_PS5_21rocsparse_index_base_b,comdat
	.globl	_ZN9rocsparseL19gebsrmvn_4xn_kernelILj128ELj2ELj8E21rocsparse_complex_numIfEEEvi20rocsparse_direction_NS_24const_host_device_scalarIT2_EEPKiS8_PKS5_SA_S6_PS5_21rocsparse_index_base_b ; -- Begin function _ZN9rocsparseL19gebsrmvn_4xn_kernelILj128ELj2ELj8E21rocsparse_complex_numIfEEEvi20rocsparse_direction_NS_24const_host_device_scalarIT2_EEPKiS8_PKS5_SA_S6_PS5_21rocsparse_index_base_b
	.p2align	8
	.type	_ZN9rocsparseL19gebsrmvn_4xn_kernelILj128ELj2ELj8E21rocsparse_complex_numIfEEEvi20rocsparse_direction_NS_24const_host_device_scalarIT2_EEPKiS8_PKS5_SA_S6_PS5_21rocsparse_index_base_b,@function
_ZN9rocsparseL19gebsrmvn_4xn_kernelILj128ELj2ELj8E21rocsparse_complex_numIfEEEvi20rocsparse_direction_NS_24const_host_device_scalarIT2_EEPKiS8_PKS5_SA_S6_PS5_21rocsparse_index_base_b: ; @_ZN9rocsparseL19gebsrmvn_4xn_kernelILj128ELj2ELj8E21rocsparse_complex_numIfEEEvi20rocsparse_direction_NS_24const_host_device_scalarIT2_EEPKiS8_PKS5_SA_S6_PS5_21rocsparse_index_base_b
; %bb.0:
	s_load_dwordx2 s[4:5], s[0:1], 0x8
	s_load_dwordx2 s[6:7], s[0:1], 0x30
	;; [unrolled: 1-line block ×3, first 2 shown]
	s_add_u32 s3, s0, 8
	s_addc_u32 s8, s1, 0
	s_add_u32 s9, s0, 48
	s_addc_u32 s10, s1, 0
	s_waitcnt lgkmcnt(0)
	s_bitcmp1_b32 s13, 0
	s_cselect_b32 s3, s3, s4
	s_cselect_b32 s5, s8, s5
	v_mov_b32_e32 v2, s3
	s_cselect_b32 s3, s10, s7
	s_cselect_b32 s4, s9, s6
	v_mov_b32_e32 v3, s5
	v_mov_b32_e32 v4, s4
	;; [unrolled: 1-line block ×3, first 2 shown]
	flat_load_dwordx2 v[2:3], v[2:3]
	s_waitcnt vmcnt(0) lgkmcnt(0)
	v_cmp_eq_f32_e32 vcc, 0, v2
	flat_load_dwordx2 v[4:5], v[4:5]
	v_cmp_eq_f32_e64 s[4:5], 0, v3
	s_and_b64 s[4:5], vcc, s[4:5]
	s_waitcnt vmcnt(0) lgkmcnt(0)
	v_cmp_eq_f32_e64 s[6:7], 1.0, v4
	v_cmp_eq_f32_e64 s[8:9], 0, v5
	s_and_b64 s[6:7], s[6:7], s[8:9]
	s_and_b64 s[4:5], s[4:5], s[6:7]
	s_xor_b64 s[4:5], s[4:5], -1
	s_and_saveexec_b64 s[6:7], s[4:5]
	s_cbranch_execz .LBB80_19
; %bb.1:
	s_load_dwordx2 s[14:15], s[0:1], 0x0
	v_lshrrev_b32_e32 v1, 3, v0
	v_lshl_or_b32 v6, s2, 4, v1
	s_waitcnt lgkmcnt(0)
	v_cmp_gt_i32_e32 vcc, s14, v6
	s_and_b64 exec, exec, vcc
	s_cbranch_execz .LBB80_19
; %bb.2:
	s_load_dwordx8 s[4:11], s[0:1], 0x10
	v_ashrrev_i32_e32 v7, 31, v6
	s_cmp_lg_u32 s15, 0
	s_waitcnt lgkmcnt(0)
	v_lshl_add_u64 v[8:9], v[6:7], 2, s[4:5]
	global_load_dwordx2 v[8:9], v[8:9], off
	v_and_b32_e32 v7, 7, v0
	s_waitcnt vmcnt(0)
	v_subrev_u32_e32 v0, s12, v8
	v_subrev_u32_e32 v20, s12, v9
	v_add_u32_e32 v10, v0, v7
	v_cmp_lt_i32_e64 s[2:3], v10, v20
	s_cbranch_scc0 .LBB80_8
; %bb.3:
	v_mov_b32_e32 v15, 0
	v_mov_b32_e32 v14, v15
	;; [unrolled: 1-line block ×8, first 2 shown]
	s_and_saveexec_b64 s[4:5], s[2:3]
	s_cbranch_execz .LBB80_7
; %bb.4:
	v_mov_b32_e32 v17, 0
	v_lshlrev_b32_e32 v16, 3, v10
	s_mov_b64 s[14:15], 0
	v_mov_b32_e32 v18, v10
	v_mov_b32_e32 v12, v17
	v_mov_b32_e32 v13, v17
	v_mov_b32_e32 v8, v17
	v_mov_b32_e32 v9, v17
	v_mov_b32_e32 v0, v17
	v_mov_b32_e32 v1, v17
	v_mov_b32_e32 v14, v17
	v_mov_b32_e32 v15, v17
.LBB80_5:                               ; =>This Inner Loop Header: Depth=1
	v_ashrrev_i32_e32 v19, 31, v18
	v_lshl_add_u64 v[22:23], v[18:19], 2, s[6:7]
	global_load_dword v11, v[22:23], off
	v_mov_b32_e32 v35, v17
	v_lshl_add_u64 v[42:43], v[16:17], 3, s[8:9]
	global_load_dwordx4 v[22:25], v[42:43], off offset:16
	global_load_dwordx4 v[26:29], v[42:43], off
	global_load_dwordx4 v[30:33], v[42:43], off offset:32
	v_add_u32_e32 v18, 8, v18
	v_cmp_ge_i32_e32 vcc, v18, v20
	v_add_u32_e32 v16, 64, v16
	s_or_b64 s[14:15], vcc, s[14:15]
	s_waitcnt vmcnt(3)
	v_subrev_u32_e32 v11, s12, v11
	v_lshlrev_b32_e32 v34, 1, v11
	v_lshl_add_u64 v[44:45], v[34:35], 3, s[10:11]
	global_load_dwordx4 v[34:37], v[44:45], off
	global_load_dwordx4 v[38:41], v[42:43], off offset:48
	s_waitcnt vmcnt(3)
	v_xor_b32_e32 v42, 0x80000000, v29
	v_mov_b32_e32 v43, v28
	v_xor_b32_e32 v46, 0x80000000, v25
	v_mov_b32_e32 v47, v24
	s_waitcnt vmcnt(2)
	v_xor_b32_e32 v44, 0x80000000, v33
	v_mov_b32_e32 v45, v32
	s_waitcnt vmcnt(1)
	v_pk_fma_f32 v[14:15], v[26:27], v[34:35], v[14:15] op_sel_hi:[1,0,1]
	v_pk_fma_f32 v[12:13], v[28:29], v[34:35], v[12:13] op_sel_hi:[1,0,1]
	v_pk_fma_f32 v[8:9], v[22:23], v[34:35], v[8:9] op_sel_hi:[1,0,1]
	v_pk_fma_f32 v[0:1], v[24:25], v[34:35], v[0:1] op_sel_hi:[1,0,1]
	v_pk_fma_f32 v[14:15], v[26:27], v[34:35], v[14:15] op_sel:[1,1,0] op_sel_hi:[0,1,1] neg_lo:[1,0,0]
	v_pk_fma_f32 v[12:13], v[42:43], v[34:35], v[12:13] op_sel:[0,1,0]
	v_pk_fma_f32 v[8:9], v[22:23], v[34:35], v[8:9] op_sel:[1,1,0] op_sel_hi:[0,1,1] neg_lo:[1,0,0]
	v_pk_fma_f32 v[0:1], v[46:47], v[34:35], v[0:1] op_sel:[0,1,0]
	s_waitcnt vmcnt(0)
	v_xor_b32_e32 v48, 0x80000000, v41
	v_mov_b32_e32 v49, v40
	v_mov_b32_e32 v50, v37
	v_pk_fma_f32 v[14:15], v[30:31], v[36:37], v[14:15] op_sel_hi:[1,0,1]
	v_pk_fma_f32 v[12:13], v[32:33], v[36:37], v[12:13] op_sel_hi:[1,0,1]
	;; [unrolled: 1-line block ×4, first 2 shown]
	v_pk_fma_f32 v[14:15], v[30:31], v[50:51], v[14:15] op_sel:[1,0,0] op_sel_hi:[0,0,1] neg_lo:[1,0,0]
	v_pk_fma_f32 v[12:13], v[44:45], v[50:51], v[12:13] op_sel_hi:[1,0,1]
	v_pk_fma_f32 v[8:9], v[38:39], v[50:51], v[8:9] op_sel:[1,0,0] op_sel_hi:[0,0,1] neg_lo:[1,0,0]
	v_pk_fma_f32 v[0:1], v[48:49], v[50:51], v[0:1] op_sel_hi:[1,0,1]
	s_andn2_b64 exec, exec, s[14:15]
	s_cbranch_execnz .LBB80_5
; %bb.6:
	s_or_b64 exec, exec, s[14:15]
.LBB80_7:
	s_or_b64 exec, exec, s[4:5]
	s_cbranch_execz .LBB80_9
	s_branch .LBB80_14
.LBB80_8:
                                        ; implicit-def: $vgpr15
                                        ; implicit-def: $vgpr1
                                        ; implicit-def: $vgpr9
                                        ; implicit-def: $vgpr13
.LBB80_9:
	v_mov_b32_e32 v15, 0
	v_mov_b32_e32 v14, v15
	;; [unrolled: 1-line block ×8, first 2 shown]
	s_and_saveexec_b64 s[4:5], s[2:3]
	s_cbranch_execz .LBB80_13
; %bb.10:
	v_mov_b32_e32 v17, 0
	v_lshlrev_b32_e32 v16, 3, v10
	s_mov_b64 s[2:3], 0
	v_mov_b32_e32 v12, v17
	v_mov_b32_e32 v13, v17
	;; [unrolled: 1-line block ×8, first 2 shown]
.LBB80_11:                              ; =>This Inner Loop Header: Depth=1
	v_ashrrev_i32_e32 v11, 31, v10
	v_lshl_add_u64 v[18:19], v[10:11], 2, s[6:7]
	global_load_dword v11, v[18:19], off
	v_lshl_add_u64 v[18:19], v[16:17], 3, s[8:9]
	v_mov_b32_e32 v39, v17
	global_load_dwordx4 v[22:25], v[18:19], off
	global_load_dwordx4 v[26:29], v[18:19], off offset:16
	global_load_dwordx4 v[30:33], v[18:19], off offset:48
	;; [unrolled: 1-line block ×3, first 2 shown]
	v_add_u32_e32 v10, 8, v10
	v_cmp_ge_i32_e32 vcc, v10, v20
	v_add_u32_e32 v16, 64, v16
	s_or_b64 s[2:3], vcc, s[2:3]
	s_waitcnt vmcnt(4)
	v_subrev_u32_e32 v11, s12, v11
	v_lshlrev_b32_e32 v38, 1, v11
	v_lshl_add_u64 v[18:19], v[38:39], 3, s[10:11]
	global_load_dwordx4 v[38:41], v[18:19], off
	s_waitcnt vmcnt(4)
	v_xor_b32_e32 v18, 0x80000000, v25
	v_mov_b32_e32 v19, v24
	s_waitcnt vmcnt(3)
	v_xor_b32_e32 v42, 0x80000000, v29
	v_mov_b32_e32 v43, v28
	;; [unrolled: 3-line block ×3, first 2 shown]
	v_xor_b32_e32 v46, 0x80000000, v33
	v_mov_b32_e32 v47, v32
	s_waitcnt vmcnt(0)
	v_pk_fma_f32 v[14:15], v[22:23], v[38:39], v[14:15] op_sel_hi:[1,0,1]
	v_pk_fma_f32 v[12:13], v[26:27], v[38:39], v[12:13] op_sel_hi:[1,0,1]
	;; [unrolled: 1-line block ×4, first 2 shown]
	v_pk_fma_f32 v[14:15], v[22:23], v[38:39], v[14:15] op_sel:[1,1,0] op_sel_hi:[0,1,1] neg_lo:[1,0,0]
	v_pk_fma_f32 v[12:13], v[26:27], v[38:39], v[12:13] op_sel:[1,1,0] op_sel_hi:[0,1,1] neg_lo:[1,0,0]
	;; [unrolled: 1-line block ×4, first 2 shown]
	v_mov_b32_e32 v48, v41
	v_pk_fma_f32 v[14:15], v[24:25], v[40:41], v[14:15] op_sel_hi:[1,0,1]
	v_pk_fma_f32 v[12:13], v[28:29], v[40:41], v[12:13] op_sel_hi:[1,0,1]
	;; [unrolled: 1-line block ×8, first 2 shown]
	s_andn2_b64 exec, exec, s[2:3]
	s_cbranch_execnz .LBB80_11
; %bb.12:
	s_or_b64 exec, exec, s[2:3]
.LBB80_13:
	s_or_b64 exec, exec, s[4:5]
.LBB80_14:
	v_mov_b32_dpp v16, v12 row_shr:1 row_mask:0xf bank_mask:0xf
	v_add_f32_e32 v12, v12, v16
	v_mov_b32_dpp v10, v14 row_shr:1 row_mask:0xf bank_mask:0xf
	v_add_f32_e32 v10, v14, v10
	;; [unrolled: 2-line block ×7, first 2 shown]
	v_mov_b32_dpp v11, v10 row_shr:2 row_mask:0xf bank_mask:0xf
	v_mov_b32_dpp v15, v14 row_shr:2 row_mask:0xf bank_mask:0xf
	;; [unrolled: 1-line block ×3, first 2 shown]
	v_add_f32_e32 v8, v8, v12
	v_add_f32_e32 v10, v10, v11
	v_mov_b32_dpp v12, v9 row_shr:1 row_mask:0xf bank_mask:0xf
	v_add_f32_e32 v9, v9, v12
	v_add_f32_e32 v14, v14, v15
	v_mov_b32_dpp v11, v10 row_shr:4 row_mask:0xf bank_mask:0xe
	v_mov_b32_dpp v12, v9 row_shr:2 row_mask:0xf bank_mask:0xf
	v_add_f32_e32 v9, v9, v12
	v_mov_b32_dpp v15, v14 row_shr:4 row_mask:0xf bank_mask:0xe
	v_mov_b32_dpp v12, v0 row_shr:1 row_mask:0xf bank_mask:0xf
	;; [unrolled: 3-line block ×3, first 2 shown]
	v_mov_b32_dpp v12, v0 row_shr:2 row_mask:0xf bank_mask:0xf
	v_add_f32_e32 v0, v0, v12
	v_mov_b32_dpp v19, v8 row_shr:4 row_mask:0xf bank_mask:0xe
	v_mov_b32_dpp v12, v1 row_shr:1 row_mask:0xf bank_mask:0xf
	v_add_f32_e32 v1, v1, v12
	v_mov_b32_dpp v21, v9 row_shr:4 row_mask:0xf bank_mask:0xe
	v_mov_b32_dpp v22, v0 row_shr:4 row_mask:0xf bank_mask:0xe
	;; [unrolled: 1-line block ×3, first 2 shown]
	v_add_f32_e32 v1, v1, v12
	v_cmp_eq_u32_e32 vcc, 7, v7
	s_nop 0
	v_mov_b32_dpp v23, v1 row_shr:4 row_mask:0xf bank_mask:0xe
	s_and_b64 exec, exec, vcc
	s_cbranch_execz .LBB80_19
; %bb.15:
	s_load_dwordx2 s[2:3], s[0:1], 0x38
	v_cmp_eq_f32_e32 vcc, 0, v4
	v_cmp_eq_f32_e64 s[0:1], 0, v5
	v_add_f32_e32 v12, v10, v11
	v_add_f32_e32 v20, v14, v15
	;; [unrolled: 1-line block ×8, first 2 shown]
	s_and_b64 s[0:1], vcc, s[0:1]
	s_and_saveexec_b64 s[4:5], s[0:1]
	s_xor_b64 s[0:1], exec, s[4:5]
	s_cbranch_execz .LBB80_17
; %bb.16:
	v_lshlrev_b32_e32 v4, 2, v6
	v_xor_b32_e32 v22, 0x80000000, v3
	v_ashrrev_i32_e32 v5, 31, v4
	v_mov_b32_e32 v23, v2
	s_waitcnt lgkmcnt(0)
	v_lshl_add_u64 v[24:25], v[4:5], 3, s[2:3]
	v_pk_mul_f32 v[4:5], v[20:21], v[22:23] op_sel_hi:[0,1]
	v_pk_mul_f32 v[6:7], v[18:19], v[22:23] op_sel_hi:[0,1]
	v_pk_fma_f32 v[4:5], v[2:3], v[12:13], v[4:5] op_sel_hi:[1,0,1]
	v_pk_fma_f32 v[6:7], v[2:3], v[10:11], v[6:7] op_sel_hi:[1,0,1]
	global_store_dwordx4 v[24:25], v[4:7], off
                                        ; implicit-def: $vgpr12
                                        ; implicit-def: $vgpr20
                                        ; implicit-def: $vgpr10
                                        ; implicit-def: $vgpr18
	s_nop 1
	v_pk_mul_f32 v[4:5], v[16:17], v[22:23] op_sel_hi:[0,1]
	v_pk_mul_f32 v[6:7], v[14:15], v[22:23] op_sel_hi:[0,1]
	v_pk_fma_f32 v[4:5], v[2:3], v[8:9], v[4:5] op_sel_hi:[1,0,1]
	v_pk_fma_f32 v[6:7], v[2:3], v[0:1], v[6:7] op_sel_hi:[1,0,1]
	global_store_dwordx4 v[24:25], v[4:7], off offset:16
                                        ; implicit-def: $vgpr6
                                        ; implicit-def: $vgpr8
                                        ; implicit-def: $vgpr16
                                        ; implicit-def: $vgpr0
                                        ; implicit-def: $vgpr14
                                        ; implicit-def: $vgpr2_vgpr3
                                        ; implicit-def: $vgpr4_vgpr5
.LBB80_17:
	s_andn2_saveexec_b64 s[0:1], s[0:1]
	s_cbranch_execz .LBB80_19
; %bb.18:
	v_lshlrev_b32_e32 v6, 2, v6
	v_ashrrev_i32_e32 v7, 31, v6
	s_waitcnt lgkmcnt(0)
	v_lshl_add_u64 v[30:31], v[6:7], 3, s[2:3]
	global_load_dwordx4 v[22:25], v[30:31], off
	global_load_dwordx4 v[26:29], v[30:31], off offset:16
	v_xor_b32_e32 v6, 0x80000000, v3
	v_mov_b32_e32 v7, v2
	v_pk_mul_f32 v[20:21], v[20:21], v[6:7] op_sel_hi:[0,1]
	v_pk_mul_f32 v[18:19], v[18:19], v[6:7] op_sel_hi:[0,1]
	;; [unrolled: 1-line block ×4, first 2 shown]
	v_pk_fma_f32 v[12:13], v[2:3], v[12:13], v[20:21] op_sel_hi:[1,0,1]
	v_pk_fma_f32 v[10:11], v[2:3], v[10:11], v[18:19] op_sel_hi:[1,0,1]
	v_xor_b32_e32 v32, 0x80000000, v5
	v_mov_b32_e32 v33, v4
	v_pk_fma_f32 v[8:9], v[2:3], v[8:9], v[16:17] op_sel_hi:[1,0,1]
	v_pk_fma_f32 v[0:1], v[2:3], v[0:1], v[6:7] op_sel_hi:[1,0,1]
	s_waitcnt vmcnt(1)
	v_pk_fma_f32 v[2:3], v[4:5], v[22:23], v[12:13] op_sel_hi:[1,0,1]
	v_pk_fma_f32 v[6:7], v[4:5], v[24:25], v[10:11] op_sel_hi:[1,0,1]
	v_mov_b32_e32 v10, v25
	s_waitcnt vmcnt(0)
	v_pk_fma_f32 v[8:9], v[4:5], v[26:27], v[8:9] op_sel_hi:[1,0,1]
	v_pk_fma_f32 v[12:13], v[4:5], v[28:29], v[0:1] op_sel_hi:[1,0,1]
	v_mov_b32_e32 v14, v29
	v_pk_fma_f32 v[0:1], v[32:33], v[22:23], v[2:3] op_sel:[0,1,0]
	v_pk_fma_f32 v[2:3], v[32:33], v[10:11], v[6:7] op_sel_hi:[1,0,1]
	v_pk_fma_f32 v[4:5], v[32:33], v[26:27], v[8:9] op_sel:[0,1,0]
	v_pk_fma_f32 v[6:7], v[32:33], v[14:15], v[12:13] op_sel_hi:[1,0,1]
	global_store_dwordx4 v[30:31], v[0:3], off
	global_store_dwordx4 v[30:31], v[4:7], off offset:16
.LBB80_19:
	s_endpgm
	.section	.rodata,"a",@progbits
	.p2align	6, 0x0
	.amdhsa_kernel _ZN9rocsparseL19gebsrmvn_4xn_kernelILj128ELj2ELj8E21rocsparse_complex_numIfEEEvi20rocsparse_direction_NS_24const_host_device_scalarIT2_EEPKiS8_PKS5_SA_S6_PS5_21rocsparse_index_base_b
		.amdhsa_group_segment_fixed_size 0
		.amdhsa_private_segment_fixed_size 0
		.amdhsa_kernarg_size 72
		.amdhsa_user_sgpr_count 2
		.amdhsa_user_sgpr_dispatch_ptr 0
		.amdhsa_user_sgpr_queue_ptr 0
		.amdhsa_user_sgpr_kernarg_segment_ptr 1
		.amdhsa_user_sgpr_dispatch_id 0
		.amdhsa_user_sgpr_kernarg_preload_length 0
		.amdhsa_user_sgpr_kernarg_preload_offset 0
		.amdhsa_user_sgpr_private_segment_size 0
		.amdhsa_uses_dynamic_stack 0
		.amdhsa_enable_private_segment 0
		.amdhsa_system_sgpr_workgroup_id_x 1
		.amdhsa_system_sgpr_workgroup_id_y 0
		.amdhsa_system_sgpr_workgroup_id_z 0
		.amdhsa_system_sgpr_workgroup_info 0
		.amdhsa_system_vgpr_workitem_id 0
		.amdhsa_next_free_vgpr 52
		.amdhsa_next_free_sgpr 16
		.amdhsa_accum_offset 52
		.amdhsa_reserve_vcc 1
		.amdhsa_float_round_mode_32 0
		.amdhsa_float_round_mode_16_64 0
		.amdhsa_float_denorm_mode_32 3
		.amdhsa_float_denorm_mode_16_64 3
		.amdhsa_dx10_clamp 1
		.amdhsa_ieee_mode 1
		.amdhsa_fp16_overflow 0
		.amdhsa_tg_split 0
		.amdhsa_exception_fp_ieee_invalid_op 0
		.amdhsa_exception_fp_denorm_src 0
		.amdhsa_exception_fp_ieee_div_zero 0
		.amdhsa_exception_fp_ieee_overflow 0
		.amdhsa_exception_fp_ieee_underflow 0
		.amdhsa_exception_fp_ieee_inexact 0
		.amdhsa_exception_int_div_zero 0
	.end_amdhsa_kernel
	.section	.text._ZN9rocsparseL19gebsrmvn_4xn_kernelILj128ELj2ELj8E21rocsparse_complex_numIfEEEvi20rocsparse_direction_NS_24const_host_device_scalarIT2_EEPKiS8_PKS5_SA_S6_PS5_21rocsparse_index_base_b,"axG",@progbits,_ZN9rocsparseL19gebsrmvn_4xn_kernelILj128ELj2ELj8E21rocsparse_complex_numIfEEEvi20rocsparse_direction_NS_24const_host_device_scalarIT2_EEPKiS8_PKS5_SA_S6_PS5_21rocsparse_index_base_b,comdat
.Lfunc_end80:
	.size	_ZN9rocsparseL19gebsrmvn_4xn_kernelILj128ELj2ELj8E21rocsparse_complex_numIfEEEvi20rocsparse_direction_NS_24const_host_device_scalarIT2_EEPKiS8_PKS5_SA_S6_PS5_21rocsparse_index_base_b, .Lfunc_end80-_ZN9rocsparseL19gebsrmvn_4xn_kernelILj128ELj2ELj8E21rocsparse_complex_numIfEEEvi20rocsparse_direction_NS_24const_host_device_scalarIT2_EEPKiS8_PKS5_SA_S6_PS5_21rocsparse_index_base_b
                                        ; -- End function
	.set _ZN9rocsparseL19gebsrmvn_4xn_kernelILj128ELj2ELj8E21rocsparse_complex_numIfEEEvi20rocsparse_direction_NS_24const_host_device_scalarIT2_EEPKiS8_PKS5_SA_S6_PS5_21rocsparse_index_base_b.num_vgpr, 52
	.set _ZN9rocsparseL19gebsrmvn_4xn_kernelILj128ELj2ELj8E21rocsparse_complex_numIfEEEvi20rocsparse_direction_NS_24const_host_device_scalarIT2_EEPKiS8_PKS5_SA_S6_PS5_21rocsparse_index_base_b.num_agpr, 0
	.set _ZN9rocsparseL19gebsrmvn_4xn_kernelILj128ELj2ELj8E21rocsparse_complex_numIfEEEvi20rocsparse_direction_NS_24const_host_device_scalarIT2_EEPKiS8_PKS5_SA_S6_PS5_21rocsparse_index_base_b.numbered_sgpr, 16
	.set _ZN9rocsparseL19gebsrmvn_4xn_kernelILj128ELj2ELj8E21rocsparse_complex_numIfEEEvi20rocsparse_direction_NS_24const_host_device_scalarIT2_EEPKiS8_PKS5_SA_S6_PS5_21rocsparse_index_base_b.num_named_barrier, 0
	.set _ZN9rocsparseL19gebsrmvn_4xn_kernelILj128ELj2ELj8E21rocsparse_complex_numIfEEEvi20rocsparse_direction_NS_24const_host_device_scalarIT2_EEPKiS8_PKS5_SA_S6_PS5_21rocsparse_index_base_b.private_seg_size, 0
	.set _ZN9rocsparseL19gebsrmvn_4xn_kernelILj128ELj2ELj8E21rocsparse_complex_numIfEEEvi20rocsparse_direction_NS_24const_host_device_scalarIT2_EEPKiS8_PKS5_SA_S6_PS5_21rocsparse_index_base_b.uses_vcc, 1
	.set _ZN9rocsparseL19gebsrmvn_4xn_kernelILj128ELj2ELj8E21rocsparse_complex_numIfEEEvi20rocsparse_direction_NS_24const_host_device_scalarIT2_EEPKiS8_PKS5_SA_S6_PS5_21rocsparse_index_base_b.uses_flat_scratch, 0
	.set _ZN9rocsparseL19gebsrmvn_4xn_kernelILj128ELj2ELj8E21rocsparse_complex_numIfEEEvi20rocsparse_direction_NS_24const_host_device_scalarIT2_EEPKiS8_PKS5_SA_S6_PS5_21rocsparse_index_base_b.has_dyn_sized_stack, 0
	.set _ZN9rocsparseL19gebsrmvn_4xn_kernelILj128ELj2ELj8E21rocsparse_complex_numIfEEEvi20rocsparse_direction_NS_24const_host_device_scalarIT2_EEPKiS8_PKS5_SA_S6_PS5_21rocsparse_index_base_b.has_recursion, 0
	.set _ZN9rocsparseL19gebsrmvn_4xn_kernelILj128ELj2ELj8E21rocsparse_complex_numIfEEEvi20rocsparse_direction_NS_24const_host_device_scalarIT2_EEPKiS8_PKS5_SA_S6_PS5_21rocsparse_index_base_b.has_indirect_call, 0
	.section	.AMDGPU.csdata,"",@progbits
; Kernel info:
; codeLenInByte = 1768
; TotalNumSgprs: 22
; NumVgprs: 52
; NumAgprs: 0
; TotalNumVgprs: 52
; ScratchSize: 0
; MemoryBound: 0
; FloatMode: 240
; IeeeMode: 1
; LDSByteSize: 0 bytes/workgroup (compile time only)
; SGPRBlocks: 2
; VGPRBlocks: 6
; NumSGPRsForWavesPerEU: 22
; NumVGPRsForWavesPerEU: 52
; AccumOffset: 52
; Occupancy: 8
; WaveLimiterHint : 1
; COMPUTE_PGM_RSRC2:SCRATCH_EN: 0
; COMPUTE_PGM_RSRC2:USER_SGPR: 2
; COMPUTE_PGM_RSRC2:TRAP_HANDLER: 0
; COMPUTE_PGM_RSRC2:TGID_X_EN: 1
; COMPUTE_PGM_RSRC2:TGID_Y_EN: 0
; COMPUTE_PGM_RSRC2:TGID_Z_EN: 0
; COMPUTE_PGM_RSRC2:TIDIG_COMP_CNT: 0
; COMPUTE_PGM_RSRC3_GFX90A:ACCUM_OFFSET: 12
; COMPUTE_PGM_RSRC3_GFX90A:TG_SPLIT: 0
	.section	.text._ZN9rocsparseL19gebsrmvn_4xn_kernelILj128ELj2ELj16E21rocsparse_complex_numIfEEEvi20rocsparse_direction_NS_24const_host_device_scalarIT2_EEPKiS8_PKS5_SA_S6_PS5_21rocsparse_index_base_b,"axG",@progbits,_ZN9rocsparseL19gebsrmvn_4xn_kernelILj128ELj2ELj16E21rocsparse_complex_numIfEEEvi20rocsparse_direction_NS_24const_host_device_scalarIT2_EEPKiS8_PKS5_SA_S6_PS5_21rocsparse_index_base_b,comdat
	.globl	_ZN9rocsparseL19gebsrmvn_4xn_kernelILj128ELj2ELj16E21rocsparse_complex_numIfEEEvi20rocsparse_direction_NS_24const_host_device_scalarIT2_EEPKiS8_PKS5_SA_S6_PS5_21rocsparse_index_base_b ; -- Begin function _ZN9rocsparseL19gebsrmvn_4xn_kernelILj128ELj2ELj16E21rocsparse_complex_numIfEEEvi20rocsparse_direction_NS_24const_host_device_scalarIT2_EEPKiS8_PKS5_SA_S6_PS5_21rocsparse_index_base_b
	.p2align	8
	.type	_ZN9rocsparseL19gebsrmvn_4xn_kernelILj128ELj2ELj16E21rocsparse_complex_numIfEEEvi20rocsparse_direction_NS_24const_host_device_scalarIT2_EEPKiS8_PKS5_SA_S6_PS5_21rocsparse_index_base_b,@function
_ZN9rocsparseL19gebsrmvn_4xn_kernelILj128ELj2ELj16E21rocsparse_complex_numIfEEEvi20rocsparse_direction_NS_24const_host_device_scalarIT2_EEPKiS8_PKS5_SA_S6_PS5_21rocsparse_index_base_b: ; @_ZN9rocsparseL19gebsrmvn_4xn_kernelILj128ELj2ELj16E21rocsparse_complex_numIfEEEvi20rocsparse_direction_NS_24const_host_device_scalarIT2_EEPKiS8_PKS5_SA_S6_PS5_21rocsparse_index_base_b
; %bb.0:
	s_load_dwordx2 s[4:5], s[0:1], 0x8
	s_load_dwordx2 s[6:7], s[0:1], 0x30
	;; [unrolled: 1-line block ×3, first 2 shown]
	s_add_u32 s3, s0, 8
	s_addc_u32 s8, s1, 0
	s_add_u32 s9, s0, 48
	s_addc_u32 s10, s1, 0
	s_waitcnt lgkmcnt(0)
	s_bitcmp1_b32 s13, 0
	s_cselect_b32 s3, s3, s4
	s_cselect_b32 s5, s8, s5
	v_mov_b32_e32 v2, s3
	s_cselect_b32 s3, s10, s7
	s_cselect_b32 s4, s9, s6
	v_mov_b32_e32 v3, s5
	v_mov_b32_e32 v4, s4
	;; [unrolled: 1-line block ×3, first 2 shown]
	flat_load_dwordx2 v[2:3], v[2:3]
	s_waitcnt vmcnt(0) lgkmcnt(0)
	v_cmp_eq_f32_e32 vcc, 0, v2
	flat_load_dwordx2 v[4:5], v[4:5]
	v_cmp_eq_f32_e64 s[4:5], 0, v3
	s_and_b64 s[4:5], vcc, s[4:5]
	s_waitcnt vmcnt(0) lgkmcnt(0)
	v_cmp_eq_f32_e64 s[6:7], 1.0, v4
	v_cmp_eq_f32_e64 s[8:9], 0, v5
	s_and_b64 s[6:7], s[6:7], s[8:9]
	s_and_b64 s[4:5], s[4:5], s[6:7]
	s_xor_b64 s[4:5], s[4:5], -1
	s_and_saveexec_b64 s[6:7], s[4:5]
	s_cbranch_execz .LBB81_19
; %bb.1:
	s_load_dwordx2 s[14:15], s[0:1], 0x0
	v_lshrrev_b32_e32 v1, 4, v0
	v_lshl_or_b32 v6, s2, 3, v1
	s_waitcnt lgkmcnt(0)
	v_cmp_gt_i32_e32 vcc, s14, v6
	s_and_b64 exec, exec, vcc
	s_cbranch_execz .LBB81_19
; %bb.2:
	s_load_dwordx8 s[4:11], s[0:1], 0x10
	v_ashrrev_i32_e32 v7, 31, v6
	s_cmp_lg_u32 s15, 0
	s_waitcnt lgkmcnt(0)
	v_lshl_add_u64 v[8:9], v[6:7], 2, s[4:5]
	global_load_dwordx2 v[8:9], v[8:9], off
	v_and_b32_e32 v7, 15, v0
	s_waitcnt vmcnt(0)
	v_subrev_u32_e32 v0, s12, v8
	v_subrev_u32_e32 v20, s12, v9
	v_add_u32_e32 v10, v0, v7
	v_cmp_lt_i32_e64 s[2:3], v10, v20
	s_cbranch_scc0 .LBB81_8
; %bb.3:
	v_mov_b32_e32 v15, 0
	v_mov_b32_e32 v14, v15
	;; [unrolled: 1-line block ×8, first 2 shown]
	s_and_saveexec_b64 s[4:5], s[2:3]
	s_cbranch_execz .LBB81_7
; %bb.4:
	v_mov_b32_e32 v17, 0
	v_lshlrev_b32_e32 v16, 3, v10
	s_mov_b64 s[14:15], 0
	v_mov_b32_e32 v18, v10
	v_mov_b32_e32 v12, v17
	;; [unrolled: 1-line block ×9, first 2 shown]
.LBB81_5:                               ; =>This Inner Loop Header: Depth=1
	v_ashrrev_i32_e32 v19, 31, v18
	v_lshl_add_u64 v[22:23], v[18:19], 2, s[6:7]
	global_load_dword v11, v[22:23], off
	v_mov_b32_e32 v35, v17
	v_lshl_add_u64 v[42:43], v[16:17], 3, s[8:9]
	global_load_dwordx4 v[22:25], v[42:43], off offset:16
	global_load_dwordx4 v[26:29], v[42:43], off
	global_load_dwordx4 v[30:33], v[42:43], off offset:32
	v_add_u32_e32 v18, 16, v18
	v_cmp_ge_i32_e32 vcc, v18, v20
	v_add_u32_e32 v16, 0x80, v16
	s_or_b64 s[14:15], vcc, s[14:15]
	s_waitcnt vmcnt(3)
	v_subrev_u32_e32 v11, s12, v11
	v_lshlrev_b32_e32 v34, 1, v11
	v_lshl_add_u64 v[44:45], v[34:35], 3, s[10:11]
	global_load_dwordx4 v[34:37], v[44:45], off
	global_load_dwordx4 v[38:41], v[42:43], off offset:48
	s_waitcnt vmcnt(3)
	v_xor_b32_e32 v42, 0x80000000, v29
	v_mov_b32_e32 v43, v28
	v_xor_b32_e32 v46, 0x80000000, v25
	v_mov_b32_e32 v47, v24
	s_waitcnt vmcnt(2)
	v_xor_b32_e32 v44, 0x80000000, v33
	v_mov_b32_e32 v45, v32
	s_waitcnt vmcnt(1)
	v_pk_fma_f32 v[14:15], v[26:27], v[34:35], v[14:15] op_sel_hi:[1,0,1]
	v_pk_fma_f32 v[12:13], v[28:29], v[34:35], v[12:13] op_sel_hi:[1,0,1]
	;; [unrolled: 1-line block ×4, first 2 shown]
	v_pk_fma_f32 v[14:15], v[26:27], v[34:35], v[14:15] op_sel:[1,1,0] op_sel_hi:[0,1,1] neg_lo:[1,0,0]
	v_pk_fma_f32 v[12:13], v[42:43], v[34:35], v[12:13] op_sel:[0,1,0]
	v_pk_fma_f32 v[8:9], v[22:23], v[34:35], v[8:9] op_sel:[1,1,0] op_sel_hi:[0,1,1] neg_lo:[1,0,0]
	v_pk_fma_f32 v[0:1], v[46:47], v[34:35], v[0:1] op_sel:[0,1,0]
	s_waitcnt vmcnt(0)
	v_xor_b32_e32 v48, 0x80000000, v41
	v_mov_b32_e32 v49, v40
	v_mov_b32_e32 v50, v37
	v_pk_fma_f32 v[14:15], v[30:31], v[36:37], v[14:15] op_sel_hi:[1,0,1]
	v_pk_fma_f32 v[12:13], v[32:33], v[36:37], v[12:13] op_sel_hi:[1,0,1]
	;; [unrolled: 1-line block ×4, first 2 shown]
	v_pk_fma_f32 v[14:15], v[30:31], v[50:51], v[14:15] op_sel:[1,0,0] op_sel_hi:[0,0,1] neg_lo:[1,0,0]
	v_pk_fma_f32 v[12:13], v[44:45], v[50:51], v[12:13] op_sel_hi:[1,0,1]
	v_pk_fma_f32 v[8:9], v[38:39], v[50:51], v[8:9] op_sel:[1,0,0] op_sel_hi:[0,0,1] neg_lo:[1,0,0]
	v_pk_fma_f32 v[0:1], v[48:49], v[50:51], v[0:1] op_sel_hi:[1,0,1]
	s_andn2_b64 exec, exec, s[14:15]
	s_cbranch_execnz .LBB81_5
; %bb.6:
	s_or_b64 exec, exec, s[14:15]
.LBB81_7:
	s_or_b64 exec, exec, s[4:5]
	s_cbranch_execz .LBB81_9
	s_branch .LBB81_14
.LBB81_8:
                                        ; implicit-def: $vgpr15
                                        ; implicit-def: $vgpr1
                                        ; implicit-def: $vgpr9
                                        ; implicit-def: $vgpr13
.LBB81_9:
	v_mov_b32_e32 v15, 0
	v_mov_b32_e32 v14, v15
	;; [unrolled: 1-line block ×8, first 2 shown]
	s_and_saveexec_b64 s[4:5], s[2:3]
	s_cbranch_execz .LBB81_13
; %bb.10:
	v_mov_b32_e32 v17, 0
	v_lshlrev_b32_e32 v16, 3, v10
	s_mov_b64 s[2:3], 0
	v_mov_b32_e32 v12, v17
	v_mov_b32_e32 v13, v17
	;; [unrolled: 1-line block ×8, first 2 shown]
.LBB81_11:                              ; =>This Inner Loop Header: Depth=1
	v_ashrrev_i32_e32 v11, 31, v10
	v_lshl_add_u64 v[18:19], v[10:11], 2, s[6:7]
	global_load_dword v11, v[18:19], off
	v_lshl_add_u64 v[18:19], v[16:17], 3, s[8:9]
	v_mov_b32_e32 v39, v17
	global_load_dwordx4 v[22:25], v[18:19], off
	global_load_dwordx4 v[26:29], v[18:19], off offset:16
	global_load_dwordx4 v[30:33], v[18:19], off offset:48
	;; [unrolled: 1-line block ×3, first 2 shown]
	v_add_u32_e32 v10, 16, v10
	v_cmp_ge_i32_e32 vcc, v10, v20
	v_add_u32_e32 v16, 0x80, v16
	s_or_b64 s[2:3], vcc, s[2:3]
	s_waitcnt vmcnt(4)
	v_subrev_u32_e32 v11, s12, v11
	v_lshlrev_b32_e32 v38, 1, v11
	v_lshl_add_u64 v[18:19], v[38:39], 3, s[10:11]
	global_load_dwordx4 v[38:41], v[18:19], off
	s_waitcnt vmcnt(4)
	v_xor_b32_e32 v18, 0x80000000, v25
	v_mov_b32_e32 v19, v24
	s_waitcnt vmcnt(3)
	v_xor_b32_e32 v42, 0x80000000, v29
	v_mov_b32_e32 v43, v28
	;; [unrolled: 3-line block ×3, first 2 shown]
	v_xor_b32_e32 v46, 0x80000000, v33
	v_mov_b32_e32 v47, v32
	s_waitcnt vmcnt(0)
	v_pk_fma_f32 v[14:15], v[22:23], v[38:39], v[14:15] op_sel_hi:[1,0,1]
	v_pk_fma_f32 v[12:13], v[26:27], v[38:39], v[12:13] op_sel_hi:[1,0,1]
	;; [unrolled: 1-line block ×4, first 2 shown]
	v_pk_fma_f32 v[14:15], v[22:23], v[38:39], v[14:15] op_sel:[1,1,0] op_sel_hi:[0,1,1] neg_lo:[1,0,0]
	v_pk_fma_f32 v[12:13], v[26:27], v[38:39], v[12:13] op_sel:[1,1,0] op_sel_hi:[0,1,1] neg_lo:[1,0,0]
	v_pk_fma_f32 v[8:9], v[34:35], v[38:39], v[8:9] op_sel:[1,1,0] op_sel_hi:[0,1,1] neg_lo:[1,0,0]
	v_pk_fma_f32 v[0:1], v[30:31], v[38:39], v[0:1] op_sel:[1,1,0] op_sel_hi:[0,1,1] neg_lo:[1,0,0]
	v_mov_b32_e32 v48, v41
	v_pk_fma_f32 v[14:15], v[24:25], v[40:41], v[14:15] op_sel_hi:[1,0,1]
	v_pk_fma_f32 v[12:13], v[28:29], v[40:41], v[12:13] op_sel_hi:[1,0,1]
	;; [unrolled: 1-line block ×8, first 2 shown]
	s_andn2_b64 exec, exec, s[2:3]
	s_cbranch_execnz .LBB81_11
; %bb.12:
	s_or_b64 exec, exec, s[2:3]
.LBB81_13:
	s_or_b64 exec, exec, s[4:5]
.LBB81_14:
	v_mov_b32_dpp v16, v12 row_shr:1 row_mask:0xf bank_mask:0xf
	v_add_f32_e32 v12, v12, v16
	v_mov_b32_dpp v10, v14 row_shr:1 row_mask:0xf bank_mask:0xf
	v_add_f32_e32 v10, v14, v10
	;; [unrolled: 2-line block ×6, first 2 shown]
	v_mov_b32_dpp v11, v10 row_shr:2 row_mask:0xf bank_mask:0xf
	v_mov_b32_dpp v15, v14 row_shr:2 row_mask:0xf bank_mask:0xf
	;; [unrolled: 1-line block ×3, first 2 shown]
	v_add_f32_e32 v12, v12, v13
	v_add_f32_e32 v10, v10, v11
	;; [unrolled: 1-line block ×3, first 2 shown]
	v_mov_b32_dpp v13, v12 row_shr:4 row_mask:0xf bank_mask:0xe
	v_add_f32_e32 v13, v12, v13
	v_mov_b32_dpp v12, v8 row_shr:1 row_mask:0xf bank_mask:0xf
	v_add_f32_e32 v8, v8, v12
	v_mov_b32_dpp v11, v10 row_shr:4 row_mask:0xf bank_mask:0xe
	v_mov_b32_dpp v15, v14 row_shr:4 row_mask:0xf bank_mask:0xe
	;; [unrolled: 1-line block ×3, first 2 shown]
	v_add_f32_e32 v8, v8, v12
	v_add_f32_e32 v10, v10, v11
	;; [unrolled: 1-line block ×3, first 2 shown]
	v_mov_b32_dpp v12, v8 row_shr:4 row_mask:0xf bank_mask:0xe
	v_add_f32_e32 v8, v8, v12
	v_mov_b32_dpp v11, v10 row_shr:8 row_mask:0xf bank_mask:0xc
	v_mov_b32_dpp v12, v9 row_shr:1 row_mask:0xf bank_mask:0xf
	v_add_f32_e32 v9, v9, v12
	v_mov_b32_dpp v15, v14 row_shr:8 row_mask:0xf bank_mask:0xc
	v_mov_b32_dpp v17, v16 row_shr:8 row_mask:0xf bank_mask:0xc
	;; [unrolled: 1-line block ×3, first 2 shown]
	v_add_f32_e32 v9, v9, v12
	v_mov_b32_dpp v18, v13 row_shr:8 row_mask:0xf bank_mask:0xc
	v_mov_b32_dpp v19, v8 row_shr:8 row_mask:0xf bank_mask:0xc
	;; [unrolled: 1-line block ×3, first 2 shown]
	v_add_f32_e32 v9, v9, v12
	v_cmp_eq_u32_e32 vcc, 15, v7
	v_mov_b32_dpp v12, v0 row_shr:1 row_mask:0xf bank_mask:0xf
	v_add_f32_e32 v0, v0, v12
	v_mov_b32_dpp v21, v9 row_shr:8 row_mask:0xf bank_mask:0xc
	s_nop 0
	v_mov_b32_dpp v12, v0 row_shr:2 row_mask:0xf bank_mask:0xf
	v_add_f32_e32 v0, v0, v12
	s_nop 1
	v_mov_b32_dpp v12, v0 row_shr:4 row_mask:0xf bank_mask:0xe
	v_add_f32_e32 v0, v0, v12
	s_nop 0
	v_mov_b32_dpp v12, v1 row_shr:1 row_mask:0xf bank_mask:0xf
	v_add_f32_e32 v1, v1, v12
	v_mov_b32_dpp v22, v0 row_shr:8 row_mask:0xf bank_mask:0xc
	s_nop 0
	v_mov_b32_dpp v12, v1 row_shr:2 row_mask:0xf bank_mask:0xf
	v_add_f32_e32 v1, v1, v12
	s_nop 1
	v_mov_b32_dpp v12, v1 row_shr:4 row_mask:0xf bank_mask:0xe
	v_add_f32_e32 v1, v1, v12
	s_nop 1
	v_mov_b32_dpp v23, v1 row_shr:8 row_mask:0xf bank_mask:0xc
	s_and_b64 exec, exec, vcc
	s_cbranch_execz .LBB81_19
; %bb.15:
	s_load_dwordx2 s[2:3], s[0:1], 0x38
	v_cmp_eq_f32_e32 vcc, 0, v4
	v_cmp_eq_f32_e64 s[0:1], 0, v5
	v_add_f32_e32 v12, v10, v11
	v_add_f32_e32 v20, v14, v15
	;; [unrolled: 1-line block ×8, first 2 shown]
	s_and_b64 s[0:1], vcc, s[0:1]
	s_and_saveexec_b64 s[4:5], s[0:1]
	s_xor_b64 s[0:1], exec, s[4:5]
	s_cbranch_execz .LBB81_17
; %bb.16:
	v_lshlrev_b32_e32 v4, 2, v6
	v_xor_b32_e32 v22, 0x80000000, v3
	v_ashrrev_i32_e32 v5, 31, v4
	v_mov_b32_e32 v23, v2
	s_waitcnt lgkmcnt(0)
	v_lshl_add_u64 v[24:25], v[4:5], 3, s[2:3]
	v_pk_mul_f32 v[4:5], v[20:21], v[22:23] op_sel_hi:[0,1]
	v_pk_mul_f32 v[6:7], v[18:19], v[22:23] op_sel_hi:[0,1]
	v_pk_fma_f32 v[4:5], v[2:3], v[12:13], v[4:5] op_sel_hi:[1,0,1]
	v_pk_fma_f32 v[6:7], v[2:3], v[10:11], v[6:7] op_sel_hi:[1,0,1]
	global_store_dwordx4 v[24:25], v[4:7], off
                                        ; implicit-def: $vgpr12
                                        ; implicit-def: $vgpr20
                                        ; implicit-def: $vgpr10
                                        ; implicit-def: $vgpr18
	s_nop 1
	v_pk_mul_f32 v[4:5], v[16:17], v[22:23] op_sel_hi:[0,1]
	v_pk_mul_f32 v[6:7], v[14:15], v[22:23] op_sel_hi:[0,1]
	v_pk_fma_f32 v[4:5], v[2:3], v[8:9], v[4:5] op_sel_hi:[1,0,1]
	v_pk_fma_f32 v[6:7], v[2:3], v[0:1], v[6:7] op_sel_hi:[1,0,1]
	global_store_dwordx4 v[24:25], v[4:7], off offset:16
                                        ; implicit-def: $vgpr6
                                        ; implicit-def: $vgpr8
                                        ; implicit-def: $vgpr16
                                        ; implicit-def: $vgpr0
                                        ; implicit-def: $vgpr14
                                        ; implicit-def: $vgpr2_vgpr3
                                        ; implicit-def: $vgpr4_vgpr5
.LBB81_17:
	s_andn2_saveexec_b64 s[0:1], s[0:1]
	s_cbranch_execz .LBB81_19
; %bb.18:
	v_lshlrev_b32_e32 v6, 2, v6
	v_ashrrev_i32_e32 v7, 31, v6
	s_waitcnt lgkmcnt(0)
	v_lshl_add_u64 v[30:31], v[6:7], 3, s[2:3]
	global_load_dwordx4 v[22:25], v[30:31], off
	global_load_dwordx4 v[26:29], v[30:31], off offset:16
	v_xor_b32_e32 v6, 0x80000000, v3
	v_mov_b32_e32 v7, v2
	v_pk_mul_f32 v[20:21], v[20:21], v[6:7] op_sel_hi:[0,1]
	v_pk_mul_f32 v[18:19], v[18:19], v[6:7] op_sel_hi:[0,1]
	v_pk_mul_f32 v[16:17], v[16:17], v[6:7] op_sel_hi:[0,1]
	v_pk_mul_f32 v[6:7], v[14:15], v[6:7] op_sel_hi:[0,1]
	v_pk_fma_f32 v[12:13], v[2:3], v[12:13], v[20:21] op_sel_hi:[1,0,1]
	v_pk_fma_f32 v[10:11], v[2:3], v[10:11], v[18:19] op_sel_hi:[1,0,1]
	v_xor_b32_e32 v32, 0x80000000, v5
	v_mov_b32_e32 v33, v4
	v_pk_fma_f32 v[8:9], v[2:3], v[8:9], v[16:17] op_sel_hi:[1,0,1]
	v_pk_fma_f32 v[0:1], v[2:3], v[0:1], v[6:7] op_sel_hi:[1,0,1]
	s_waitcnt vmcnt(1)
	v_pk_fma_f32 v[2:3], v[4:5], v[22:23], v[12:13] op_sel_hi:[1,0,1]
	v_pk_fma_f32 v[6:7], v[4:5], v[24:25], v[10:11] op_sel_hi:[1,0,1]
	v_mov_b32_e32 v10, v25
	s_waitcnt vmcnt(0)
	v_pk_fma_f32 v[8:9], v[4:5], v[26:27], v[8:9] op_sel_hi:[1,0,1]
	v_pk_fma_f32 v[12:13], v[4:5], v[28:29], v[0:1] op_sel_hi:[1,0,1]
	v_mov_b32_e32 v14, v29
	v_pk_fma_f32 v[0:1], v[32:33], v[22:23], v[2:3] op_sel:[0,1,0]
	v_pk_fma_f32 v[2:3], v[32:33], v[10:11], v[6:7] op_sel_hi:[1,0,1]
	v_pk_fma_f32 v[4:5], v[32:33], v[26:27], v[8:9] op_sel:[0,1,0]
	v_pk_fma_f32 v[6:7], v[32:33], v[14:15], v[12:13] op_sel_hi:[1,0,1]
	global_store_dwordx4 v[30:31], v[0:3], off
	global_store_dwordx4 v[30:31], v[4:7], off offset:16
.LBB81_19:
	s_endpgm
	.section	.rodata,"a",@progbits
	.p2align	6, 0x0
	.amdhsa_kernel _ZN9rocsparseL19gebsrmvn_4xn_kernelILj128ELj2ELj16E21rocsparse_complex_numIfEEEvi20rocsparse_direction_NS_24const_host_device_scalarIT2_EEPKiS8_PKS5_SA_S6_PS5_21rocsparse_index_base_b
		.amdhsa_group_segment_fixed_size 0
		.amdhsa_private_segment_fixed_size 0
		.amdhsa_kernarg_size 72
		.amdhsa_user_sgpr_count 2
		.amdhsa_user_sgpr_dispatch_ptr 0
		.amdhsa_user_sgpr_queue_ptr 0
		.amdhsa_user_sgpr_kernarg_segment_ptr 1
		.amdhsa_user_sgpr_dispatch_id 0
		.amdhsa_user_sgpr_kernarg_preload_length 0
		.amdhsa_user_sgpr_kernarg_preload_offset 0
		.amdhsa_user_sgpr_private_segment_size 0
		.amdhsa_uses_dynamic_stack 0
		.amdhsa_enable_private_segment 0
		.amdhsa_system_sgpr_workgroup_id_x 1
		.amdhsa_system_sgpr_workgroup_id_y 0
		.amdhsa_system_sgpr_workgroup_id_z 0
		.amdhsa_system_sgpr_workgroup_info 0
		.amdhsa_system_vgpr_workitem_id 0
		.amdhsa_next_free_vgpr 52
		.amdhsa_next_free_sgpr 16
		.amdhsa_accum_offset 52
		.amdhsa_reserve_vcc 1
		.amdhsa_float_round_mode_32 0
		.amdhsa_float_round_mode_16_64 0
		.amdhsa_float_denorm_mode_32 3
		.amdhsa_float_denorm_mode_16_64 3
		.amdhsa_dx10_clamp 1
		.amdhsa_ieee_mode 1
		.amdhsa_fp16_overflow 0
		.amdhsa_tg_split 0
		.amdhsa_exception_fp_ieee_invalid_op 0
		.amdhsa_exception_fp_denorm_src 0
		.amdhsa_exception_fp_ieee_div_zero 0
		.amdhsa_exception_fp_ieee_overflow 0
		.amdhsa_exception_fp_ieee_underflow 0
		.amdhsa_exception_fp_ieee_inexact 0
		.amdhsa_exception_int_div_zero 0
	.end_amdhsa_kernel
	.section	.text._ZN9rocsparseL19gebsrmvn_4xn_kernelILj128ELj2ELj16E21rocsparse_complex_numIfEEEvi20rocsparse_direction_NS_24const_host_device_scalarIT2_EEPKiS8_PKS5_SA_S6_PS5_21rocsparse_index_base_b,"axG",@progbits,_ZN9rocsparseL19gebsrmvn_4xn_kernelILj128ELj2ELj16E21rocsparse_complex_numIfEEEvi20rocsparse_direction_NS_24const_host_device_scalarIT2_EEPKiS8_PKS5_SA_S6_PS5_21rocsparse_index_base_b,comdat
.Lfunc_end81:
	.size	_ZN9rocsparseL19gebsrmvn_4xn_kernelILj128ELj2ELj16E21rocsparse_complex_numIfEEEvi20rocsparse_direction_NS_24const_host_device_scalarIT2_EEPKiS8_PKS5_SA_S6_PS5_21rocsparse_index_base_b, .Lfunc_end81-_ZN9rocsparseL19gebsrmvn_4xn_kernelILj128ELj2ELj16E21rocsparse_complex_numIfEEEvi20rocsparse_direction_NS_24const_host_device_scalarIT2_EEPKiS8_PKS5_SA_S6_PS5_21rocsparse_index_base_b
                                        ; -- End function
	.set _ZN9rocsparseL19gebsrmvn_4xn_kernelILj128ELj2ELj16E21rocsparse_complex_numIfEEEvi20rocsparse_direction_NS_24const_host_device_scalarIT2_EEPKiS8_PKS5_SA_S6_PS5_21rocsparse_index_base_b.num_vgpr, 52
	.set _ZN9rocsparseL19gebsrmvn_4xn_kernelILj128ELj2ELj16E21rocsparse_complex_numIfEEEvi20rocsparse_direction_NS_24const_host_device_scalarIT2_EEPKiS8_PKS5_SA_S6_PS5_21rocsparse_index_base_b.num_agpr, 0
	.set _ZN9rocsparseL19gebsrmvn_4xn_kernelILj128ELj2ELj16E21rocsparse_complex_numIfEEEvi20rocsparse_direction_NS_24const_host_device_scalarIT2_EEPKiS8_PKS5_SA_S6_PS5_21rocsparse_index_base_b.numbered_sgpr, 16
	.set _ZN9rocsparseL19gebsrmvn_4xn_kernelILj128ELj2ELj16E21rocsparse_complex_numIfEEEvi20rocsparse_direction_NS_24const_host_device_scalarIT2_EEPKiS8_PKS5_SA_S6_PS5_21rocsparse_index_base_b.num_named_barrier, 0
	.set _ZN9rocsparseL19gebsrmvn_4xn_kernelILj128ELj2ELj16E21rocsparse_complex_numIfEEEvi20rocsparse_direction_NS_24const_host_device_scalarIT2_EEPKiS8_PKS5_SA_S6_PS5_21rocsparse_index_base_b.private_seg_size, 0
	.set _ZN9rocsparseL19gebsrmvn_4xn_kernelILj128ELj2ELj16E21rocsparse_complex_numIfEEEvi20rocsparse_direction_NS_24const_host_device_scalarIT2_EEPKiS8_PKS5_SA_S6_PS5_21rocsparse_index_base_b.uses_vcc, 1
	.set _ZN9rocsparseL19gebsrmvn_4xn_kernelILj128ELj2ELj16E21rocsparse_complex_numIfEEEvi20rocsparse_direction_NS_24const_host_device_scalarIT2_EEPKiS8_PKS5_SA_S6_PS5_21rocsparse_index_base_b.uses_flat_scratch, 0
	.set _ZN9rocsparseL19gebsrmvn_4xn_kernelILj128ELj2ELj16E21rocsparse_complex_numIfEEEvi20rocsparse_direction_NS_24const_host_device_scalarIT2_EEPKiS8_PKS5_SA_S6_PS5_21rocsparse_index_base_b.has_dyn_sized_stack, 0
	.set _ZN9rocsparseL19gebsrmvn_4xn_kernelILj128ELj2ELj16E21rocsparse_complex_numIfEEEvi20rocsparse_direction_NS_24const_host_device_scalarIT2_EEPKiS8_PKS5_SA_S6_PS5_21rocsparse_index_base_b.has_recursion, 0
	.set _ZN9rocsparseL19gebsrmvn_4xn_kernelILj128ELj2ELj16E21rocsparse_complex_numIfEEEvi20rocsparse_direction_NS_24const_host_device_scalarIT2_EEPKiS8_PKS5_SA_S6_PS5_21rocsparse_index_base_b.has_indirect_call, 0
	.section	.AMDGPU.csdata,"",@progbits
; Kernel info:
; codeLenInByte = 1892
; TotalNumSgprs: 22
; NumVgprs: 52
; NumAgprs: 0
; TotalNumVgprs: 52
; ScratchSize: 0
; MemoryBound: 0
; FloatMode: 240
; IeeeMode: 1
; LDSByteSize: 0 bytes/workgroup (compile time only)
; SGPRBlocks: 2
; VGPRBlocks: 6
; NumSGPRsForWavesPerEU: 22
; NumVGPRsForWavesPerEU: 52
; AccumOffset: 52
; Occupancy: 8
; WaveLimiterHint : 1
; COMPUTE_PGM_RSRC2:SCRATCH_EN: 0
; COMPUTE_PGM_RSRC2:USER_SGPR: 2
; COMPUTE_PGM_RSRC2:TRAP_HANDLER: 0
; COMPUTE_PGM_RSRC2:TGID_X_EN: 1
; COMPUTE_PGM_RSRC2:TGID_Y_EN: 0
; COMPUTE_PGM_RSRC2:TGID_Z_EN: 0
; COMPUTE_PGM_RSRC2:TIDIG_COMP_CNT: 0
; COMPUTE_PGM_RSRC3_GFX90A:ACCUM_OFFSET: 12
; COMPUTE_PGM_RSRC3_GFX90A:TG_SPLIT: 0
	.section	.text._ZN9rocsparseL19gebsrmvn_4xn_kernelILj128ELj2ELj32E21rocsparse_complex_numIfEEEvi20rocsparse_direction_NS_24const_host_device_scalarIT2_EEPKiS8_PKS5_SA_S6_PS5_21rocsparse_index_base_b,"axG",@progbits,_ZN9rocsparseL19gebsrmvn_4xn_kernelILj128ELj2ELj32E21rocsparse_complex_numIfEEEvi20rocsparse_direction_NS_24const_host_device_scalarIT2_EEPKiS8_PKS5_SA_S6_PS5_21rocsparse_index_base_b,comdat
	.globl	_ZN9rocsparseL19gebsrmvn_4xn_kernelILj128ELj2ELj32E21rocsparse_complex_numIfEEEvi20rocsparse_direction_NS_24const_host_device_scalarIT2_EEPKiS8_PKS5_SA_S6_PS5_21rocsparse_index_base_b ; -- Begin function _ZN9rocsparseL19gebsrmvn_4xn_kernelILj128ELj2ELj32E21rocsparse_complex_numIfEEEvi20rocsparse_direction_NS_24const_host_device_scalarIT2_EEPKiS8_PKS5_SA_S6_PS5_21rocsparse_index_base_b
	.p2align	8
	.type	_ZN9rocsparseL19gebsrmvn_4xn_kernelILj128ELj2ELj32E21rocsparse_complex_numIfEEEvi20rocsparse_direction_NS_24const_host_device_scalarIT2_EEPKiS8_PKS5_SA_S6_PS5_21rocsparse_index_base_b,@function
_ZN9rocsparseL19gebsrmvn_4xn_kernelILj128ELj2ELj32E21rocsparse_complex_numIfEEEvi20rocsparse_direction_NS_24const_host_device_scalarIT2_EEPKiS8_PKS5_SA_S6_PS5_21rocsparse_index_base_b: ; @_ZN9rocsparseL19gebsrmvn_4xn_kernelILj128ELj2ELj32E21rocsparse_complex_numIfEEEvi20rocsparse_direction_NS_24const_host_device_scalarIT2_EEPKiS8_PKS5_SA_S6_PS5_21rocsparse_index_base_b
; %bb.0:
	s_load_dwordx2 s[4:5], s[0:1], 0x8
	s_load_dwordx2 s[6:7], s[0:1], 0x30
	;; [unrolled: 1-line block ×3, first 2 shown]
	s_add_u32 s3, s0, 8
	s_addc_u32 s8, s1, 0
	s_add_u32 s9, s0, 48
	s_addc_u32 s10, s1, 0
	s_waitcnt lgkmcnt(0)
	s_bitcmp1_b32 s13, 0
	s_cselect_b32 s3, s3, s4
	s_cselect_b32 s5, s8, s5
	v_mov_b32_e32 v2, s3
	s_cselect_b32 s3, s10, s7
	s_cselect_b32 s4, s9, s6
	v_mov_b32_e32 v3, s5
	v_mov_b32_e32 v4, s4
	;; [unrolled: 1-line block ×3, first 2 shown]
	flat_load_dwordx2 v[2:3], v[2:3]
	s_waitcnt vmcnt(0) lgkmcnt(0)
	v_cmp_eq_f32_e32 vcc, 0, v2
	flat_load_dwordx2 v[4:5], v[4:5]
	v_cmp_eq_f32_e64 s[4:5], 0, v3
	s_and_b64 s[4:5], vcc, s[4:5]
	s_waitcnt vmcnt(0) lgkmcnt(0)
	v_cmp_eq_f32_e64 s[6:7], 1.0, v4
	v_cmp_eq_f32_e64 s[8:9], 0, v5
	s_and_b64 s[6:7], s[6:7], s[8:9]
	s_and_b64 s[4:5], s[4:5], s[6:7]
	s_xor_b64 s[4:5], s[4:5], -1
	s_and_saveexec_b64 s[6:7], s[4:5]
	s_cbranch_execz .LBB82_19
; %bb.1:
	s_load_dwordx2 s[14:15], s[0:1], 0x0
	v_lshrrev_b32_e32 v1, 5, v0
	v_lshl_or_b32 v6, s2, 2, v1
	s_waitcnt lgkmcnt(0)
	v_cmp_gt_i32_e32 vcc, s14, v6
	s_and_b64 exec, exec, vcc
	s_cbranch_execz .LBB82_19
; %bb.2:
	s_load_dwordx8 s[4:11], s[0:1], 0x10
	v_ashrrev_i32_e32 v7, 31, v6
	s_cmp_lg_u32 s15, 0
	s_waitcnt lgkmcnt(0)
	v_lshl_add_u64 v[8:9], v[6:7], 2, s[4:5]
	global_load_dwordx2 v[8:9], v[8:9], off
	v_and_b32_e32 v7, 31, v0
	s_waitcnt vmcnt(0)
	v_subrev_u32_e32 v0, s12, v8
	v_subrev_u32_e32 v20, s12, v9
	v_add_u32_e32 v12, v0, v7
	v_cmp_lt_i32_e64 s[2:3], v12, v20
	s_cbranch_scc0 .LBB82_8
; %bb.3:
	v_mov_b32_e32 v15, 0
	v_mov_b32_e32 v14, v15
	;; [unrolled: 1-line block ×8, first 2 shown]
	s_and_saveexec_b64 s[4:5], s[2:3]
	s_cbranch_execz .LBB82_7
; %bb.4:
	v_mov_b32_e32 v17, 0
	v_lshlrev_b32_e32 v16, 3, v12
	s_mov_b64 s[14:15], 0
	v_mov_b32_e32 v18, v12
	v_mov_b32_e32 v10, v17
	;; [unrolled: 1-line block ×9, first 2 shown]
.LBB82_5:                               ; =>This Inner Loop Header: Depth=1
	v_ashrrev_i32_e32 v19, 31, v18
	v_lshl_add_u64 v[22:23], v[18:19], 2, s[6:7]
	global_load_dword v13, v[22:23], off
	v_mov_b32_e32 v35, v17
	v_lshl_add_u64 v[42:43], v[16:17], 3, s[8:9]
	global_load_dwordx4 v[22:25], v[42:43], off offset:16
	global_load_dwordx4 v[26:29], v[42:43], off
	global_load_dwordx4 v[30:33], v[42:43], off offset:32
	v_add_u32_e32 v18, 32, v18
	v_cmp_ge_i32_e32 vcc, v18, v20
	v_add_u32_e32 v16, 0x100, v16
	s_or_b64 s[14:15], vcc, s[14:15]
	s_waitcnt vmcnt(3)
	v_subrev_u32_e32 v13, s12, v13
	v_lshlrev_b32_e32 v34, 1, v13
	v_lshl_add_u64 v[44:45], v[34:35], 3, s[10:11]
	global_load_dwordx4 v[34:37], v[44:45], off
	global_load_dwordx4 v[38:41], v[42:43], off offset:48
	s_waitcnt vmcnt(3)
	v_xor_b32_e32 v42, 0x80000000, v29
	v_mov_b32_e32 v43, v28
	v_xor_b32_e32 v46, 0x80000000, v25
	v_mov_b32_e32 v47, v24
	s_waitcnt vmcnt(2)
	v_xor_b32_e32 v44, 0x80000000, v33
	v_mov_b32_e32 v45, v32
	s_waitcnt vmcnt(1)
	v_pk_fma_f32 v[14:15], v[26:27], v[34:35], v[14:15] op_sel_hi:[1,0,1]
	v_pk_fma_f32 v[10:11], v[28:29], v[34:35], v[10:11] op_sel_hi:[1,0,1]
	;; [unrolled: 1-line block ×4, first 2 shown]
	v_pk_fma_f32 v[14:15], v[26:27], v[34:35], v[14:15] op_sel:[1,1,0] op_sel_hi:[0,1,1] neg_lo:[1,0,0]
	v_pk_fma_f32 v[10:11], v[42:43], v[34:35], v[10:11] op_sel:[0,1,0]
	v_pk_fma_f32 v[8:9], v[22:23], v[34:35], v[8:9] op_sel:[1,1,0] op_sel_hi:[0,1,1] neg_lo:[1,0,0]
	v_pk_fma_f32 v[0:1], v[46:47], v[34:35], v[0:1] op_sel:[0,1,0]
	s_waitcnt vmcnt(0)
	v_xor_b32_e32 v48, 0x80000000, v41
	v_mov_b32_e32 v49, v40
	v_mov_b32_e32 v50, v37
	v_pk_fma_f32 v[14:15], v[30:31], v[36:37], v[14:15] op_sel_hi:[1,0,1]
	v_pk_fma_f32 v[10:11], v[32:33], v[36:37], v[10:11] op_sel_hi:[1,0,1]
	;; [unrolled: 1-line block ×4, first 2 shown]
	v_pk_fma_f32 v[14:15], v[30:31], v[50:51], v[14:15] op_sel:[1,0,0] op_sel_hi:[0,0,1] neg_lo:[1,0,0]
	v_pk_fma_f32 v[10:11], v[44:45], v[50:51], v[10:11] op_sel_hi:[1,0,1]
	v_pk_fma_f32 v[8:9], v[38:39], v[50:51], v[8:9] op_sel:[1,0,0] op_sel_hi:[0,0,1] neg_lo:[1,0,0]
	v_pk_fma_f32 v[0:1], v[48:49], v[50:51], v[0:1] op_sel_hi:[1,0,1]
	s_andn2_b64 exec, exec, s[14:15]
	s_cbranch_execnz .LBB82_5
; %bb.6:
	s_or_b64 exec, exec, s[14:15]
.LBB82_7:
	s_or_b64 exec, exec, s[4:5]
	s_cbranch_execz .LBB82_9
	s_branch .LBB82_14
.LBB82_8:
                                        ; implicit-def: $vgpr15
                                        ; implicit-def: $vgpr1
                                        ; implicit-def: $vgpr9
                                        ; implicit-def: $vgpr11
.LBB82_9:
	v_mov_b32_e32 v15, 0
	v_mov_b32_e32 v14, v15
	;; [unrolled: 1-line block ×8, first 2 shown]
	s_and_saveexec_b64 s[4:5], s[2:3]
	s_cbranch_execz .LBB82_13
; %bb.10:
	v_mov_b32_e32 v17, 0
	v_lshlrev_b32_e32 v16, 3, v12
	s_mov_b64 s[2:3], 0
	v_mov_b32_e32 v10, v17
	v_mov_b32_e32 v11, v17
	;; [unrolled: 1-line block ×8, first 2 shown]
.LBB82_11:                              ; =>This Inner Loop Header: Depth=1
	v_ashrrev_i32_e32 v13, 31, v12
	v_lshl_add_u64 v[18:19], v[12:13], 2, s[6:7]
	global_load_dword v13, v[18:19], off
	v_lshl_add_u64 v[18:19], v[16:17], 3, s[8:9]
	v_mov_b32_e32 v39, v17
	global_load_dwordx4 v[22:25], v[18:19], off
	global_load_dwordx4 v[26:29], v[18:19], off offset:16
	global_load_dwordx4 v[30:33], v[18:19], off offset:48
	;; [unrolled: 1-line block ×3, first 2 shown]
	v_add_u32_e32 v12, 32, v12
	v_cmp_ge_i32_e32 vcc, v12, v20
	v_add_u32_e32 v16, 0x100, v16
	s_or_b64 s[2:3], vcc, s[2:3]
	s_waitcnt vmcnt(4)
	v_subrev_u32_e32 v13, s12, v13
	v_lshlrev_b32_e32 v38, 1, v13
	v_lshl_add_u64 v[18:19], v[38:39], 3, s[10:11]
	global_load_dwordx4 v[38:41], v[18:19], off
	s_waitcnt vmcnt(4)
	v_xor_b32_e32 v18, 0x80000000, v25
	v_mov_b32_e32 v19, v24
	s_waitcnt vmcnt(3)
	v_xor_b32_e32 v42, 0x80000000, v29
	v_mov_b32_e32 v43, v28
	;; [unrolled: 3-line block ×3, first 2 shown]
	v_xor_b32_e32 v46, 0x80000000, v33
	v_mov_b32_e32 v47, v32
	s_waitcnt vmcnt(0)
	v_pk_fma_f32 v[14:15], v[22:23], v[38:39], v[14:15] op_sel_hi:[1,0,1]
	v_pk_fma_f32 v[10:11], v[26:27], v[38:39], v[10:11] op_sel_hi:[1,0,1]
	;; [unrolled: 1-line block ×4, first 2 shown]
	v_pk_fma_f32 v[14:15], v[22:23], v[38:39], v[14:15] op_sel:[1,1,0] op_sel_hi:[0,1,1] neg_lo:[1,0,0]
	v_pk_fma_f32 v[10:11], v[26:27], v[38:39], v[10:11] op_sel:[1,1,0] op_sel_hi:[0,1,1] neg_lo:[1,0,0]
	;; [unrolled: 1-line block ×4, first 2 shown]
	v_mov_b32_e32 v48, v41
	v_pk_fma_f32 v[14:15], v[24:25], v[40:41], v[14:15] op_sel_hi:[1,0,1]
	v_pk_fma_f32 v[10:11], v[28:29], v[40:41], v[10:11] op_sel_hi:[1,0,1]
	v_pk_fma_f32 v[8:9], v[36:37], v[40:41], v[8:9] op_sel_hi:[1,0,1]
	v_pk_fma_f32 v[0:1], v[32:33], v[40:41], v[0:1] op_sel_hi:[1,0,1]
	v_pk_fma_f32 v[14:15], v[18:19], v[48:49], v[14:15] op_sel_hi:[1,0,1]
	v_pk_fma_f32 v[10:11], v[42:43], v[48:49], v[10:11] op_sel_hi:[1,0,1]
	v_pk_fma_f32 v[8:9], v[44:45], v[48:49], v[8:9] op_sel_hi:[1,0,1]
	v_pk_fma_f32 v[0:1], v[46:47], v[48:49], v[0:1] op_sel_hi:[1,0,1]
	s_andn2_b64 exec, exec, s[2:3]
	s_cbranch_execnz .LBB82_11
; %bb.12:
	s_or_b64 exec, exec, s[2:3]
.LBB82_13:
	s_or_b64 exec, exec, s[4:5]
.LBB82_14:
	v_mov_b32_dpp v18, v8 row_shr:1 row_mask:0xf bank_mask:0xf
	v_add_f32_e32 v8, v8, v18
	v_mov_b32_dpp v12, v14 row_shr:1 row_mask:0xf bank_mask:0xf
	v_add_f32_e32 v12, v14, v12
	v_mov_b32_dpp v18, v8 row_shr:2 row_mask:0xf bank_mask:0xf
	v_add_f32_e32 v8, v8, v18
	v_mov_b32_dpp v14, v15 row_shr:1 row_mask:0xf bank_mask:0xf
	v_mov_b32_dpp v16, v10 row_shr:1 row_mask:0xf bank_mask:0xf
	;; [unrolled: 1-line block ×3, first 2 shown]
	v_add_f32_e32 v8, v8, v18
	v_mov_b32_dpp v17, v11 row_shr:1 row_mask:0xf bank_mask:0xf
	v_add_f32_e32 v14, v15, v14
	v_mov_b32_dpp v18, v8 row_shr:8 row_mask:0xf bank_mask:0xc
	v_add_f32_e32 v8, v8, v18
	v_add_f32_e32 v10, v10, v16
	v_mov_b32_dpp v18, v9 row_shr:1 row_mask:0xf bank_mask:0xf
	v_add_f32_e32 v9, v9, v18
	v_add_f32_e32 v11, v11, v17
	v_mov_b32_dpp v13, v12 row_shr:2 row_mask:0xf bank_mask:0xf
	v_mov_b32_dpp v18, v9 row_shr:2 row_mask:0xf bank_mask:0xf
	v_add_f32_e32 v9, v9, v18
	v_mov_b32_dpp v15, v14 row_shr:2 row_mask:0xf bank_mask:0xf
	v_mov_b32_dpp v16, v10 row_shr:2 row_mask:0xf bank_mask:0xf
	;; [unrolled: 1-line block ×3, first 2 shown]
	v_add_f32_e32 v9, v9, v18
	v_mov_b32_dpp v17, v11 row_shr:2 row_mask:0xf bank_mask:0xf
	v_add_f32_e32 v12, v12, v13
	v_mov_b32_dpp v18, v9 row_shr:8 row_mask:0xf bank_mask:0xc
	v_add_f32_e32 v9, v9, v18
	v_add_f32_e32 v14, v14, v15
	v_mov_b32_dpp v18, v0 row_shr:1 row_mask:0xf bank_mask:0xf
	v_add_f32_e32 v0, v0, v18
	v_add_f32_e32 v10, v10, v16
	;; [unrolled: 1-line block ×3, first 2 shown]
	v_mov_b32_dpp v18, v0 row_shr:2 row_mask:0xf bank_mask:0xf
	v_add_f32_e32 v0, v0, v18
	v_mov_b32_dpp v13, v12 row_shr:4 row_mask:0xf bank_mask:0xe
	v_mov_b32_dpp v15, v14 row_shr:4 row_mask:0xf bank_mask:0xe
	;; [unrolled: 1-line block ×3, first 2 shown]
	v_add_f32_e32 v0, v0, v18
	v_mov_b32_dpp v16, v10 row_shr:4 row_mask:0xf bank_mask:0xe
	v_mov_b32_dpp v17, v11 row_shr:4 row_mask:0xf bank_mask:0xe
	;; [unrolled: 1-line block ×3, first 2 shown]
	v_add_f32_e32 v0, v0, v18
	v_add_f32_e32 v12, v12, v13
	v_mov_b32_dpp v18, v1 row_shr:1 row_mask:0xf bank_mask:0xf
	v_add_f32_e32 v1, v1, v18
	v_add_f32_e32 v14, v14, v15
	;; [unrolled: 1-line block ×3, first 2 shown]
	v_mov_b32_dpp v18, v1 row_shr:2 row_mask:0xf bank_mask:0xf
	v_add_f32_e32 v1, v1, v18
	v_add_f32_e32 v11, v11, v17
	v_mov_b32_dpp v13, v12 row_shr:8 row_mask:0xf bank_mask:0xc
	v_mov_b32_dpp v18, v1 row_shr:4 row_mask:0xf bank_mask:0xe
	v_add_f32_e32 v1, v1, v18
	v_mov_b32_dpp v15, v14 row_shr:8 row_mask:0xf bank_mask:0xc
	v_mov_b32_dpp v16, v10 row_shr:8 row_mask:0xf bank_mask:0xc
	;; [unrolled: 1-line block ×4, first 2 shown]
	v_add_f32_e32 v12, v12, v13
	v_add_f32_e32 v14, v14, v15
	;; [unrolled: 1-line block ×5, first 2 shown]
	v_mov_b32_dpp v13, v12 row_bcast:15 row_mask:0xa bank_mask:0xf
	v_mov_b32_dpp v15, v14 row_bcast:15 row_mask:0xa bank_mask:0xf
	;; [unrolled: 1-line block ×8, first 2 shown]
	v_cmp_eq_u32_e32 vcc, 31, v7
	s_and_b64 exec, exec, vcc
	s_cbranch_execz .LBB82_19
; %bb.15:
	s_load_dwordx2 s[2:3], s[0:1], 0x38
	v_cmp_eq_f32_e32 vcc, 0, v4
	v_cmp_eq_f32_e64 s[0:1], 0, v5
	v_add_f32_e32 v12, v12, v13
	v_add_f32_e32 v20, v14, v15
	;; [unrolled: 1-line block ×8, first 2 shown]
	s_and_b64 s[0:1], vcc, s[0:1]
	s_and_saveexec_b64 s[4:5], s[0:1]
	s_xor_b64 s[0:1], exec, s[4:5]
	s_cbranch_execz .LBB82_17
; %bb.16:
	v_lshlrev_b32_e32 v4, 2, v6
	v_xor_b32_e32 v22, 0x80000000, v3
	v_ashrrev_i32_e32 v5, 31, v4
	v_mov_b32_e32 v23, v2
	s_waitcnt lgkmcnt(0)
	v_lshl_add_u64 v[24:25], v[4:5], 3, s[2:3]
	v_pk_mul_f32 v[4:5], v[20:21], v[22:23] op_sel_hi:[0,1]
	v_pk_mul_f32 v[6:7], v[18:19], v[22:23] op_sel_hi:[0,1]
	v_pk_fma_f32 v[4:5], v[2:3], v[12:13], v[4:5] op_sel_hi:[1,0,1]
	v_pk_fma_f32 v[6:7], v[2:3], v[10:11], v[6:7] op_sel_hi:[1,0,1]
	global_store_dwordx4 v[24:25], v[4:7], off
                                        ; implicit-def: $vgpr12
                                        ; implicit-def: $vgpr20
                                        ; implicit-def: $vgpr10
                                        ; implicit-def: $vgpr18
	s_nop 1
	v_pk_mul_f32 v[4:5], v[16:17], v[22:23] op_sel_hi:[0,1]
	v_pk_mul_f32 v[6:7], v[14:15], v[22:23] op_sel_hi:[0,1]
	v_pk_fma_f32 v[4:5], v[2:3], v[8:9], v[4:5] op_sel_hi:[1,0,1]
	v_pk_fma_f32 v[6:7], v[2:3], v[0:1], v[6:7] op_sel_hi:[1,0,1]
	global_store_dwordx4 v[24:25], v[4:7], off offset:16
                                        ; implicit-def: $vgpr6
                                        ; implicit-def: $vgpr8
                                        ; implicit-def: $vgpr16
                                        ; implicit-def: $vgpr0
                                        ; implicit-def: $vgpr14
                                        ; implicit-def: $vgpr2_vgpr3
                                        ; implicit-def: $vgpr4_vgpr5
.LBB82_17:
	s_andn2_saveexec_b64 s[0:1], s[0:1]
	s_cbranch_execz .LBB82_19
; %bb.18:
	v_lshlrev_b32_e32 v6, 2, v6
	v_ashrrev_i32_e32 v7, 31, v6
	s_waitcnt lgkmcnt(0)
	v_lshl_add_u64 v[30:31], v[6:7], 3, s[2:3]
	global_load_dwordx4 v[22:25], v[30:31], off
	global_load_dwordx4 v[26:29], v[30:31], off offset:16
	v_xor_b32_e32 v6, 0x80000000, v3
	v_mov_b32_e32 v7, v2
	v_pk_mul_f32 v[20:21], v[20:21], v[6:7] op_sel_hi:[0,1]
	v_pk_mul_f32 v[18:19], v[18:19], v[6:7] op_sel_hi:[0,1]
	;; [unrolled: 1-line block ×4, first 2 shown]
	v_pk_fma_f32 v[12:13], v[2:3], v[12:13], v[20:21] op_sel_hi:[1,0,1]
	v_pk_fma_f32 v[10:11], v[2:3], v[10:11], v[18:19] op_sel_hi:[1,0,1]
	v_xor_b32_e32 v32, 0x80000000, v5
	v_mov_b32_e32 v33, v4
	v_pk_fma_f32 v[8:9], v[2:3], v[8:9], v[16:17] op_sel_hi:[1,0,1]
	v_pk_fma_f32 v[0:1], v[2:3], v[0:1], v[6:7] op_sel_hi:[1,0,1]
	s_waitcnt vmcnt(1)
	v_pk_fma_f32 v[2:3], v[4:5], v[22:23], v[12:13] op_sel_hi:[1,0,1]
	v_pk_fma_f32 v[6:7], v[4:5], v[24:25], v[10:11] op_sel_hi:[1,0,1]
	v_mov_b32_e32 v10, v25
	s_waitcnt vmcnt(0)
	v_pk_fma_f32 v[8:9], v[4:5], v[26:27], v[8:9] op_sel_hi:[1,0,1]
	v_pk_fma_f32 v[12:13], v[4:5], v[28:29], v[0:1] op_sel_hi:[1,0,1]
	v_mov_b32_e32 v14, v29
	v_pk_fma_f32 v[0:1], v[32:33], v[22:23], v[2:3] op_sel:[0,1,0]
	v_pk_fma_f32 v[2:3], v[32:33], v[10:11], v[6:7] op_sel_hi:[1,0,1]
	v_pk_fma_f32 v[4:5], v[32:33], v[26:27], v[8:9] op_sel:[0,1,0]
	v_pk_fma_f32 v[6:7], v[32:33], v[14:15], v[12:13] op_sel_hi:[1,0,1]
	global_store_dwordx4 v[30:31], v[0:3], off
	global_store_dwordx4 v[30:31], v[4:7], off offset:16
.LBB82_19:
	s_endpgm
	.section	.rodata,"a",@progbits
	.p2align	6, 0x0
	.amdhsa_kernel _ZN9rocsparseL19gebsrmvn_4xn_kernelILj128ELj2ELj32E21rocsparse_complex_numIfEEEvi20rocsparse_direction_NS_24const_host_device_scalarIT2_EEPKiS8_PKS5_SA_S6_PS5_21rocsparse_index_base_b
		.amdhsa_group_segment_fixed_size 0
		.amdhsa_private_segment_fixed_size 0
		.amdhsa_kernarg_size 72
		.amdhsa_user_sgpr_count 2
		.amdhsa_user_sgpr_dispatch_ptr 0
		.amdhsa_user_sgpr_queue_ptr 0
		.amdhsa_user_sgpr_kernarg_segment_ptr 1
		.amdhsa_user_sgpr_dispatch_id 0
		.amdhsa_user_sgpr_kernarg_preload_length 0
		.amdhsa_user_sgpr_kernarg_preload_offset 0
		.amdhsa_user_sgpr_private_segment_size 0
		.amdhsa_uses_dynamic_stack 0
		.amdhsa_enable_private_segment 0
		.amdhsa_system_sgpr_workgroup_id_x 1
		.amdhsa_system_sgpr_workgroup_id_y 0
		.amdhsa_system_sgpr_workgroup_id_z 0
		.amdhsa_system_sgpr_workgroup_info 0
		.amdhsa_system_vgpr_workitem_id 0
		.amdhsa_next_free_vgpr 52
		.amdhsa_next_free_sgpr 16
		.amdhsa_accum_offset 52
		.amdhsa_reserve_vcc 1
		.amdhsa_float_round_mode_32 0
		.amdhsa_float_round_mode_16_64 0
		.amdhsa_float_denorm_mode_32 3
		.amdhsa_float_denorm_mode_16_64 3
		.amdhsa_dx10_clamp 1
		.amdhsa_ieee_mode 1
		.amdhsa_fp16_overflow 0
		.amdhsa_tg_split 0
		.amdhsa_exception_fp_ieee_invalid_op 0
		.amdhsa_exception_fp_denorm_src 0
		.amdhsa_exception_fp_ieee_div_zero 0
		.amdhsa_exception_fp_ieee_overflow 0
		.amdhsa_exception_fp_ieee_underflow 0
		.amdhsa_exception_fp_ieee_inexact 0
		.amdhsa_exception_int_div_zero 0
	.end_amdhsa_kernel
	.section	.text._ZN9rocsparseL19gebsrmvn_4xn_kernelILj128ELj2ELj32E21rocsparse_complex_numIfEEEvi20rocsparse_direction_NS_24const_host_device_scalarIT2_EEPKiS8_PKS5_SA_S6_PS5_21rocsparse_index_base_b,"axG",@progbits,_ZN9rocsparseL19gebsrmvn_4xn_kernelILj128ELj2ELj32E21rocsparse_complex_numIfEEEvi20rocsparse_direction_NS_24const_host_device_scalarIT2_EEPKiS8_PKS5_SA_S6_PS5_21rocsparse_index_base_b,comdat
.Lfunc_end82:
	.size	_ZN9rocsparseL19gebsrmvn_4xn_kernelILj128ELj2ELj32E21rocsparse_complex_numIfEEEvi20rocsparse_direction_NS_24const_host_device_scalarIT2_EEPKiS8_PKS5_SA_S6_PS5_21rocsparse_index_base_b, .Lfunc_end82-_ZN9rocsparseL19gebsrmvn_4xn_kernelILj128ELj2ELj32E21rocsparse_complex_numIfEEEvi20rocsparse_direction_NS_24const_host_device_scalarIT2_EEPKiS8_PKS5_SA_S6_PS5_21rocsparse_index_base_b
                                        ; -- End function
	.set _ZN9rocsparseL19gebsrmvn_4xn_kernelILj128ELj2ELj32E21rocsparse_complex_numIfEEEvi20rocsparse_direction_NS_24const_host_device_scalarIT2_EEPKiS8_PKS5_SA_S6_PS5_21rocsparse_index_base_b.num_vgpr, 52
	.set _ZN9rocsparseL19gebsrmvn_4xn_kernelILj128ELj2ELj32E21rocsparse_complex_numIfEEEvi20rocsparse_direction_NS_24const_host_device_scalarIT2_EEPKiS8_PKS5_SA_S6_PS5_21rocsparse_index_base_b.num_agpr, 0
	.set _ZN9rocsparseL19gebsrmvn_4xn_kernelILj128ELj2ELj32E21rocsparse_complex_numIfEEEvi20rocsparse_direction_NS_24const_host_device_scalarIT2_EEPKiS8_PKS5_SA_S6_PS5_21rocsparse_index_base_b.numbered_sgpr, 16
	.set _ZN9rocsparseL19gebsrmvn_4xn_kernelILj128ELj2ELj32E21rocsparse_complex_numIfEEEvi20rocsparse_direction_NS_24const_host_device_scalarIT2_EEPKiS8_PKS5_SA_S6_PS5_21rocsparse_index_base_b.num_named_barrier, 0
	.set _ZN9rocsparseL19gebsrmvn_4xn_kernelILj128ELj2ELj32E21rocsparse_complex_numIfEEEvi20rocsparse_direction_NS_24const_host_device_scalarIT2_EEPKiS8_PKS5_SA_S6_PS5_21rocsparse_index_base_b.private_seg_size, 0
	.set _ZN9rocsparseL19gebsrmvn_4xn_kernelILj128ELj2ELj32E21rocsparse_complex_numIfEEEvi20rocsparse_direction_NS_24const_host_device_scalarIT2_EEPKiS8_PKS5_SA_S6_PS5_21rocsparse_index_base_b.uses_vcc, 1
	.set _ZN9rocsparseL19gebsrmvn_4xn_kernelILj128ELj2ELj32E21rocsparse_complex_numIfEEEvi20rocsparse_direction_NS_24const_host_device_scalarIT2_EEPKiS8_PKS5_SA_S6_PS5_21rocsparse_index_base_b.uses_flat_scratch, 0
	.set _ZN9rocsparseL19gebsrmvn_4xn_kernelILj128ELj2ELj32E21rocsparse_complex_numIfEEEvi20rocsparse_direction_NS_24const_host_device_scalarIT2_EEPKiS8_PKS5_SA_S6_PS5_21rocsparse_index_base_b.has_dyn_sized_stack, 0
	.set _ZN9rocsparseL19gebsrmvn_4xn_kernelILj128ELj2ELj32E21rocsparse_complex_numIfEEEvi20rocsparse_direction_NS_24const_host_device_scalarIT2_EEPKiS8_PKS5_SA_S6_PS5_21rocsparse_index_base_b.has_recursion, 0
	.set _ZN9rocsparseL19gebsrmvn_4xn_kernelILj128ELj2ELj32E21rocsparse_complex_numIfEEEvi20rocsparse_direction_NS_24const_host_device_scalarIT2_EEPKiS8_PKS5_SA_S6_PS5_21rocsparse_index_base_b.has_indirect_call, 0
	.section	.AMDGPU.csdata,"",@progbits
; Kernel info:
; codeLenInByte = 1964
; TotalNumSgprs: 22
; NumVgprs: 52
; NumAgprs: 0
; TotalNumVgprs: 52
; ScratchSize: 0
; MemoryBound: 0
; FloatMode: 240
; IeeeMode: 1
; LDSByteSize: 0 bytes/workgroup (compile time only)
; SGPRBlocks: 2
; VGPRBlocks: 6
; NumSGPRsForWavesPerEU: 22
; NumVGPRsForWavesPerEU: 52
; AccumOffset: 52
; Occupancy: 8
; WaveLimiterHint : 1
; COMPUTE_PGM_RSRC2:SCRATCH_EN: 0
; COMPUTE_PGM_RSRC2:USER_SGPR: 2
; COMPUTE_PGM_RSRC2:TRAP_HANDLER: 0
; COMPUTE_PGM_RSRC2:TGID_X_EN: 1
; COMPUTE_PGM_RSRC2:TGID_Y_EN: 0
; COMPUTE_PGM_RSRC2:TGID_Z_EN: 0
; COMPUTE_PGM_RSRC2:TIDIG_COMP_CNT: 0
; COMPUTE_PGM_RSRC3_GFX90A:ACCUM_OFFSET: 12
; COMPUTE_PGM_RSRC3_GFX90A:TG_SPLIT: 0
	.section	.text._ZN9rocsparseL19gebsrmvn_4xn_kernelILj128ELj2ELj64E21rocsparse_complex_numIfEEEvi20rocsparse_direction_NS_24const_host_device_scalarIT2_EEPKiS8_PKS5_SA_S6_PS5_21rocsparse_index_base_b,"axG",@progbits,_ZN9rocsparseL19gebsrmvn_4xn_kernelILj128ELj2ELj64E21rocsparse_complex_numIfEEEvi20rocsparse_direction_NS_24const_host_device_scalarIT2_EEPKiS8_PKS5_SA_S6_PS5_21rocsparse_index_base_b,comdat
	.globl	_ZN9rocsparseL19gebsrmvn_4xn_kernelILj128ELj2ELj64E21rocsparse_complex_numIfEEEvi20rocsparse_direction_NS_24const_host_device_scalarIT2_EEPKiS8_PKS5_SA_S6_PS5_21rocsparse_index_base_b ; -- Begin function _ZN9rocsparseL19gebsrmvn_4xn_kernelILj128ELj2ELj64E21rocsparse_complex_numIfEEEvi20rocsparse_direction_NS_24const_host_device_scalarIT2_EEPKiS8_PKS5_SA_S6_PS5_21rocsparse_index_base_b
	.p2align	8
	.type	_ZN9rocsparseL19gebsrmvn_4xn_kernelILj128ELj2ELj64E21rocsparse_complex_numIfEEEvi20rocsparse_direction_NS_24const_host_device_scalarIT2_EEPKiS8_PKS5_SA_S6_PS5_21rocsparse_index_base_b,@function
_ZN9rocsparseL19gebsrmvn_4xn_kernelILj128ELj2ELj64E21rocsparse_complex_numIfEEEvi20rocsparse_direction_NS_24const_host_device_scalarIT2_EEPKiS8_PKS5_SA_S6_PS5_21rocsparse_index_base_b: ; @_ZN9rocsparseL19gebsrmvn_4xn_kernelILj128ELj2ELj64E21rocsparse_complex_numIfEEEvi20rocsparse_direction_NS_24const_host_device_scalarIT2_EEPKiS8_PKS5_SA_S6_PS5_21rocsparse_index_base_b
; %bb.0:
	s_load_dwordx2 s[4:5], s[0:1], 0x8
	s_load_dwordx2 s[6:7], s[0:1], 0x30
	s_load_dwordx2 s[12:13], s[0:1], 0x40
	s_add_u32 s3, s0, 8
	s_addc_u32 s8, s1, 0
	s_add_u32 s9, s0, 48
	s_addc_u32 s10, s1, 0
	s_waitcnt lgkmcnt(0)
	s_bitcmp1_b32 s13, 0
	s_cselect_b32 s3, s3, s4
	s_cselect_b32 s5, s8, s5
	v_mov_b32_e32 v2, s3
	s_cselect_b32 s3, s10, s7
	s_cselect_b32 s4, s9, s6
	v_mov_b32_e32 v3, s5
	v_mov_b32_e32 v4, s4
	;; [unrolled: 1-line block ×3, first 2 shown]
	flat_load_dwordx2 v[2:3], v[2:3]
	s_waitcnt vmcnt(0) lgkmcnt(0)
	v_cmp_eq_f32_e32 vcc, 0, v2
	flat_load_dwordx2 v[4:5], v[4:5]
	v_cmp_eq_f32_e64 s[4:5], 0, v3
	s_and_b64 s[4:5], vcc, s[4:5]
	s_waitcnt vmcnt(0) lgkmcnt(0)
	v_cmp_eq_f32_e64 s[6:7], 1.0, v4
	v_cmp_eq_f32_e64 s[8:9], 0, v5
	s_and_b64 s[6:7], s[6:7], s[8:9]
	s_and_b64 s[4:5], s[4:5], s[6:7]
	s_xor_b64 s[4:5], s[4:5], -1
	s_and_saveexec_b64 s[6:7], s[4:5]
	s_cbranch_execz .LBB83_19
; %bb.1:
	s_load_dwordx2 s[14:15], s[0:1], 0x0
	v_lshrrev_b32_e32 v1, 6, v0
	v_lshl_or_b32 v6, s2, 1, v1
	s_waitcnt lgkmcnt(0)
	v_cmp_gt_i32_e32 vcc, s14, v6
	s_and_b64 exec, exec, vcc
	s_cbranch_execz .LBB83_19
; %bb.2:
	s_load_dwordx8 s[4:11], s[0:1], 0x10
	v_ashrrev_i32_e32 v7, 31, v6
	s_cmp_lg_u32 s15, 0
	s_waitcnt lgkmcnt(0)
	v_lshl_add_u64 v[8:9], v[6:7], 2, s[4:5]
	global_load_dwordx2 v[8:9], v[8:9], off
	v_and_b32_e32 v7, 63, v0
	s_waitcnt vmcnt(0)
	v_subrev_u32_e32 v0, s12, v8
	v_subrev_u32_e32 v20, s12, v9
	v_add_u32_e32 v12, v0, v7
	v_cmp_lt_i32_e64 s[2:3], v12, v20
	s_cbranch_scc0 .LBB83_8
; %bb.3:
	v_mov_b32_e32 v15, 0
	v_mov_b32_e32 v14, v15
	;; [unrolled: 1-line block ×8, first 2 shown]
	s_and_saveexec_b64 s[4:5], s[2:3]
	s_cbranch_execz .LBB83_7
; %bb.4:
	v_mov_b32_e32 v17, 0
	v_lshlrev_b32_e32 v16, 3, v12
	s_mov_b64 s[14:15], 0
	v_mov_b32_e32 v18, v12
	v_mov_b32_e32 v10, v17
	;; [unrolled: 1-line block ×9, first 2 shown]
.LBB83_5:                               ; =>This Inner Loop Header: Depth=1
	v_ashrrev_i32_e32 v19, 31, v18
	v_lshl_add_u64 v[22:23], v[18:19], 2, s[6:7]
	global_load_dword v13, v[22:23], off
	v_mov_b32_e32 v35, v17
	v_lshl_add_u64 v[42:43], v[16:17], 3, s[8:9]
	global_load_dwordx4 v[22:25], v[42:43], off offset:16
	global_load_dwordx4 v[26:29], v[42:43], off
	global_load_dwordx4 v[30:33], v[42:43], off offset:32
	v_add_u32_e32 v18, 64, v18
	v_cmp_ge_i32_e32 vcc, v18, v20
	v_add_u32_e32 v16, 0x200, v16
	s_or_b64 s[14:15], vcc, s[14:15]
	s_waitcnt vmcnt(3)
	v_subrev_u32_e32 v13, s12, v13
	v_lshlrev_b32_e32 v34, 1, v13
	v_lshl_add_u64 v[44:45], v[34:35], 3, s[10:11]
	global_load_dwordx4 v[34:37], v[44:45], off
	global_load_dwordx4 v[38:41], v[42:43], off offset:48
	s_waitcnt vmcnt(3)
	v_xor_b32_e32 v42, 0x80000000, v29
	v_mov_b32_e32 v43, v28
	v_xor_b32_e32 v46, 0x80000000, v25
	v_mov_b32_e32 v47, v24
	s_waitcnt vmcnt(2)
	v_xor_b32_e32 v44, 0x80000000, v33
	v_mov_b32_e32 v45, v32
	s_waitcnt vmcnt(1)
	v_pk_fma_f32 v[14:15], v[26:27], v[34:35], v[14:15] op_sel_hi:[1,0,1]
	v_pk_fma_f32 v[10:11], v[28:29], v[34:35], v[10:11] op_sel_hi:[1,0,1]
	;; [unrolled: 1-line block ×4, first 2 shown]
	v_pk_fma_f32 v[14:15], v[26:27], v[34:35], v[14:15] op_sel:[1,1,0] op_sel_hi:[0,1,1] neg_lo:[1,0,0]
	v_pk_fma_f32 v[10:11], v[42:43], v[34:35], v[10:11] op_sel:[0,1,0]
	v_pk_fma_f32 v[8:9], v[22:23], v[34:35], v[8:9] op_sel:[1,1,0] op_sel_hi:[0,1,1] neg_lo:[1,0,0]
	v_pk_fma_f32 v[0:1], v[46:47], v[34:35], v[0:1] op_sel:[0,1,0]
	s_waitcnt vmcnt(0)
	v_xor_b32_e32 v48, 0x80000000, v41
	v_mov_b32_e32 v49, v40
	v_mov_b32_e32 v50, v37
	v_pk_fma_f32 v[14:15], v[30:31], v[36:37], v[14:15] op_sel_hi:[1,0,1]
	v_pk_fma_f32 v[10:11], v[32:33], v[36:37], v[10:11] op_sel_hi:[1,0,1]
	;; [unrolled: 1-line block ×4, first 2 shown]
	v_pk_fma_f32 v[14:15], v[30:31], v[50:51], v[14:15] op_sel:[1,0,0] op_sel_hi:[0,0,1] neg_lo:[1,0,0]
	v_pk_fma_f32 v[10:11], v[44:45], v[50:51], v[10:11] op_sel_hi:[1,0,1]
	v_pk_fma_f32 v[8:9], v[38:39], v[50:51], v[8:9] op_sel:[1,0,0] op_sel_hi:[0,0,1] neg_lo:[1,0,0]
	v_pk_fma_f32 v[0:1], v[48:49], v[50:51], v[0:1] op_sel_hi:[1,0,1]
	s_andn2_b64 exec, exec, s[14:15]
	s_cbranch_execnz .LBB83_5
; %bb.6:
	s_or_b64 exec, exec, s[14:15]
.LBB83_7:
	s_or_b64 exec, exec, s[4:5]
	s_cbranch_execz .LBB83_9
	s_branch .LBB83_14
.LBB83_8:
                                        ; implicit-def: $vgpr15
                                        ; implicit-def: $vgpr1
                                        ; implicit-def: $vgpr9
                                        ; implicit-def: $vgpr11
.LBB83_9:
	v_mov_b32_e32 v15, 0
	v_mov_b32_e32 v14, v15
	;; [unrolled: 1-line block ×8, first 2 shown]
	s_and_saveexec_b64 s[4:5], s[2:3]
	s_cbranch_execz .LBB83_13
; %bb.10:
	v_mov_b32_e32 v17, 0
	v_lshlrev_b32_e32 v16, 3, v12
	s_mov_b64 s[2:3], 0
	v_mov_b32_e32 v10, v17
	v_mov_b32_e32 v11, v17
	;; [unrolled: 1-line block ×8, first 2 shown]
.LBB83_11:                              ; =>This Inner Loop Header: Depth=1
	v_ashrrev_i32_e32 v13, 31, v12
	v_lshl_add_u64 v[18:19], v[12:13], 2, s[6:7]
	global_load_dword v13, v[18:19], off
	v_lshl_add_u64 v[18:19], v[16:17], 3, s[8:9]
	v_mov_b32_e32 v39, v17
	global_load_dwordx4 v[22:25], v[18:19], off
	global_load_dwordx4 v[26:29], v[18:19], off offset:16
	global_load_dwordx4 v[30:33], v[18:19], off offset:48
	;; [unrolled: 1-line block ×3, first 2 shown]
	v_add_u32_e32 v12, 64, v12
	v_cmp_ge_i32_e32 vcc, v12, v20
	v_add_u32_e32 v16, 0x200, v16
	s_or_b64 s[2:3], vcc, s[2:3]
	s_waitcnt vmcnt(4)
	v_subrev_u32_e32 v13, s12, v13
	v_lshlrev_b32_e32 v38, 1, v13
	v_lshl_add_u64 v[18:19], v[38:39], 3, s[10:11]
	global_load_dwordx4 v[38:41], v[18:19], off
	s_waitcnt vmcnt(4)
	v_xor_b32_e32 v18, 0x80000000, v25
	v_mov_b32_e32 v19, v24
	s_waitcnt vmcnt(3)
	v_xor_b32_e32 v42, 0x80000000, v29
	v_mov_b32_e32 v43, v28
	;; [unrolled: 3-line block ×3, first 2 shown]
	v_xor_b32_e32 v46, 0x80000000, v33
	v_mov_b32_e32 v47, v32
	s_waitcnt vmcnt(0)
	v_pk_fma_f32 v[14:15], v[22:23], v[38:39], v[14:15] op_sel_hi:[1,0,1]
	v_pk_fma_f32 v[10:11], v[26:27], v[38:39], v[10:11] op_sel_hi:[1,0,1]
	;; [unrolled: 1-line block ×4, first 2 shown]
	v_pk_fma_f32 v[14:15], v[22:23], v[38:39], v[14:15] op_sel:[1,1,0] op_sel_hi:[0,1,1] neg_lo:[1,0,0]
	v_pk_fma_f32 v[10:11], v[26:27], v[38:39], v[10:11] op_sel:[1,1,0] op_sel_hi:[0,1,1] neg_lo:[1,0,0]
	;; [unrolled: 1-line block ×4, first 2 shown]
	v_mov_b32_e32 v48, v41
	v_pk_fma_f32 v[14:15], v[24:25], v[40:41], v[14:15] op_sel_hi:[1,0,1]
	v_pk_fma_f32 v[10:11], v[28:29], v[40:41], v[10:11] op_sel_hi:[1,0,1]
	;; [unrolled: 1-line block ×8, first 2 shown]
	s_andn2_b64 exec, exec, s[2:3]
	s_cbranch_execnz .LBB83_11
; %bb.12:
	s_or_b64 exec, exec, s[2:3]
.LBB83_13:
	s_or_b64 exec, exec, s[4:5]
.LBB83_14:
	v_mov_b32_dpp v18, v8 row_shr:1 row_mask:0xf bank_mask:0xf
	v_add_f32_e32 v8, v8, v18
	v_mov_b32_dpp v12, v14 row_shr:1 row_mask:0xf bank_mask:0xf
	v_add_f32_e32 v12, v14, v12
	;; [unrolled: 2-line block ×3, first 2 shown]
	v_mov_b32_dpp v14, v15 row_shr:1 row_mask:0xf bank_mask:0xf
	v_mov_b32_dpp v16, v10 row_shr:1 row_mask:0xf bank_mask:0xf
	;; [unrolled: 1-line block ×3, first 2 shown]
	v_add_f32_e32 v8, v8, v18
	v_mov_b32_dpp v17, v11 row_shr:1 row_mask:0xf bank_mask:0xf
	v_add_f32_e32 v14, v15, v14
	v_mov_b32_dpp v18, v8 row_shr:8 row_mask:0xf bank_mask:0xc
	v_add_f32_e32 v8, v8, v18
	v_add_f32_e32 v10, v10, v16
	;; [unrolled: 1-line block ×3, first 2 shown]
	v_mov_b32_dpp v18, v8 row_bcast:15 row_mask:0xa bank_mask:0xf
	v_add_f32_e32 v8, v8, v18
	v_mov_b32_dpp v13, v12 row_shr:2 row_mask:0xf bank_mask:0xf
	v_mov_b32_dpp v18, v9 row_shr:1 row_mask:0xf bank_mask:0xf
	v_add_f32_e32 v9, v9, v18
	v_mov_b32_dpp v15, v14 row_shr:2 row_mask:0xf bank_mask:0xf
	v_mov_b32_dpp v16, v10 row_shr:2 row_mask:0xf bank_mask:0xf
	;; [unrolled: 1-line block ×3, first 2 shown]
	v_add_f32_e32 v9, v9, v18
	v_mov_b32_dpp v17, v11 row_shr:2 row_mask:0xf bank_mask:0xf
	v_add_f32_e32 v12, v12, v13
	v_mov_b32_dpp v18, v9 row_shr:4 row_mask:0xf bank_mask:0xe
	v_add_f32_e32 v9, v9, v18
	v_add_f32_e32 v14, v14, v15
	;; [unrolled: 1-line block ×3, first 2 shown]
	v_mov_b32_dpp v18, v9 row_shr:8 row_mask:0xf bank_mask:0xc
	v_add_f32_e32 v9, v9, v18
	v_add_f32_e32 v11, v11, v17
	v_mov_b32_dpp v13, v12 row_shr:4 row_mask:0xf bank_mask:0xe
	v_mov_b32_dpp v18, v9 row_bcast:15 row_mask:0xa bank_mask:0xf
	v_add_f32_e32 v9, v9, v18
	v_mov_b32_dpp v15, v14 row_shr:4 row_mask:0xf bank_mask:0xe
	v_mov_b32_dpp v18, v0 row_shr:1 row_mask:0xf bank_mask:0xf
	v_add_f32_e32 v0, v0, v18
	v_mov_b32_dpp v16, v10 row_shr:4 row_mask:0xf bank_mask:0xe
	v_mov_b32_dpp v17, v11 row_shr:4 row_mask:0xf bank_mask:0xe
	;; [unrolled: 1-line block ×3, first 2 shown]
	v_add_f32_e32 v0, v0, v18
	v_add_f32_e32 v12, v12, v13
	;; [unrolled: 1-line block ×3, first 2 shown]
	v_mov_b32_dpp v18, v0 row_shr:4 row_mask:0xf bank_mask:0xe
	v_add_f32_e32 v0, v0, v18
	v_add_f32_e32 v10, v10, v16
	;; [unrolled: 1-line block ×3, first 2 shown]
	v_mov_b32_dpp v18, v0 row_shr:8 row_mask:0xf bank_mask:0xc
	v_add_f32_e32 v0, v0, v18
	v_mov_b32_dpp v13, v12 row_shr:8 row_mask:0xf bank_mask:0xc
	v_mov_b32_dpp v15, v14 row_shr:8 row_mask:0xf bank_mask:0xc
	v_mov_b32_dpp v18, v0 row_bcast:15 row_mask:0xa bank_mask:0xf
	v_add_f32_e32 v0, v0, v18
	v_mov_b32_dpp v16, v10 row_shr:8 row_mask:0xf bank_mask:0xc
	v_mov_b32_dpp v18, v1 row_shr:1 row_mask:0xf bank_mask:0xf
	v_add_f32_e32 v1, v1, v18
	v_mov_b32_dpp v17, v11 row_shr:8 row_mask:0xf bank_mask:0xc
	v_add_f32_e32 v12, v12, v13
	;; [unrolled: 2-line block ×3, first 2 shown]
	v_add_f32_e32 v14, v14, v15
	v_add_f32_e32 v10, v10, v16
	v_mov_b32_dpp v18, v1 row_shr:4 row_mask:0xf bank_mask:0xe
	v_add_f32_e32 v1, v1, v18
	v_add_f32_e32 v11, v11, v17
	v_mov_b32_dpp v13, v12 row_bcast:15 row_mask:0xa bank_mask:0xf
	v_mov_b32_dpp v18, v1 row_shr:8 row_mask:0xf bank_mask:0xc
	v_add_f32_e32 v1, v1, v18
	v_mov_b32_dpp v15, v14 row_bcast:15 row_mask:0xa bank_mask:0xf
	v_mov_b32_dpp v16, v10 row_bcast:15 row_mask:0xa bank_mask:0xf
	;; [unrolled: 1-line block ×4, first 2 shown]
	v_add_f32_e32 v12, v12, v13
	v_add_f32_e32 v14, v14, v15
	;; [unrolled: 1-line block ×5, first 2 shown]
	v_mov_b32_dpp v13, v12 row_bcast:31 row_mask:0xc bank_mask:0xf
	v_mov_b32_dpp v15, v14 row_bcast:31 row_mask:0xc bank_mask:0xf
	;; [unrolled: 1-line block ×8, first 2 shown]
	v_cmp_eq_u32_e32 vcc, 63, v7
	s_and_b64 exec, exec, vcc
	s_cbranch_execz .LBB83_19
; %bb.15:
	s_load_dwordx2 s[2:3], s[0:1], 0x38
	v_cmp_eq_f32_e32 vcc, 0, v4
	v_cmp_eq_f32_e64 s[0:1], 0, v5
	v_add_f32_e32 v12, v12, v13
	v_add_f32_e32 v20, v14, v15
	;; [unrolled: 1-line block ×8, first 2 shown]
	s_and_b64 s[0:1], vcc, s[0:1]
	s_and_saveexec_b64 s[4:5], s[0:1]
	s_xor_b64 s[0:1], exec, s[4:5]
	s_cbranch_execz .LBB83_17
; %bb.16:
	v_lshlrev_b32_e32 v4, 2, v6
	v_xor_b32_e32 v22, 0x80000000, v3
	v_ashrrev_i32_e32 v5, 31, v4
	v_mov_b32_e32 v23, v2
	s_waitcnt lgkmcnt(0)
	v_lshl_add_u64 v[24:25], v[4:5], 3, s[2:3]
	v_pk_mul_f32 v[4:5], v[20:21], v[22:23] op_sel_hi:[0,1]
	v_pk_mul_f32 v[6:7], v[18:19], v[22:23] op_sel_hi:[0,1]
	v_pk_fma_f32 v[4:5], v[2:3], v[12:13], v[4:5] op_sel_hi:[1,0,1]
	v_pk_fma_f32 v[6:7], v[2:3], v[10:11], v[6:7] op_sel_hi:[1,0,1]
	global_store_dwordx4 v[24:25], v[4:7], off
                                        ; implicit-def: $vgpr12
                                        ; implicit-def: $vgpr20
                                        ; implicit-def: $vgpr10
                                        ; implicit-def: $vgpr18
	s_nop 1
	v_pk_mul_f32 v[4:5], v[16:17], v[22:23] op_sel_hi:[0,1]
	v_pk_mul_f32 v[6:7], v[14:15], v[22:23] op_sel_hi:[0,1]
	v_pk_fma_f32 v[4:5], v[2:3], v[8:9], v[4:5] op_sel_hi:[1,0,1]
	v_pk_fma_f32 v[6:7], v[2:3], v[0:1], v[6:7] op_sel_hi:[1,0,1]
	global_store_dwordx4 v[24:25], v[4:7], off offset:16
                                        ; implicit-def: $vgpr6
                                        ; implicit-def: $vgpr8
                                        ; implicit-def: $vgpr16
                                        ; implicit-def: $vgpr0
                                        ; implicit-def: $vgpr14
                                        ; implicit-def: $vgpr2_vgpr3
                                        ; implicit-def: $vgpr4_vgpr5
.LBB83_17:
	s_andn2_saveexec_b64 s[0:1], s[0:1]
	s_cbranch_execz .LBB83_19
; %bb.18:
	v_lshlrev_b32_e32 v6, 2, v6
	v_ashrrev_i32_e32 v7, 31, v6
	s_waitcnt lgkmcnt(0)
	v_lshl_add_u64 v[30:31], v[6:7], 3, s[2:3]
	global_load_dwordx4 v[22:25], v[30:31], off
	global_load_dwordx4 v[26:29], v[30:31], off offset:16
	v_xor_b32_e32 v6, 0x80000000, v3
	v_mov_b32_e32 v7, v2
	v_pk_mul_f32 v[20:21], v[20:21], v[6:7] op_sel_hi:[0,1]
	v_pk_mul_f32 v[18:19], v[18:19], v[6:7] op_sel_hi:[0,1]
	;; [unrolled: 1-line block ×4, first 2 shown]
	v_pk_fma_f32 v[12:13], v[2:3], v[12:13], v[20:21] op_sel_hi:[1,0,1]
	v_pk_fma_f32 v[10:11], v[2:3], v[10:11], v[18:19] op_sel_hi:[1,0,1]
	v_xor_b32_e32 v32, 0x80000000, v5
	v_mov_b32_e32 v33, v4
	v_pk_fma_f32 v[8:9], v[2:3], v[8:9], v[16:17] op_sel_hi:[1,0,1]
	v_pk_fma_f32 v[0:1], v[2:3], v[0:1], v[6:7] op_sel_hi:[1,0,1]
	s_waitcnt vmcnt(1)
	v_pk_fma_f32 v[2:3], v[4:5], v[22:23], v[12:13] op_sel_hi:[1,0,1]
	v_pk_fma_f32 v[6:7], v[4:5], v[24:25], v[10:11] op_sel_hi:[1,0,1]
	v_mov_b32_e32 v10, v25
	s_waitcnt vmcnt(0)
	v_pk_fma_f32 v[8:9], v[4:5], v[26:27], v[8:9] op_sel_hi:[1,0,1]
	v_pk_fma_f32 v[12:13], v[4:5], v[28:29], v[0:1] op_sel_hi:[1,0,1]
	v_mov_b32_e32 v14, v29
	v_pk_fma_f32 v[0:1], v[32:33], v[22:23], v[2:3] op_sel:[0,1,0]
	v_pk_fma_f32 v[2:3], v[32:33], v[10:11], v[6:7] op_sel_hi:[1,0,1]
	v_pk_fma_f32 v[4:5], v[32:33], v[26:27], v[8:9] op_sel:[0,1,0]
	v_pk_fma_f32 v[6:7], v[32:33], v[14:15], v[12:13] op_sel_hi:[1,0,1]
	global_store_dwordx4 v[30:31], v[0:3], off
	global_store_dwordx4 v[30:31], v[4:7], off offset:16
.LBB83_19:
	s_endpgm
	.section	.rodata,"a",@progbits
	.p2align	6, 0x0
	.amdhsa_kernel _ZN9rocsparseL19gebsrmvn_4xn_kernelILj128ELj2ELj64E21rocsparse_complex_numIfEEEvi20rocsparse_direction_NS_24const_host_device_scalarIT2_EEPKiS8_PKS5_SA_S6_PS5_21rocsparse_index_base_b
		.amdhsa_group_segment_fixed_size 0
		.amdhsa_private_segment_fixed_size 0
		.amdhsa_kernarg_size 72
		.amdhsa_user_sgpr_count 2
		.amdhsa_user_sgpr_dispatch_ptr 0
		.amdhsa_user_sgpr_queue_ptr 0
		.amdhsa_user_sgpr_kernarg_segment_ptr 1
		.amdhsa_user_sgpr_dispatch_id 0
		.amdhsa_user_sgpr_kernarg_preload_length 0
		.amdhsa_user_sgpr_kernarg_preload_offset 0
		.amdhsa_user_sgpr_private_segment_size 0
		.amdhsa_uses_dynamic_stack 0
		.amdhsa_enable_private_segment 0
		.amdhsa_system_sgpr_workgroup_id_x 1
		.amdhsa_system_sgpr_workgroup_id_y 0
		.amdhsa_system_sgpr_workgroup_id_z 0
		.amdhsa_system_sgpr_workgroup_info 0
		.amdhsa_system_vgpr_workitem_id 0
		.amdhsa_next_free_vgpr 52
		.amdhsa_next_free_sgpr 16
		.amdhsa_accum_offset 52
		.amdhsa_reserve_vcc 1
		.amdhsa_float_round_mode_32 0
		.amdhsa_float_round_mode_16_64 0
		.amdhsa_float_denorm_mode_32 3
		.amdhsa_float_denorm_mode_16_64 3
		.amdhsa_dx10_clamp 1
		.amdhsa_ieee_mode 1
		.amdhsa_fp16_overflow 0
		.amdhsa_tg_split 0
		.amdhsa_exception_fp_ieee_invalid_op 0
		.amdhsa_exception_fp_denorm_src 0
		.amdhsa_exception_fp_ieee_div_zero 0
		.amdhsa_exception_fp_ieee_overflow 0
		.amdhsa_exception_fp_ieee_underflow 0
		.amdhsa_exception_fp_ieee_inexact 0
		.amdhsa_exception_int_div_zero 0
	.end_amdhsa_kernel
	.section	.text._ZN9rocsparseL19gebsrmvn_4xn_kernelILj128ELj2ELj64E21rocsparse_complex_numIfEEEvi20rocsparse_direction_NS_24const_host_device_scalarIT2_EEPKiS8_PKS5_SA_S6_PS5_21rocsparse_index_base_b,"axG",@progbits,_ZN9rocsparseL19gebsrmvn_4xn_kernelILj128ELj2ELj64E21rocsparse_complex_numIfEEEvi20rocsparse_direction_NS_24const_host_device_scalarIT2_EEPKiS8_PKS5_SA_S6_PS5_21rocsparse_index_base_b,comdat
.Lfunc_end83:
	.size	_ZN9rocsparseL19gebsrmvn_4xn_kernelILj128ELj2ELj64E21rocsparse_complex_numIfEEEvi20rocsparse_direction_NS_24const_host_device_scalarIT2_EEPKiS8_PKS5_SA_S6_PS5_21rocsparse_index_base_b, .Lfunc_end83-_ZN9rocsparseL19gebsrmvn_4xn_kernelILj128ELj2ELj64E21rocsparse_complex_numIfEEEvi20rocsparse_direction_NS_24const_host_device_scalarIT2_EEPKiS8_PKS5_SA_S6_PS5_21rocsparse_index_base_b
                                        ; -- End function
	.set _ZN9rocsparseL19gebsrmvn_4xn_kernelILj128ELj2ELj64E21rocsparse_complex_numIfEEEvi20rocsparse_direction_NS_24const_host_device_scalarIT2_EEPKiS8_PKS5_SA_S6_PS5_21rocsparse_index_base_b.num_vgpr, 52
	.set _ZN9rocsparseL19gebsrmvn_4xn_kernelILj128ELj2ELj64E21rocsparse_complex_numIfEEEvi20rocsparse_direction_NS_24const_host_device_scalarIT2_EEPKiS8_PKS5_SA_S6_PS5_21rocsparse_index_base_b.num_agpr, 0
	.set _ZN9rocsparseL19gebsrmvn_4xn_kernelILj128ELj2ELj64E21rocsparse_complex_numIfEEEvi20rocsparse_direction_NS_24const_host_device_scalarIT2_EEPKiS8_PKS5_SA_S6_PS5_21rocsparse_index_base_b.numbered_sgpr, 16
	.set _ZN9rocsparseL19gebsrmvn_4xn_kernelILj128ELj2ELj64E21rocsparse_complex_numIfEEEvi20rocsparse_direction_NS_24const_host_device_scalarIT2_EEPKiS8_PKS5_SA_S6_PS5_21rocsparse_index_base_b.num_named_barrier, 0
	.set _ZN9rocsparseL19gebsrmvn_4xn_kernelILj128ELj2ELj64E21rocsparse_complex_numIfEEEvi20rocsparse_direction_NS_24const_host_device_scalarIT2_EEPKiS8_PKS5_SA_S6_PS5_21rocsparse_index_base_b.private_seg_size, 0
	.set _ZN9rocsparseL19gebsrmvn_4xn_kernelILj128ELj2ELj64E21rocsparse_complex_numIfEEEvi20rocsparse_direction_NS_24const_host_device_scalarIT2_EEPKiS8_PKS5_SA_S6_PS5_21rocsparse_index_base_b.uses_vcc, 1
	.set _ZN9rocsparseL19gebsrmvn_4xn_kernelILj128ELj2ELj64E21rocsparse_complex_numIfEEEvi20rocsparse_direction_NS_24const_host_device_scalarIT2_EEPKiS8_PKS5_SA_S6_PS5_21rocsparse_index_base_b.uses_flat_scratch, 0
	.set _ZN9rocsparseL19gebsrmvn_4xn_kernelILj128ELj2ELj64E21rocsparse_complex_numIfEEEvi20rocsparse_direction_NS_24const_host_device_scalarIT2_EEPKiS8_PKS5_SA_S6_PS5_21rocsparse_index_base_b.has_dyn_sized_stack, 0
	.set _ZN9rocsparseL19gebsrmvn_4xn_kernelILj128ELj2ELj64E21rocsparse_complex_numIfEEEvi20rocsparse_direction_NS_24const_host_device_scalarIT2_EEPKiS8_PKS5_SA_S6_PS5_21rocsparse_index_base_b.has_recursion, 0
	.set _ZN9rocsparseL19gebsrmvn_4xn_kernelILj128ELj2ELj64E21rocsparse_complex_numIfEEEvi20rocsparse_direction_NS_24const_host_device_scalarIT2_EEPKiS8_PKS5_SA_S6_PS5_21rocsparse_index_base_b.has_indirect_call, 0
	.section	.AMDGPU.csdata,"",@progbits
; Kernel info:
; codeLenInByte = 2060
; TotalNumSgprs: 22
; NumVgprs: 52
; NumAgprs: 0
; TotalNumVgprs: 52
; ScratchSize: 0
; MemoryBound: 0
; FloatMode: 240
; IeeeMode: 1
; LDSByteSize: 0 bytes/workgroup (compile time only)
; SGPRBlocks: 2
; VGPRBlocks: 6
; NumSGPRsForWavesPerEU: 22
; NumVGPRsForWavesPerEU: 52
; AccumOffset: 52
; Occupancy: 8
; WaveLimiterHint : 1
; COMPUTE_PGM_RSRC2:SCRATCH_EN: 0
; COMPUTE_PGM_RSRC2:USER_SGPR: 2
; COMPUTE_PGM_RSRC2:TRAP_HANDLER: 0
; COMPUTE_PGM_RSRC2:TGID_X_EN: 1
; COMPUTE_PGM_RSRC2:TGID_Y_EN: 0
; COMPUTE_PGM_RSRC2:TGID_Z_EN: 0
; COMPUTE_PGM_RSRC2:TIDIG_COMP_CNT: 0
; COMPUTE_PGM_RSRC3_GFX90A:ACCUM_OFFSET: 12
; COMPUTE_PGM_RSRC3_GFX90A:TG_SPLIT: 0
	.section	.text._ZN9rocsparseL19gebsrmvn_4xn_kernelILj128ELj3ELj4E21rocsparse_complex_numIfEEEvi20rocsparse_direction_NS_24const_host_device_scalarIT2_EEPKiS8_PKS5_SA_S6_PS5_21rocsparse_index_base_b,"axG",@progbits,_ZN9rocsparseL19gebsrmvn_4xn_kernelILj128ELj3ELj4E21rocsparse_complex_numIfEEEvi20rocsparse_direction_NS_24const_host_device_scalarIT2_EEPKiS8_PKS5_SA_S6_PS5_21rocsparse_index_base_b,comdat
	.globl	_ZN9rocsparseL19gebsrmvn_4xn_kernelILj128ELj3ELj4E21rocsparse_complex_numIfEEEvi20rocsparse_direction_NS_24const_host_device_scalarIT2_EEPKiS8_PKS5_SA_S6_PS5_21rocsparse_index_base_b ; -- Begin function _ZN9rocsparseL19gebsrmvn_4xn_kernelILj128ELj3ELj4E21rocsparse_complex_numIfEEEvi20rocsparse_direction_NS_24const_host_device_scalarIT2_EEPKiS8_PKS5_SA_S6_PS5_21rocsparse_index_base_b
	.p2align	8
	.type	_ZN9rocsparseL19gebsrmvn_4xn_kernelILj128ELj3ELj4E21rocsparse_complex_numIfEEEvi20rocsparse_direction_NS_24const_host_device_scalarIT2_EEPKiS8_PKS5_SA_S6_PS5_21rocsparse_index_base_b,@function
_ZN9rocsparseL19gebsrmvn_4xn_kernelILj128ELj3ELj4E21rocsparse_complex_numIfEEEvi20rocsparse_direction_NS_24const_host_device_scalarIT2_EEPKiS8_PKS5_SA_S6_PS5_21rocsparse_index_base_b: ; @_ZN9rocsparseL19gebsrmvn_4xn_kernelILj128ELj3ELj4E21rocsparse_complex_numIfEEEvi20rocsparse_direction_NS_24const_host_device_scalarIT2_EEPKiS8_PKS5_SA_S6_PS5_21rocsparse_index_base_b
; %bb.0:
	s_load_dwordx2 s[4:5], s[0:1], 0x8
	s_load_dwordx2 s[6:7], s[0:1], 0x30
	;; [unrolled: 1-line block ×3, first 2 shown]
	s_add_u32 s3, s0, 8
	s_addc_u32 s8, s1, 0
	s_add_u32 s9, s0, 48
	s_addc_u32 s10, s1, 0
	s_waitcnt lgkmcnt(0)
	s_bitcmp1_b32 s13, 0
	s_cselect_b32 s3, s3, s4
	s_cselect_b32 s5, s8, s5
	v_mov_b32_e32 v2, s3
	s_cselect_b32 s3, s10, s7
	s_cselect_b32 s4, s9, s6
	v_mov_b32_e32 v3, s5
	v_mov_b32_e32 v4, s4
	;; [unrolled: 1-line block ×3, first 2 shown]
	flat_load_dwordx2 v[2:3], v[2:3]
	s_waitcnt vmcnt(0) lgkmcnt(0)
	v_cmp_eq_f32_e32 vcc, 0, v2
	flat_load_dwordx2 v[4:5], v[4:5]
	v_cmp_eq_f32_e64 s[4:5], 0, v3
	s_and_b64 s[4:5], vcc, s[4:5]
	s_waitcnt vmcnt(0) lgkmcnt(0)
	v_cmp_eq_f32_e64 s[6:7], 1.0, v4
	v_cmp_eq_f32_e64 s[8:9], 0, v5
	s_and_b64 s[6:7], s[6:7], s[8:9]
	s_and_b64 s[4:5], s[4:5], s[6:7]
	s_xor_b64 s[4:5], s[4:5], -1
	s_and_saveexec_b64 s[6:7], s[4:5]
	s_cbranch_execz .LBB84_19
; %bb.1:
	s_load_dwordx2 s[14:15], s[0:1], 0x0
	v_lshrrev_b32_e32 v1, 2, v0
	v_lshl_or_b32 v6, s2, 5, v1
	s_waitcnt lgkmcnt(0)
	v_cmp_gt_i32_e32 vcc, s14, v6
	s_and_b64 exec, exec, vcc
	s_cbranch_execz .LBB84_19
; %bb.2:
	s_load_dwordx8 s[4:11], s[0:1], 0x10
	v_ashrrev_i32_e32 v7, 31, v6
	s_cmp_lg_u32 s15, 0
	s_waitcnt lgkmcnt(0)
	v_lshl_add_u64 v[8:9], v[6:7], 2, s[4:5]
	global_load_dwordx2 v[8:9], v[8:9], off
	v_and_b32_e32 v7, 3, v0
	s_waitcnt vmcnt(0)
	v_subrev_u32_e32 v0, s12, v8
	v_subrev_u32_e32 v20, s12, v9
	v_add_u32_e32 v0, v0, v7
	v_cmp_lt_i32_e64 s[2:3], v0, v20
	s_cbranch_scc0 .LBB84_8
; %bb.3:
	v_mov_b32_e32 v11, 0
	v_mov_b32_e32 v10, v11
	;; [unrolled: 1-line block ×8, first 2 shown]
	s_and_saveexec_b64 s[4:5], s[2:3]
	s_cbranch_execz .LBB84_7
; %bb.4:
	v_mov_b32_e32 v17, 0
	v_mul_lo_u32 v16, v0, 12
	s_mov_b64 s[14:15], 0
	v_mov_b32_e32 v18, v0
	v_mov_b32_e32 v14, v17
	v_mov_b32_e32 v15, v17
	v_mov_b32_e32 v12, v17
	v_mov_b32_e32 v13, v17
	v_mov_b32_e32 v8, v17
	v_mov_b32_e32 v9, v17
	v_mov_b32_e32 v10, v17
	v_mov_b32_e32 v11, v17
.LBB84_5:                               ; =>This Inner Loop Header: Depth=1
	v_ashrrev_i32_e32 v19, 31, v18
	v_lshl_add_u64 v[22:23], v[18:19], 2, s[6:7]
	global_load_dword v1, v[22:23], off
	v_add_u32_e32 v32, 4, v16
	v_mov_b32_e32 v33, v17
	v_lshl_add_u64 v[30:31], v[16:17], 3, s[8:9]
	v_mov_b32_e32 v47, v17
	v_add_u32_e32 v34, 8, v16
	v_mov_b32_e32 v35, v17
	v_lshl_add_u64 v[52:53], v[32:33], 3, s[8:9]
	global_load_dwordx4 v[22:25], v[30:31], off offset:16
	global_load_dwordx4 v[26:29], v[30:31], off
	v_lshl_add_u64 v[54:55], v[34:35], 3, s[8:9]
	global_load_dwordx4 v[30:33], v[52:53], off offset:16
	global_load_dwordx4 v[34:37], v[52:53], off
	global_load_dwordx4 v[38:41], v[54:55], off offset:16
	global_load_dwordx4 v[42:45], v[54:55], off
	v_mov_b32_e32 v49, v17
	v_mov_b32_e32 v51, v17
	v_add_u32_e32 v18, 4, v18
	v_cmp_ge_i32_e32 vcc, v18, v20
	v_add_u32_e32 v16, 48, v16
	s_or_b64 s[14:15], vcc, s[14:15]
	s_waitcnt vmcnt(6)
	v_subrev_u32_e32 v1, s12, v1
	v_lshl_add_u32 v46, v1, 1, v1
	v_lshl_add_u64 v[52:53], v[46:47], 3, s[10:11]
	v_add_u32_e32 v48, 1, v46
	v_add_u32_e32 v50, 2, v46
	global_load_dwordx2 v[46:47], v[52:53], off
	v_lshl_add_u64 v[48:49], v[48:49], 3, s[10:11]
	v_lshl_add_u64 v[50:51], v[50:51], 3, s[10:11]
	global_load_dwordx2 v[52:53], v[48:49], off
	global_load_dwordx2 v[54:55], v[50:51], off
	s_waitcnt vmcnt(7)
	v_xor_b32_e32 v48, 0x80000000, v29
	v_mov_b32_e32 v49, v28
	v_xor_b32_e32 v50, 0x80000000, v25
	v_mov_b32_e32 v51, v24
	s_waitcnt vmcnt(5)
	v_xor_b32_e32 v56, 0x80000000, v37
	v_mov_b32_e32 v57, v36
	v_xor_b32_e32 v60, 0x80000000, v33
	v_mov_b32_e32 v61, v32
	;; [unrolled: 5-line block ×3, first 2 shown]
	s_waitcnt vmcnt(2)
	v_pk_fma_f32 v[10:11], v[26:27], v[46:47], v[10:11] op_sel_hi:[1,0,1]
	v_pk_fma_f32 v[14:15], v[28:29], v[46:47], v[14:15] op_sel_hi:[1,0,1]
	v_pk_fma_f32 v[12:13], v[22:23], v[46:47], v[12:13] op_sel_hi:[1,0,1]
	v_pk_fma_f32 v[8:9], v[24:25], v[46:47], v[8:9] op_sel_hi:[1,0,1]
	v_pk_fma_f32 v[10:11], v[26:27], v[46:47], v[10:11] op_sel:[1,1,0] op_sel_hi:[0,1,1] neg_lo:[1,0,0]
	v_pk_fma_f32 v[14:15], v[48:49], v[46:47], v[14:15] op_sel:[0,1,0]
	v_pk_fma_f32 v[12:13], v[22:23], v[46:47], v[12:13] op_sel:[1,1,0] op_sel_hi:[0,1,1] neg_lo:[1,0,0]
	v_pk_fma_f32 v[8:9], v[50:51], v[46:47], v[8:9] op_sel:[0,1,0]
	s_waitcnt vmcnt(1)
	v_pk_fma_f32 v[10:11], v[34:35], v[52:53], v[10:11] op_sel_hi:[1,0,1]
	v_pk_fma_f32 v[14:15], v[36:37], v[52:53], v[14:15] op_sel_hi:[1,0,1]
	v_pk_fma_f32 v[12:13], v[30:31], v[52:53], v[12:13] op_sel_hi:[1,0,1]
	v_pk_fma_f32 v[8:9], v[32:33], v[52:53], v[8:9] op_sel_hi:[1,0,1]
	v_pk_fma_f32 v[10:11], v[34:35], v[52:53], v[10:11] op_sel:[1,1,0] op_sel_hi:[0,1,1] neg_lo:[1,0,0]
	v_pk_fma_f32 v[14:15], v[56:57], v[52:53], v[14:15] op_sel:[0,1,0]
	v_pk_fma_f32 v[12:13], v[30:31], v[52:53], v[12:13] op_sel:[1,1,0] op_sel_hi:[0,1,1] neg_lo:[1,0,0]
	v_pk_fma_f32 v[8:9], v[60:61], v[52:53], v[8:9] op_sel:[0,1,0]
	;; [unrolled: 9-line block ×3, first 2 shown]
	s_andn2_b64 exec, exec, s[14:15]
	s_cbranch_execnz .LBB84_5
; %bb.6:
	s_or_b64 exec, exec, s[14:15]
.LBB84_7:
	s_or_b64 exec, exec, s[4:5]
	s_cbranch_execz .LBB84_9
	s_branch .LBB84_14
.LBB84_8:
                                        ; implicit-def: $vgpr11
                                        ; implicit-def: $vgpr9
                                        ; implicit-def: $vgpr13
                                        ; implicit-def: $vgpr15
.LBB84_9:
	v_mov_b32_e32 v11, 0
	v_mov_b32_e32 v10, v11
	;; [unrolled: 1-line block ×8, first 2 shown]
	s_and_saveexec_b64 s[4:5], s[2:3]
	s_cbranch_execz .LBB84_13
; %bb.10:
	v_mad_u64_u32 v[16:17], s[2:3], v0, 12, 11
	v_mov_b32_e32 v19, 0
	s_mov_b64 s[2:3], 0
	v_mov_b32_e32 v14, v19
	v_mov_b32_e32 v15, v19
	;; [unrolled: 1-line block ×8, first 2 shown]
.LBB84_11:                              ; =>This Inner Loop Header: Depth=1
	v_ashrrev_i32_e32 v1, 31, v0
	v_lshl_add_u64 v[22:23], v[0:1], 2, s[6:7]
	global_load_dword v1, v[22:23], off
	v_add_u32_e32 v18, -11, v16
	v_add_u32_e32 v22, -5, v16
	v_mov_b32_e32 v23, v19
	v_add_u32_e32 v24, -2, v16
	v_mov_b32_e32 v31, v19
	v_mov_b32_e32 v25, v19
	v_lshl_add_u64 v[32:33], v[18:19], 3, s[8:9]
	v_lshl_add_u64 v[34:35], v[22:23], 3, s[8:9]
	;; [unrolled: 1-line block ×3, first 2 shown]
	global_load_dwordx4 v[22:25], v[32:33], off
	global_load_dwordx4 v[26:29], v[32:33], off offset:16
	global_load_dwordx2 v[40:41], v[34:35], off
	global_load_dwordx2 v[42:43], v[36:37], off
	v_mov_b32_e32 v17, v19
	v_lshl_add_u64 v[38:39], v[16:17], 3, s[8:9]
	v_add_u32_e32 v0, 4, v0
	v_cmp_ge_i32_e32 vcc, v0, v20
	s_or_b64 s[2:3], vcc, s[2:3]
	s_waitcnt vmcnt(4)
	v_subrev_u32_e32 v1, s12, v1
	v_lshl_add_u32 v30, v1, 1, v1
	v_add_u32_e32 v18, 1, v30
	v_lshl_add_u64 v[32:33], v[30:31], 3, s[10:11]
	v_lshl_add_u64 v[34:35], v[18:19], 3, s[10:11]
	v_add_u32_e32 v18, -7, v16
	global_load_dwordx2 v[32:33], v[32:33], off
	v_lshl_add_u64 v[36:37], v[18:19], 3, s[8:9]
	v_add_u32_e32 v18, -4, v16
	v_lshl_add_u64 v[44:45], v[18:19], 3, s[8:9]
	v_add_u32_e32 v18, -1, v16
	global_load_dwordx2 v[34:35], v[34:35], off
	v_lshl_add_u64 v[46:47], v[18:19], 3, s[8:9]
	global_load_dwordx2 v[36:37], v[36:37], off
	v_add_u32_e32 v18, 2, v30
	global_load_dwordx2 v[44:45], v[44:45], off
	s_waitcnt vmcnt(5)
	v_xor_b32_e32 v56, 0x80000000, v41
	global_load_dwordx2 v[30:31], v[46:47], off
	v_lshl_add_u64 v[46:47], v[18:19], 3, s[10:11]
	v_add_u32_e32 v18, -6, v16
	v_lshl_add_u64 v[48:49], v[18:19], 3, s[8:9]
	v_add_u32_e32 v18, -3, v16
	global_load_dwordx2 v[46:47], v[46:47], off
	v_lshl_add_u64 v[50:51], v[18:19], 3, s[8:9]
	global_load_dwordx2 v[48:49], v[48:49], off
	s_nop 0
	global_load_dwordx2 v[52:53], v[50:51], off
	global_load_dwordx2 v[54:55], v[38:39], off
	v_xor_b32_e32 v50, 0x80000000, v29
	v_mov_b32_e32 v51, v28
	v_mov_b32_e32 v57, v40
	s_waitcnt vmcnt(9)
	v_xor_b32_e32 v58, 0x80000000, v43
	v_mov_b32_e32 v59, v42
	v_xor_b32_e32 v38, 0x80000000, v25
	v_mov_b32_e32 v39, v24
	v_add_u32_e32 v16, 48, v16
	s_waitcnt vmcnt(8)
	v_pk_fma_f32 v[14:15], v[28:29], v[32:33], v[14:15] op_sel_hi:[1,0,1]
	v_pk_fma_f32 v[10:11], v[22:23], v[32:33], v[10:11] op_sel_hi:[1,0,1]
	;; [unrolled: 1-line block ×3, first 2 shown]
	v_pk_fma_f32 v[14:15], v[50:51], v[32:33], v[14:15] op_sel:[0,1,0]
	v_pk_fma_f32 v[8:9], v[42:43], v[32:33], v[8:9] op_sel_hi:[1,0,1]
	v_pk_fma_f32 v[10:11], v[22:23], v[32:33], v[10:11] op_sel:[1,1,0] op_sel_hi:[0,1,1] neg_lo:[1,0,0]
	v_pk_fma_f32 v[12:13], v[56:57], v[32:33], v[12:13] op_sel:[0,1,0]
	s_waitcnt vmcnt(6)
	v_xor_b32_e32 v22, 0x80000000, v37
	v_pk_fma_f32 v[14:15], v[36:37], v[34:35], v[14:15] op_sel_hi:[1,0,1]
	v_mov_b32_e32 v23, v36
	v_pk_fma_f32 v[8:9], v[58:59], v[32:33], v[8:9] op_sel:[0,1,0]
	v_pk_fma_f32 v[14:15], v[22:23], v[34:35], v[14:15] op_sel:[0,1,0]
	s_waitcnt vmcnt(5)
	v_xor_b32_e32 v22, 0x80000000, v45
	v_pk_fma_f32 v[12:13], v[44:45], v[34:35], v[12:13] op_sel_hi:[1,0,1]
	v_mov_b32_e32 v23, v44
	v_pk_fma_f32 v[10:11], v[24:25], v[34:35], v[10:11] op_sel_hi:[1,0,1]
	v_pk_fma_f32 v[12:13], v[22:23], v[34:35], v[12:13] op_sel:[0,1,0]
	s_waitcnt vmcnt(4)
	v_xor_b32_e32 v22, 0x80000000, v31
	v_pk_fma_f32 v[8:9], v[30:31], v[34:35], v[8:9] op_sel_hi:[1,0,1]
	v_mov_b32_e32 v23, v30
	v_pk_fma_f32 v[10:11], v[38:39], v[34:35], v[10:11] op_sel:[0,1,0]
	v_pk_fma_f32 v[8:9], v[22:23], v[34:35], v[8:9] op_sel:[0,1,0]
	s_waitcnt vmcnt(2)
	v_xor_b32_e32 v22, 0x80000000, v49
	v_pk_fma_f32 v[14:15], v[48:49], v[46:47], v[14:15] op_sel_hi:[1,0,1]
	v_mov_b32_e32 v23, v48
	v_pk_fma_f32 v[10:11], v[26:27], v[46:47], v[10:11] op_sel_hi:[1,0,1]
	v_pk_fma_f32 v[14:15], v[22:23], v[46:47], v[14:15] op_sel:[0,1,0]
	s_waitcnt vmcnt(1)
	v_xor_b32_e32 v22, 0x80000000, v53
	v_pk_fma_f32 v[12:13], v[52:53], v[46:47], v[12:13] op_sel_hi:[1,0,1]
	v_mov_b32_e32 v23, v52
	s_waitcnt vmcnt(0)
	v_xor_b32_e32 v24, 0x80000000, v55
	v_pk_fma_f32 v[8:9], v[54:55], v[46:47], v[8:9] op_sel_hi:[1,0,1]
	v_mov_b32_e32 v25, v54
	v_pk_fma_f32 v[10:11], v[26:27], v[46:47], v[10:11] op_sel:[1,1,0] op_sel_hi:[0,1,1] neg_lo:[1,0,0]
	v_pk_fma_f32 v[12:13], v[22:23], v[46:47], v[12:13] op_sel:[0,1,0]
	v_pk_fma_f32 v[8:9], v[24:25], v[46:47], v[8:9] op_sel:[0,1,0]
	s_andn2_b64 exec, exec, s[2:3]
	s_cbranch_execnz .LBB84_11
; %bb.12:
	s_or_b64 exec, exec, s[2:3]
.LBB84_13:
	s_or_b64 exec, exec, s[4:5]
.LBB84_14:
	v_mov_b32_dpp v18, v12 row_shr:1 row_mask:0xf bank_mask:0xf
	v_add_f32_e32 v19, v12, v18
	v_mov_b32_dpp v12, v13 row_shr:1 row_mask:0xf bank_mask:0xf
	v_mov_b32_dpp v0, v10 row_shr:1 row_mask:0xf bank_mask:0xf
	v_add_f32_e32 v13, v13, v12
	v_mov_b32_dpp v12, v8 row_shr:1 row_mask:0xf bank_mask:0xf
	v_add_f32_e32 v0, v10, v0
	v_mov_b32_dpp v10, v11 row_shr:1 row_mask:0xf bank_mask:0xf
	v_mov_b32_dpp v16, v14 row_shr:1 row_mask:0xf bank_mask:0xf
	;; [unrolled: 1-line block ×3, first 2 shown]
	v_add_f32_e32 v23, v8, v12
	v_mov_b32_dpp v8, v9 row_shr:1 row_mask:0xf bank_mask:0xf
	v_add_f32_e32 v10, v11, v10
	v_add_f32_e32 v14, v14, v16
	;; [unrolled: 1-line block ×4, first 2 shown]
	v_mov_b32_dpp v1, v0 row_shr:2 row_mask:0xf bank_mask:0xf
	v_mov_b32_dpp v11, v10 row_shr:2 row_mask:0xf bank_mask:0xf
	;; [unrolled: 1-line block ×8, first 2 shown]
	v_cmp_eq_u32_e32 vcc, 3, v7
	s_and_b64 exec, exec, vcc
	s_cbranch_execz .LBB84_19
; %bb.15:
	s_load_dwordx2 s[2:3], s[0:1], 0x38
	v_cmp_eq_f32_e32 vcc, 0, v4
	v_cmp_eq_f32_e64 s[0:1], 0, v5
	v_add_f32_e32 v12, v0, v1
	v_add_f32_e32 v20, v10, v11
	;; [unrolled: 1-line block ×8, first 2 shown]
	s_and_b64 s[0:1], vcc, s[0:1]
	s_and_saveexec_b64 s[4:5], s[0:1]
	s_xor_b64 s[0:1], exec, s[4:5]
	s_cbranch_execz .LBB84_17
; %bb.16:
	v_lshlrev_b32_e32 v4, 2, v6
	v_xor_b32_e32 v22, 0x80000000, v3
	v_ashrrev_i32_e32 v5, 31, v4
	v_mov_b32_e32 v23, v2
	s_waitcnt lgkmcnt(0)
	v_lshl_add_u64 v[24:25], v[4:5], 3, s[2:3]
	v_pk_mul_f32 v[4:5], v[20:21], v[22:23] op_sel_hi:[0,1]
	v_pk_mul_f32 v[6:7], v[18:19], v[22:23] op_sel_hi:[0,1]
	v_pk_fma_f32 v[4:5], v[2:3], v[12:13], v[4:5] op_sel_hi:[1,0,1]
	v_pk_fma_f32 v[6:7], v[2:3], v[10:11], v[6:7] op_sel_hi:[1,0,1]
	global_store_dwordx4 v[24:25], v[4:7], off
                                        ; implicit-def: $vgpr12
                                        ; implicit-def: $vgpr20
                                        ; implicit-def: $vgpr10
                                        ; implicit-def: $vgpr18
	s_nop 1
	v_pk_mul_f32 v[4:5], v[16:17], v[22:23] op_sel_hi:[0,1]
	v_pk_mul_f32 v[6:7], v[14:15], v[22:23] op_sel_hi:[0,1]
	v_pk_fma_f32 v[4:5], v[2:3], v[8:9], v[4:5] op_sel_hi:[1,0,1]
	v_pk_fma_f32 v[6:7], v[2:3], v[0:1], v[6:7] op_sel_hi:[1,0,1]
	global_store_dwordx4 v[24:25], v[4:7], off offset:16
                                        ; implicit-def: $vgpr6
                                        ; implicit-def: $vgpr8
                                        ; implicit-def: $vgpr16
                                        ; implicit-def: $vgpr0
                                        ; implicit-def: $vgpr14
                                        ; implicit-def: $vgpr2_vgpr3
                                        ; implicit-def: $vgpr4_vgpr5
.LBB84_17:
	s_andn2_saveexec_b64 s[0:1], s[0:1]
	s_cbranch_execz .LBB84_19
; %bb.18:
	v_lshlrev_b32_e32 v6, 2, v6
	v_ashrrev_i32_e32 v7, 31, v6
	s_waitcnt lgkmcnt(0)
	v_lshl_add_u64 v[30:31], v[6:7], 3, s[2:3]
	global_load_dwordx4 v[22:25], v[30:31], off
	global_load_dwordx4 v[26:29], v[30:31], off offset:16
	v_xor_b32_e32 v6, 0x80000000, v3
	v_mov_b32_e32 v7, v2
	v_pk_mul_f32 v[20:21], v[20:21], v[6:7] op_sel_hi:[0,1]
	v_pk_mul_f32 v[18:19], v[18:19], v[6:7] op_sel_hi:[0,1]
	;; [unrolled: 1-line block ×4, first 2 shown]
	v_pk_fma_f32 v[12:13], v[2:3], v[12:13], v[20:21] op_sel_hi:[1,0,1]
	v_pk_fma_f32 v[10:11], v[2:3], v[10:11], v[18:19] op_sel_hi:[1,0,1]
	v_xor_b32_e32 v32, 0x80000000, v5
	v_mov_b32_e32 v33, v4
	v_pk_fma_f32 v[8:9], v[2:3], v[8:9], v[16:17] op_sel_hi:[1,0,1]
	v_pk_fma_f32 v[0:1], v[2:3], v[0:1], v[6:7] op_sel_hi:[1,0,1]
	s_waitcnt vmcnt(1)
	v_pk_fma_f32 v[2:3], v[4:5], v[22:23], v[12:13] op_sel_hi:[1,0,1]
	v_pk_fma_f32 v[6:7], v[4:5], v[24:25], v[10:11] op_sel_hi:[1,0,1]
	v_mov_b32_e32 v10, v25
	s_waitcnt vmcnt(0)
	v_pk_fma_f32 v[8:9], v[4:5], v[26:27], v[8:9] op_sel_hi:[1,0,1]
	v_pk_fma_f32 v[12:13], v[4:5], v[28:29], v[0:1] op_sel_hi:[1,0,1]
	v_mov_b32_e32 v14, v29
	v_pk_fma_f32 v[0:1], v[32:33], v[22:23], v[2:3] op_sel:[0,1,0]
	v_pk_fma_f32 v[2:3], v[32:33], v[10:11], v[6:7] op_sel_hi:[1,0,1]
	v_pk_fma_f32 v[4:5], v[32:33], v[26:27], v[8:9] op_sel:[0,1,0]
	v_pk_fma_f32 v[6:7], v[32:33], v[14:15], v[12:13] op_sel_hi:[1,0,1]
	global_store_dwordx4 v[30:31], v[0:3], off
	global_store_dwordx4 v[30:31], v[4:7], off offset:16
.LBB84_19:
	s_endpgm
	.section	.rodata,"a",@progbits
	.p2align	6, 0x0
	.amdhsa_kernel _ZN9rocsparseL19gebsrmvn_4xn_kernelILj128ELj3ELj4E21rocsparse_complex_numIfEEEvi20rocsparse_direction_NS_24const_host_device_scalarIT2_EEPKiS8_PKS5_SA_S6_PS5_21rocsparse_index_base_b
		.amdhsa_group_segment_fixed_size 0
		.amdhsa_private_segment_fixed_size 0
		.amdhsa_kernarg_size 72
		.amdhsa_user_sgpr_count 2
		.amdhsa_user_sgpr_dispatch_ptr 0
		.amdhsa_user_sgpr_queue_ptr 0
		.amdhsa_user_sgpr_kernarg_segment_ptr 1
		.amdhsa_user_sgpr_dispatch_id 0
		.amdhsa_user_sgpr_kernarg_preload_length 0
		.amdhsa_user_sgpr_kernarg_preload_offset 0
		.amdhsa_user_sgpr_private_segment_size 0
		.amdhsa_uses_dynamic_stack 0
		.amdhsa_enable_private_segment 0
		.amdhsa_system_sgpr_workgroup_id_x 1
		.amdhsa_system_sgpr_workgroup_id_y 0
		.amdhsa_system_sgpr_workgroup_id_z 0
		.amdhsa_system_sgpr_workgroup_info 0
		.amdhsa_system_vgpr_workitem_id 0
		.amdhsa_next_free_vgpr 64
		.amdhsa_next_free_sgpr 16
		.amdhsa_accum_offset 64
		.amdhsa_reserve_vcc 1
		.amdhsa_float_round_mode_32 0
		.amdhsa_float_round_mode_16_64 0
		.amdhsa_float_denorm_mode_32 3
		.amdhsa_float_denorm_mode_16_64 3
		.amdhsa_dx10_clamp 1
		.amdhsa_ieee_mode 1
		.amdhsa_fp16_overflow 0
		.amdhsa_tg_split 0
		.amdhsa_exception_fp_ieee_invalid_op 0
		.amdhsa_exception_fp_denorm_src 0
		.amdhsa_exception_fp_ieee_div_zero 0
		.amdhsa_exception_fp_ieee_overflow 0
		.amdhsa_exception_fp_ieee_underflow 0
		.amdhsa_exception_fp_ieee_inexact 0
		.amdhsa_exception_int_div_zero 0
	.end_amdhsa_kernel
	.section	.text._ZN9rocsparseL19gebsrmvn_4xn_kernelILj128ELj3ELj4E21rocsparse_complex_numIfEEEvi20rocsparse_direction_NS_24const_host_device_scalarIT2_EEPKiS8_PKS5_SA_S6_PS5_21rocsparse_index_base_b,"axG",@progbits,_ZN9rocsparseL19gebsrmvn_4xn_kernelILj128ELj3ELj4E21rocsparse_complex_numIfEEEvi20rocsparse_direction_NS_24const_host_device_scalarIT2_EEPKiS8_PKS5_SA_S6_PS5_21rocsparse_index_base_b,comdat
.Lfunc_end84:
	.size	_ZN9rocsparseL19gebsrmvn_4xn_kernelILj128ELj3ELj4E21rocsparse_complex_numIfEEEvi20rocsparse_direction_NS_24const_host_device_scalarIT2_EEPKiS8_PKS5_SA_S6_PS5_21rocsparse_index_base_b, .Lfunc_end84-_ZN9rocsparseL19gebsrmvn_4xn_kernelILj128ELj3ELj4E21rocsparse_complex_numIfEEEvi20rocsparse_direction_NS_24const_host_device_scalarIT2_EEPKiS8_PKS5_SA_S6_PS5_21rocsparse_index_base_b
                                        ; -- End function
	.set _ZN9rocsparseL19gebsrmvn_4xn_kernelILj128ELj3ELj4E21rocsparse_complex_numIfEEEvi20rocsparse_direction_NS_24const_host_device_scalarIT2_EEPKiS8_PKS5_SA_S6_PS5_21rocsparse_index_base_b.num_vgpr, 64
	.set _ZN9rocsparseL19gebsrmvn_4xn_kernelILj128ELj3ELj4E21rocsparse_complex_numIfEEEvi20rocsparse_direction_NS_24const_host_device_scalarIT2_EEPKiS8_PKS5_SA_S6_PS5_21rocsparse_index_base_b.num_agpr, 0
	.set _ZN9rocsparseL19gebsrmvn_4xn_kernelILj128ELj3ELj4E21rocsparse_complex_numIfEEEvi20rocsparse_direction_NS_24const_host_device_scalarIT2_EEPKiS8_PKS5_SA_S6_PS5_21rocsparse_index_base_b.numbered_sgpr, 16
	.set _ZN9rocsparseL19gebsrmvn_4xn_kernelILj128ELj3ELj4E21rocsparse_complex_numIfEEEvi20rocsparse_direction_NS_24const_host_device_scalarIT2_EEPKiS8_PKS5_SA_S6_PS5_21rocsparse_index_base_b.num_named_barrier, 0
	.set _ZN9rocsparseL19gebsrmvn_4xn_kernelILj128ELj3ELj4E21rocsparse_complex_numIfEEEvi20rocsparse_direction_NS_24const_host_device_scalarIT2_EEPKiS8_PKS5_SA_S6_PS5_21rocsparse_index_base_b.private_seg_size, 0
	.set _ZN9rocsparseL19gebsrmvn_4xn_kernelILj128ELj3ELj4E21rocsparse_complex_numIfEEEvi20rocsparse_direction_NS_24const_host_device_scalarIT2_EEPKiS8_PKS5_SA_S6_PS5_21rocsparse_index_base_b.uses_vcc, 1
	.set _ZN9rocsparseL19gebsrmvn_4xn_kernelILj128ELj3ELj4E21rocsparse_complex_numIfEEEvi20rocsparse_direction_NS_24const_host_device_scalarIT2_EEPKiS8_PKS5_SA_S6_PS5_21rocsparse_index_base_b.uses_flat_scratch, 0
	.set _ZN9rocsparseL19gebsrmvn_4xn_kernelILj128ELj3ELj4E21rocsparse_complex_numIfEEEvi20rocsparse_direction_NS_24const_host_device_scalarIT2_EEPKiS8_PKS5_SA_S6_PS5_21rocsparse_index_base_b.has_dyn_sized_stack, 0
	.set _ZN9rocsparseL19gebsrmvn_4xn_kernelILj128ELj3ELj4E21rocsparse_complex_numIfEEEvi20rocsparse_direction_NS_24const_host_device_scalarIT2_EEPKiS8_PKS5_SA_S6_PS5_21rocsparse_index_base_b.has_recursion, 0
	.set _ZN9rocsparseL19gebsrmvn_4xn_kernelILj128ELj3ELj4E21rocsparse_complex_numIfEEEvi20rocsparse_direction_NS_24const_host_device_scalarIT2_EEPKiS8_PKS5_SA_S6_PS5_21rocsparse_index_base_b.has_indirect_call, 0
	.section	.AMDGPU.csdata,"",@progbits
; Kernel info:
; codeLenInByte = 2224
; TotalNumSgprs: 22
; NumVgprs: 64
; NumAgprs: 0
; TotalNumVgprs: 64
; ScratchSize: 0
; MemoryBound: 0
; FloatMode: 240
; IeeeMode: 1
; LDSByteSize: 0 bytes/workgroup (compile time only)
; SGPRBlocks: 2
; VGPRBlocks: 7
; NumSGPRsForWavesPerEU: 22
; NumVGPRsForWavesPerEU: 64
; AccumOffset: 64
; Occupancy: 8
; WaveLimiterHint : 1
; COMPUTE_PGM_RSRC2:SCRATCH_EN: 0
; COMPUTE_PGM_RSRC2:USER_SGPR: 2
; COMPUTE_PGM_RSRC2:TRAP_HANDLER: 0
; COMPUTE_PGM_RSRC2:TGID_X_EN: 1
; COMPUTE_PGM_RSRC2:TGID_Y_EN: 0
; COMPUTE_PGM_RSRC2:TGID_Z_EN: 0
; COMPUTE_PGM_RSRC2:TIDIG_COMP_CNT: 0
; COMPUTE_PGM_RSRC3_GFX90A:ACCUM_OFFSET: 15
; COMPUTE_PGM_RSRC3_GFX90A:TG_SPLIT: 0
	.section	.text._ZN9rocsparseL19gebsrmvn_4xn_kernelILj128ELj3ELj8E21rocsparse_complex_numIfEEEvi20rocsparse_direction_NS_24const_host_device_scalarIT2_EEPKiS8_PKS5_SA_S6_PS5_21rocsparse_index_base_b,"axG",@progbits,_ZN9rocsparseL19gebsrmvn_4xn_kernelILj128ELj3ELj8E21rocsparse_complex_numIfEEEvi20rocsparse_direction_NS_24const_host_device_scalarIT2_EEPKiS8_PKS5_SA_S6_PS5_21rocsparse_index_base_b,comdat
	.globl	_ZN9rocsparseL19gebsrmvn_4xn_kernelILj128ELj3ELj8E21rocsparse_complex_numIfEEEvi20rocsparse_direction_NS_24const_host_device_scalarIT2_EEPKiS8_PKS5_SA_S6_PS5_21rocsparse_index_base_b ; -- Begin function _ZN9rocsparseL19gebsrmvn_4xn_kernelILj128ELj3ELj8E21rocsparse_complex_numIfEEEvi20rocsparse_direction_NS_24const_host_device_scalarIT2_EEPKiS8_PKS5_SA_S6_PS5_21rocsparse_index_base_b
	.p2align	8
	.type	_ZN9rocsparseL19gebsrmvn_4xn_kernelILj128ELj3ELj8E21rocsparse_complex_numIfEEEvi20rocsparse_direction_NS_24const_host_device_scalarIT2_EEPKiS8_PKS5_SA_S6_PS5_21rocsparse_index_base_b,@function
_ZN9rocsparseL19gebsrmvn_4xn_kernelILj128ELj3ELj8E21rocsparse_complex_numIfEEEvi20rocsparse_direction_NS_24const_host_device_scalarIT2_EEPKiS8_PKS5_SA_S6_PS5_21rocsparse_index_base_b: ; @_ZN9rocsparseL19gebsrmvn_4xn_kernelILj128ELj3ELj8E21rocsparse_complex_numIfEEEvi20rocsparse_direction_NS_24const_host_device_scalarIT2_EEPKiS8_PKS5_SA_S6_PS5_21rocsparse_index_base_b
; %bb.0:
	s_load_dwordx2 s[4:5], s[0:1], 0x8
	s_load_dwordx2 s[6:7], s[0:1], 0x30
	;; [unrolled: 1-line block ×3, first 2 shown]
	s_add_u32 s3, s0, 8
	s_addc_u32 s8, s1, 0
	s_add_u32 s9, s0, 48
	s_addc_u32 s10, s1, 0
	s_waitcnt lgkmcnt(0)
	s_bitcmp1_b32 s13, 0
	s_cselect_b32 s3, s3, s4
	s_cselect_b32 s5, s8, s5
	v_mov_b32_e32 v2, s3
	s_cselect_b32 s3, s10, s7
	s_cselect_b32 s4, s9, s6
	v_mov_b32_e32 v3, s5
	v_mov_b32_e32 v4, s4
	;; [unrolled: 1-line block ×3, first 2 shown]
	flat_load_dwordx2 v[2:3], v[2:3]
	s_waitcnt vmcnt(0) lgkmcnt(0)
	v_cmp_eq_f32_e32 vcc, 0, v2
	flat_load_dwordx2 v[4:5], v[4:5]
	v_cmp_eq_f32_e64 s[4:5], 0, v3
	s_and_b64 s[4:5], vcc, s[4:5]
	s_waitcnt vmcnt(0) lgkmcnt(0)
	v_cmp_eq_f32_e64 s[6:7], 1.0, v4
	v_cmp_eq_f32_e64 s[8:9], 0, v5
	s_and_b64 s[6:7], s[6:7], s[8:9]
	s_and_b64 s[4:5], s[4:5], s[6:7]
	s_xor_b64 s[4:5], s[4:5], -1
	s_and_saveexec_b64 s[6:7], s[4:5]
	s_cbranch_execz .LBB85_19
; %bb.1:
	s_load_dwordx2 s[14:15], s[0:1], 0x0
	v_lshrrev_b32_e32 v1, 3, v0
	v_lshl_or_b32 v6, s2, 4, v1
	s_waitcnt lgkmcnt(0)
	v_cmp_gt_i32_e32 vcc, s14, v6
	s_and_b64 exec, exec, vcc
	s_cbranch_execz .LBB85_19
; %bb.2:
	s_load_dwordx8 s[4:11], s[0:1], 0x10
	v_ashrrev_i32_e32 v7, 31, v6
	s_cmp_lg_u32 s15, 0
	s_waitcnt lgkmcnt(0)
	v_lshl_add_u64 v[8:9], v[6:7], 2, s[4:5]
	global_load_dwordx2 v[8:9], v[8:9], off
	v_and_b32_e32 v7, 7, v0
	s_waitcnt vmcnt(0)
	v_subrev_u32_e32 v0, s12, v8
	v_subrev_u32_e32 v20, s12, v9
	v_add_u32_e32 v0, v0, v7
	v_cmp_lt_i32_e64 s[2:3], v0, v20
	s_cbranch_scc0 .LBB85_8
; %bb.3:
	v_mov_b32_e32 v13, 0
	v_mov_b32_e32 v12, v13
	;; [unrolled: 1-line block ×8, first 2 shown]
	s_and_saveexec_b64 s[4:5], s[2:3]
	s_cbranch_execz .LBB85_7
; %bb.4:
	v_mov_b32_e32 v17, 0
	v_mul_lo_u32 v16, v0, 12
	s_mov_b64 s[14:15], 0
	v_mov_b32_e32 v18, v0
	v_mov_b32_e32 v14, v17
	;; [unrolled: 1-line block ×9, first 2 shown]
.LBB85_5:                               ; =>This Inner Loop Header: Depth=1
	v_ashrrev_i32_e32 v19, 31, v18
	v_lshl_add_u64 v[22:23], v[18:19], 2, s[6:7]
	global_load_dword v1, v[22:23], off
	v_add_u32_e32 v32, 4, v16
	v_mov_b32_e32 v33, v17
	v_lshl_add_u64 v[30:31], v[16:17], 3, s[8:9]
	v_mov_b32_e32 v47, v17
	v_add_u32_e32 v34, 8, v16
	v_mov_b32_e32 v35, v17
	v_lshl_add_u64 v[52:53], v[32:33], 3, s[8:9]
	global_load_dwordx4 v[22:25], v[30:31], off offset:16
	global_load_dwordx4 v[26:29], v[30:31], off
	v_lshl_add_u64 v[54:55], v[34:35], 3, s[8:9]
	global_load_dwordx4 v[30:33], v[52:53], off offset:16
	global_load_dwordx4 v[34:37], v[52:53], off
	global_load_dwordx4 v[38:41], v[54:55], off offset:16
	global_load_dwordx4 v[42:45], v[54:55], off
	v_mov_b32_e32 v49, v17
	v_mov_b32_e32 v51, v17
	v_add_u32_e32 v18, 8, v18
	v_cmp_ge_i32_e32 vcc, v18, v20
	v_add_u32_e32 v16, 0x60, v16
	s_or_b64 s[14:15], vcc, s[14:15]
	s_waitcnt vmcnt(6)
	v_subrev_u32_e32 v1, s12, v1
	v_lshl_add_u32 v46, v1, 1, v1
	v_lshl_add_u64 v[52:53], v[46:47], 3, s[10:11]
	v_add_u32_e32 v48, 1, v46
	v_add_u32_e32 v50, 2, v46
	global_load_dwordx2 v[46:47], v[52:53], off
	v_lshl_add_u64 v[48:49], v[48:49], 3, s[10:11]
	v_lshl_add_u64 v[50:51], v[50:51], 3, s[10:11]
	global_load_dwordx2 v[52:53], v[48:49], off
	global_load_dwordx2 v[54:55], v[50:51], off
	s_waitcnt vmcnt(7)
	v_xor_b32_e32 v48, 0x80000000, v29
	v_mov_b32_e32 v49, v28
	v_xor_b32_e32 v50, 0x80000000, v25
	v_mov_b32_e32 v51, v24
	s_waitcnt vmcnt(5)
	v_xor_b32_e32 v56, 0x80000000, v37
	v_mov_b32_e32 v57, v36
	v_xor_b32_e32 v60, 0x80000000, v33
	v_mov_b32_e32 v61, v32
	;; [unrolled: 5-line block ×3, first 2 shown]
	s_waitcnt vmcnt(2)
	v_pk_fma_f32 v[12:13], v[26:27], v[46:47], v[12:13] op_sel_hi:[1,0,1]
	v_pk_fma_f32 v[14:15], v[28:29], v[46:47], v[14:15] op_sel_hi:[1,0,1]
	v_pk_fma_f32 v[10:11], v[22:23], v[46:47], v[10:11] op_sel_hi:[1,0,1]
	v_pk_fma_f32 v[8:9], v[24:25], v[46:47], v[8:9] op_sel_hi:[1,0,1]
	v_pk_fma_f32 v[12:13], v[26:27], v[46:47], v[12:13] op_sel:[1,1,0] op_sel_hi:[0,1,1] neg_lo:[1,0,0]
	v_pk_fma_f32 v[14:15], v[48:49], v[46:47], v[14:15] op_sel:[0,1,0]
	v_pk_fma_f32 v[10:11], v[22:23], v[46:47], v[10:11] op_sel:[1,1,0] op_sel_hi:[0,1,1] neg_lo:[1,0,0]
	v_pk_fma_f32 v[8:9], v[50:51], v[46:47], v[8:9] op_sel:[0,1,0]
	s_waitcnt vmcnt(1)
	v_pk_fma_f32 v[12:13], v[34:35], v[52:53], v[12:13] op_sel_hi:[1,0,1]
	v_pk_fma_f32 v[14:15], v[36:37], v[52:53], v[14:15] op_sel_hi:[1,0,1]
	v_pk_fma_f32 v[10:11], v[30:31], v[52:53], v[10:11] op_sel_hi:[1,0,1]
	v_pk_fma_f32 v[8:9], v[32:33], v[52:53], v[8:9] op_sel_hi:[1,0,1]
	v_pk_fma_f32 v[12:13], v[34:35], v[52:53], v[12:13] op_sel:[1,1,0] op_sel_hi:[0,1,1] neg_lo:[1,0,0]
	v_pk_fma_f32 v[14:15], v[56:57], v[52:53], v[14:15] op_sel:[0,1,0]
	v_pk_fma_f32 v[10:11], v[30:31], v[52:53], v[10:11] op_sel:[1,1,0] op_sel_hi:[0,1,1] neg_lo:[1,0,0]
	v_pk_fma_f32 v[8:9], v[60:61], v[52:53], v[8:9] op_sel:[0,1,0]
	;; [unrolled: 9-line block ×3, first 2 shown]
	s_andn2_b64 exec, exec, s[14:15]
	s_cbranch_execnz .LBB85_5
; %bb.6:
	s_or_b64 exec, exec, s[14:15]
.LBB85_7:
	s_or_b64 exec, exec, s[4:5]
	s_cbranch_execz .LBB85_9
	s_branch .LBB85_14
.LBB85_8:
                                        ; implicit-def: $vgpr13
                                        ; implicit-def: $vgpr9
                                        ; implicit-def: $vgpr11
                                        ; implicit-def: $vgpr15
.LBB85_9:
	v_mov_b32_e32 v13, 0
	v_mov_b32_e32 v12, v13
	;; [unrolled: 1-line block ×8, first 2 shown]
	s_and_saveexec_b64 s[4:5], s[2:3]
	s_cbranch_execz .LBB85_13
; %bb.10:
	v_mad_u64_u32 v[16:17], s[2:3], v0, 12, 11
	v_mov_b32_e32 v19, 0
	s_mov_b64 s[2:3], 0
	v_mov_b32_e32 v14, v19
	v_mov_b32_e32 v15, v19
	;; [unrolled: 1-line block ×8, first 2 shown]
.LBB85_11:                              ; =>This Inner Loop Header: Depth=1
	v_ashrrev_i32_e32 v1, 31, v0
	v_lshl_add_u64 v[22:23], v[0:1], 2, s[6:7]
	global_load_dword v1, v[22:23], off
	v_add_u32_e32 v18, -11, v16
	v_add_u32_e32 v22, -5, v16
	v_mov_b32_e32 v23, v19
	v_add_u32_e32 v24, -2, v16
	v_mov_b32_e32 v31, v19
	v_mov_b32_e32 v25, v19
	v_lshl_add_u64 v[32:33], v[18:19], 3, s[8:9]
	v_lshl_add_u64 v[34:35], v[22:23], 3, s[8:9]
	;; [unrolled: 1-line block ×3, first 2 shown]
	global_load_dwordx4 v[22:25], v[32:33], off
	global_load_dwordx4 v[26:29], v[32:33], off offset:16
	global_load_dwordx2 v[40:41], v[34:35], off
	global_load_dwordx2 v[42:43], v[36:37], off
	v_mov_b32_e32 v17, v19
	v_lshl_add_u64 v[38:39], v[16:17], 3, s[8:9]
	v_add_u32_e32 v0, 8, v0
	v_cmp_ge_i32_e32 vcc, v0, v20
	s_or_b64 s[2:3], vcc, s[2:3]
	s_waitcnt vmcnt(4)
	v_subrev_u32_e32 v1, s12, v1
	v_lshl_add_u32 v30, v1, 1, v1
	v_add_u32_e32 v18, 1, v30
	v_lshl_add_u64 v[32:33], v[30:31], 3, s[10:11]
	v_lshl_add_u64 v[34:35], v[18:19], 3, s[10:11]
	v_add_u32_e32 v18, -7, v16
	global_load_dwordx2 v[32:33], v[32:33], off
	v_lshl_add_u64 v[36:37], v[18:19], 3, s[8:9]
	v_add_u32_e32 v18, -4, v16
	v_lshl_add_u64 v[44:45], v[18:19], 3, s[8:9]
	v_add_u32_e32 v18, -1, v16
	global_load_dwordx2 v[34:35], v[34:35], off
	v_lshl_add_u64 v[46:47], v[18:19], 3, s[8:9]
	global_load_dwordx2 v[36:37], v[36:37], off
	v_add_u32_e32 v18, 2, v30
	global_load_dwordx2 v[44:45], v[44:45], off
	s_waitcnt vmcnt(5)
	v_xor_b32_e32 v56, 0x80000000, v41
	global_load_dwordx2 v[30:31], v[46:47], off
	v_lshl_add_u64 v[46:47], v[18:19], 3, s[10:11]
	v_add_u32_e32 v18, -6, v16
	v_lshl_add_u64 v[48:49], v[18:19], 3, s[8:9]
	v_add_u32_e32 v18, -3, v16
	global_load_dwordx2 v[46:47], v[46:47], off
	v_lshl_add_u64 v[50:51], v[18:19], 3, s[8:9]
	global_load_dwordx2 v[48:49], v[48:49], off
	s_nop 0
	global_load_dwordx2 v[52:53], v[50:51], off
	global_load_dwordx2 v[54:55], v[38:39], off
	v_xor_b32_e32 v50, 0x80000000, v29
	v_mov_b32_e32 v51, v28
	v_mov_b32_e32 v57, v40
	s_waitcnt vmcnt(9)
	v_xor_b32_e32 v58, 0x80000000, v43
	v_mov_b32_e32 v59, v42
	v_xor_b32_e32 v38, 0x80000000, v25
	v_mov_b32_e32 v39, v24
	v_add_u32_e32 v16, 0x60, v16
	s_waitcnt vmcnt(8)
	v_pk_fma_f32 v[14:15], v[28:29], v[32:33], v[14:15] op_sel_hi:[1,0,1]
	v_pk_fma_f32 v[12:13], v[22:23], v[32:33], v[12:13] op_sel_hi:[1,0,1]
	;; [unrolled: 1-line block ×3, first 2 shown]
	v_pk_fma_f32 v[14:15], v[50:51], v[32:33], v[14:15] op_sel:[0,1,0]
	v_pk_fma_f32 v[8:9], v[42:43], v[32:33], v[8:9] op_sel_hi:[1,0,1]
	v_pk_fma_f32 v[12:13], v[22:23], v[32:33], v[12:13] op_sel:[1,1,0] op_sel_hi:[0,1,1] neg_lo:[1,0,0]
	v_pk_fma_f32 v[10:11], v[56:57], v[32:33], v[10:11] op_sel:[0,1,0]
	s_waitcnt vmcnt(6)
	v_xor_b32_e32 v22, 0x80000000, v37
	v_pk_fma_f32 v[14:15], v[36:37], v[34:35], v[14:15] op_sel_hi:[1,0,1]
	v_mov_b32_e32 v23, v36
	v_pk_fma_f32 v[8:9], v[58:59], v[32:33], v[8:9] op_sel:[0,1,0]
	v_pk_fma_f32 v[14:15], v[22:23], v[34:35], v[14:15] op_sel:[0,1,0]
	s_waitcnt vmcnt(5)
	v_xor_b32_e32 v22, 0x80000000, v45
	v_pk_fma_f32 v[10:11], v[44:45], v[34:35], v[10:11] op_sel_hi:[1,0,1]
	v_mov_b32_e32 v23, v44
	v_pk_fma_f32 v[12:13], v[24:25], v[34:35], v[12:13] op_sel_hi:[1,0,1]
	v_pk_fma_f32 v[10:11], v[22:23], v[34:35], v[10:11] op_sel:[0,1,0]
	s_waitcnt vmcnt(4)
	v_xor_b32_e32 v22, 0x80000000, v31
	v_pk_fma_f32 v[8:9], v[30:31], v[34:35], v[8:9] op_sel_hi:[1,0,1]
	v_mov_b32_e32 v23, v30
	v_pk_fma_f32 v[12:13], v[38:39], v[34:35], v[12:13] op_sel:[0,1,0]
	v_pk_fma_f32 v[8:9], v[22:23], v[34:35], v[8:9] op_sel:[0,1,0]
	s_waitcnt vmcnt(2)
	v_xor_b32_e32 v22, 0x80000000, v49
	v_pk_fma_f32 v[14:15], v[48:49], v[46:47], v[14:15] op_sel_hi:[1,0,1]
	v_mov_b32_e32 v23, v48
	v_pk_fma_f32 v[12:13], v[26:27], v[46:47], v[12:13] op_sel_hi:[1,0,1]
	v_pk_fma_f32 v[14:15], v[22:23], v[46:47], v[14:15] op_sel:[0,1,0]
	s_waitcnt vmcnt(1)
	v_xor_b32_e32 v22, 0x80000000, v53
	v_pk_fma_f32 v[10:11], v[52:53], v[46:47], v[10:11] op_sel_hi:[1,0,1]
	v_mov_b32_e32 v23, v52
	s_waitcnt vmcnt(0)
	v_xor_b32_e32 v24, 0x80000000, v55
	v_pk_fma_f32 v[8:9], v[54:55], v[46:47], v[8:9] op_sel_hi:[1,0,1]
	v_mov_b32_e32 v25, v54
	v_pk_fma_f32 v[12:13], v[26:27], v[46:47], v[12:13] op_sel:[1,1,0] op_sel_hi:[0,1,1] neg_lo:[1,0,0]
	v_pk_fma_f32 v[10:11], v[22:23], v[46:47], v[10:11] op_sel:[0,1,0]
	v_pk_fma_f32 v[8:9], v[24:25], v[46:47], v[8:9] op_sel:[0,1,0]
	s_andn2_b64 exec, exec, s[2:3]
	s_cbranch_execnz .LBB85_11
; %bb.12:
	s_or_b64 exec, exec, s[2:3]
.LBB85_13:
	s_or_b64 exec, exec, s[4:5]
.LBB85_14:
	v_mov_b32_dpp v0, v12 row_shr:1 row_mask:0xf bank_mask:0xf
	v_add_f32_e32 v0, v12, v0
	v_mov_b32_dpp v12, v13 row_shr:1 row_mask:0xf bank_mask:0xf
	v_add_f32_e32 v12, v13, v12
	;; [unrolled: 2-line block ×5, first 2 shown]
	v_mov_b32_dpp v1, v0 row_shr:4 row_mask:0xf bank_mask:0xe
	v_mov_b32_dpp v16, v13 row_shr:4 row_mask:0xf bank_mask:0xe
	;; [unrolled: 1-line block ×3, first 2 shown]
	v_add_f32_e32 v14, v12, v14
	v_mov_b32_dpp v12, v15 row_shr:1 row_mask:0xf bank_mask:0xf
	v_add_f32_e32 v12, v15, v12
	v_mov_b32_dpp v17, v14 row_shr:4 row_mask:0xf bank_mask:0xe
	v_cmp_eq_u32_e32 vcc, 7, v7
	v_mov_b32_dpp v15, v12 row_shr:2 row_mask:0xf bank_mask:0xf
	v_add_f32_e32 v15, v12, v15
	v_mov_b32_dpp v12, v10 row_shr:1 row_mask:0xf bank_mask:0xf
	v_add_f32_e32 v10, v10, v12
	v_mov_b32_dpp v18, v15 row_shr:4 row_mask:0xf bank_mask:0xe
	s_nop 0
	v_mov_b32_dpp v12, v10 row_shr:2 row_mask:0xf bank_mask:0xf
	v_add_f32_e32 v19, v10, v12
	v_mov_b32_dpp v10, v11 row_shr:1 row_mask:0xf bank_mask:0xf
	v_add_f32_e32 v10, v11, v10
	v_mov_b32_dpp v21, v19 row_shr:4 row_mask:0xf bank_mask:0xe
	s_nop 0
	;; [unrolled: 6-line block ×4, first 2 shown]
	v_mov_b32_dpp v9, v8 row_shr:2 row_mask:0xf bank_mask:0xf
	v_add_f32_e32 v9, v8, v9
	s_nop 1
	v_mov_b32_dpp v25, v9 row_shr:4 row_mask:0xf bank_mask:0xe
	s_and_b64 exec, exec, vcc
	s_cbranch_execz .LBB85_19
; %bb.15:
	s_load_dwordx2 s[2:3], s[0:1], 0x38
	v_cmp_eq_f32_e32 vcc, 0, v4
	v_cmp_eq_f32_e64 s[0:1], 0, v5
	v_add_f32_e32 v12, v0, v1
	v_add_f32_e32 v20, v13, v16
	;; [unrolled: 1-line block ×8, first 2 shown]
	s_and_b64 s[0:1], vcc, s[0:1]
	s_and_saveexec_b64 s[4:5], s[0:1]
	s_xor_b64 s[0:1], exec, s[4:5]
	s_cbranch_execz .LBB85_17
; %bb.16:
	v_lshlrev_b32_e32 v4, 2, v6
	v_xor_b32_e32 v22, 0x80000000, v3
	v_ashrrev_i32_e32 v5, 31, v4
	v_mov_b32_e32 v23, v2
	s_waitcnt lgkmcnt(0)
	v_lshl_add_u64 v[24:25], v[4:5], 3, s[2:3]
	v_pk_mul_f32 v[4:5], v[20:21], v[22:23] op_sel_hi:[0,1]
	v_pk_mul_f32 v[6:7], v[18:19], v[22:23] op_sel_hi:[0,1]
	v_pk_fma_f32 v[4:5], v[2:3], v[12:13], v[4:5] op_sel_hi:[1,0,1]
	v_pk_fma_f32 v[6:7], v[2:3], v[10:11], v[6:7] op_sel_hi:[1,0,1]
	global_store_dwordx4 v[24:25], v[4:7], off
                                        ; implicit-def: $vgpr12
                                        ; implicit-def: $vgpr20
                                        ; implicit-def: $vgpr10
                                        ; implicit-def: $vgpr18
	s_nop 1
	v_pk_mul_f32 v[4:5], v[16:17], v[22:23] op_sel_hi:[0,1]
	v_pk_mul_f32 v[6:7], v[14:15], v[22:23] op_sel_hi:[0,1]
	v_pk_fma_f32 v[4:5], v[2:3], v[8:9], v[4:5] op_sel_hi:[1,0,1]
	v_pk_fma_f32 v[6:7], v[2:3], v[0:1], v[6:7] op_sel_hi:[1,0,1]
	global_store_dwordx4 v[24:25], v[4:7], off offset:16
                                        ; implicit-def: $vgpr6
                                        ; implicit-def: $vgpr8
                                        ; implicit-def: $vgpr16
                                        ; implicit-def: $vgpr0
                                        ; implicit-def: $vgpr14
                                        ; implicit-def: $vgpr2_vgpr3
                                        ; implicit-def: $vgpr4_vgpr5
.LBB85_17:
	s_andn2_saveexec_b64 s[0:1], s[0:1]
	s_cbranch_execz .LBB85_19
; %bb.18:
	v_lshlrev_b32_e32 v6, 2, v6
	v_ashrrev_i32_e32 v7, 31, v6
	s_waitcnt lgkmcnt(0)
	v_lshl_add_u64 v[30:31], v[6:7], 3, s[2:3]
	global_load_dwordx4 v[22:25], v[30:31], off
	global_load_dwordx4 v[26:29], v[30:31], off offset:16
	v_xor_b32_e32 v6, 0x80000000, v3
	v_mov_b32_e32 v7, v2
	v_pk_mul_f32 v[20:21], v[20:21], v[6:7] op_sel_hi:[0,1]
	v_pk_mul_f32 v[18:19], v[18:19], v[6:7] op_sel_hi:[0,1]
	;; [unrolled: 1-line block ×4, first 2 shown]
	v_pk_fma_f32 v[12:13], v[2:3], v[12:13], v[20:21] op_sel_hi:[1,0,1]
	v_pk_fma_f32 v[10:11], v[2:3], v[10:11], v[18:19] op_sel_hi:[1,0,1]
	v_xor_b32_e32 v32, 0x80000000, v5
	v_mov_b32_e32 v33, v4
	v_pk_fma_f32 v[8:9], v[2:3], v[8:9], v[16:17] op_sel_hi:[1,0,1]
	v_pk_fma_f32 v[0:1], v[2:3], v[0:1], v[6:7] op_sel_hi:[1,0,1]
	s_waitcnt vmcnt(1)
	v_pk_fma_f32 v[2:3], v[4:5], v[22:23], v[12:13] op_sel_hi:[1,0,1]
	v_pk_fma_f32 v[6:7], v[4:5], v[24:25], v[10:11] op_sel_hi:[1,0,1]
	v_mov_b32_e32 v10, v25
	s_waitcnt vmcnt(0)
	v_pk_fma_f32 v[8:9], v[4:5], v[26:27], v[8:9] op_sel_hi:[1,0,1]
	v_pk_fma_f32 v[12:13], v[4:5], v[28:29], v[0:1] op_sel_hi:[1,0,1]
	v_mov_b32_e32 v14, v29
	v_pk_fma_f32 v[0:1], v[32:33], v[22:23], v[2:3] op_sel:[0,1,0]
	v_pk_fma_f32 v[2:3], v[32:33], v[10:11], v[6:7] op_sel_hi:[1,0,1]
	v_pk_fma_f32 v[4:5], v[32:33], v[26:27], v[8:9] op_sel:[0,1,0]
	v_pk_fma_f32 v[6:7], v[32:33], v[14:15], v[12:13] op_sel_hi:[1,0,1]
	global_store_dwordx4 v[30:31], v[0:3], off
	global_store_dwordx4 v[30:31], v[4:7], off offset:16
.LBB85_19:
	s_endpgm
	.section	.rodata,"a",@progbits
	.p2align	6, 0x0
	.amdhsa_kernel _ZN9rocsparseL19gebsrmvn_4xn_kernelILj128ELj3ELj8E21rocsparse_complex_numIfEEEvi20rocsparse_direction_NS_24const_host_device_scalarIT2_EEPKiS8_PKS5_SA_S6_PS5_21rocsparse_index_base_b
		.amdhsa_group_segment_fixed_size 0
		.amdhsa_private_segment_fixed_size 0
		.amdhsa_kernarg_size 72
		.amdhsa_user_sgpr_count 2
		.amdhsa_user_sgpr_dispatch_ptr 0
		.amdhsa_user_sgpr_queue_ptr 0
		.amdhsa_user_sgpr_kernarg_segment_ptr 1
		.amdhsa_user_sgpr_dispatch_id 0
		.amdhsa_user_sgpr_kernarg_preload_length 0
		.amdhsa_user_sgpr_kernarg_preload_offset 0
		.amdhsa_user_sgpr_private_segment_size 0
		.amdhsa_uses_dynamic_stack 0
		.amdhsa_enable_private_segment 0
		.amdhsa_system_sgpr_workgroup_id_x 1
		.amdhsa_system_sgpr_workgroup_id_y 0
		.amdhsa_system_sgpr_workgroup_id_z 0
		.amdhsa_system_sgpr_workgroup_info 0
		.amdhsa_system_vgpr_workitem_id 0
		.amdhsa_next_free_vgpr 64
		.amdhsa_next_free_sgpr 16
		.amdhsa_accum_offset 64
		.amdhsa_reserve_vcc 1
		.amdhsa_float_round_mode_32 0
		.amdhsa_float_round_mode_16_64 0
		.amdhsa_float_denorm_mode_32 3
		.amdhsa_float_denorm_mode_16_64 3
		.amdhsa_dx10_clamp 1
		.amdhsa_ieee_mode 1
		.amdhsa_fp16_overflow 0
		.amdhsa_tg_split 0
		.amdhsa_exception_fp_ieee_invalid_op 0
		.amdhsa_exception_fp_denorm_src 0
		.amdhsa_exception_fp_ieee_div_zero 0
		.amdhsa_exception_fp_ieee_overflow 0
		.amdhsa_exception_fp_ieee_underflow 0
		.amdhsa_exception_fp_ieee_inexact 0
		.amdhsa_exception_int_div_zero 0
	.end_amdhsa_kernel
	.section	.text._ZN9rocsparseL19gebsrmvn_4xn_kernelILj128ELj3ELj8E21rocsparse_complex_numIfEEEvi20rocsparse_direction_NS_24const_host_device_scalarIT2_EEPKiS8_PKS5_SA_S6_PS5_21rocsparse_index_base_b,"axG",@progbits,_ZN9rocsparseL19gebsrmvn_4xn_kernelILj128ELj3ELj8E21rocsparse_complex_numIfEEEvi20rocsparse_direction_NS_24const_host_device_scalarIT2_EEPKiS8_PKS5_SA_S6_PS5_21rocsparse_index_base_b,comdat
.Lfunc_end85:
	.size	_ZN9rocsparseL19gebsrmvn_4xn_kernelILj128ELj3ELj8E21rocsparse_complex_numIfEEEvi20rocsparse_direction_NS_24const_host_device_scalarIT2_EEPKiS8_PKS5_SA_S6_PS5_21rocsparse_index_base_b, .Lfunc_end85-_ZN9rocsparseL19gebsrmvn_4xn_kernelILj128ELj3ELj8E21rocsparse_complex_numIfEEEvi20rocsparse_direction_NS_24const_host_device_scalarIT2_EEPKiS8_PKS5_SA_S6_PS5_21rocsparse_index_base_b
                                        ; -- End function
	.set _ZN9rocsparseL19gebsrmvn_4xn_kernelILj128ELj3ELj8E21rocsparse_complex_numIfEEEvi20rocsparse_direction_NS_24const_host_device_scalarIT2_EEPKiS8_PKS5_SA_S6_PS5_21rocsparse_index_base_b.num_vgpr, 64
	.set _ZN9rocsparseL19gebsrmvn_4xn_kernelILj128ELj3ELj8E21rocsparse_complex_numIfEEEvi20rocsparse_direction_NS_24const_host_device_scalarIT2_EEPKiS8_PKS5_SA_S6_PS5_21rocsparse_index_base_b.num_agpr, 0
	.set _ZN9rocsparseL19gebsrmvn_4xn_kernelILj128ELj3ELj8E21rocsparse_complex_numIfEEEvi20rocsparse_direction_NS_24const_host_device_scalarIT2_EEPKiS8_PKS5_SA_S6_PS5_21rocsparse_index_base_b.numbered_sgpr, 16
	.set _ZN9rocsparseL19gebsrmvn_4xn_kernelILj128ELj3ELj8E21rocsparse_complex_numIfEEEvi20rocsparse_direction_NS_24const_host_device_scalarIT2_EEPKiS8_PKS5_SA_S6_PS5_21rocsparse_index_base_b.num_named_barrier, 0
	.set _ZN9rocsparseL19gebsrmvn_4xn_kernelILj128ELj3ELj8E21rocsparse_complex_numIfEEEvi20rocsparse_direction_NS_24const_host_device_scalarIT2_EEPKiS8_PKS5_SA_S6_PS5_21rocsparse_index_base_b.private_seg_size, 0
	.set _ZN9rocsparseL19gebsrmvn_4xn_kernelILj128ELj3ELj8E21rocsparse_complex_numIfEEEvi20rocsparse_direction_NS_24const_host_device_scalarIT2_EEPKiS8_PKS5_SA_S6_PS5_21rocsparse_index_base_b.uses_vcc, 1
	.set _ZN9rocsparseL19gebsrmvn_4xn_kernelILj128ELj3ELj8E21rocsparse_complex_numIfEEEvi20rocsparse_direction_NS_24const_host_device_scalarIT2_EEPKiS8_PKS5_SA_S6_PS5_21rocsparse_index_base_b.uses_flat_scratch, 0
	.set _ZN9rocsparseL19gebsrmvn_4xn_kernelILj128ELj3ELj8E21rocsparse_complex_numIfEEEvi20rocsparse_direction_NS_24const_host_device_scalarIT2_EEPKiS8_PKS5_SA_S6_PS5_21rocsparse_index_base_b.has_dyn_sized_stack, 0
	.set _ZN9rocsparseL19gebsrmvn_4xn_kernelILj128ELj3ELj8E21rocsparse_complex_numIfEEEvi20rocsparse_direction_NS_24const_host_device_scalarIT2_EEPKiS8_PKS5_SA_S6_PS5_21rocsparse_index_base_b.has_recursion, 0
	.set _ZN9rocsparseL19gebsrmvn_4xn_kernelILj128ELj3ELj8E21rocsparse_complex_numIfEEEvi20rocsparse_direction_NS_24const_host_device_scalarIT2_EEPKiS8_PKS5_SA_S6_PS5_21rocsparse_index_base_b.has_indirect_call, 0
	.section	.AMDGPU.csdata,"",@progbits
; Kernel info:
; codeLenInByte = 2348
; TotalNumSgprs: 22
; NumVgprs: 64
; NumAgprs: 0
; TotalNumVgprs: 64
; ScratchSize: 0
; MemoryBound: 0
; FloatMode: 240
; IeeeMode: 1
; LDSByteSize: 0 bytes/workgroup (compile time only)
; SGPRBlocks: 2
; VGPRBlocks: 7
; NumSGPRsForWavesPerEU: 22
; NumVGPRsForWavesPerEU: 64
; AccumOffset: 64
; Occupancy: 8
; WaveLimiterHint : 1
; COMPUTE_PGM_RSRC2:SCRATCH_EN: 0
; COMPUTE_PGM_RSRC2:USER_SGPR: 2
; COMPUTE_PGM_RSRC2:TRAP_HANDLER: 0
; COMPUTE_PGM_RSRC2:TGID_X_EN: 1
; COMPUTE_PGM_RSRC2:TGID_Y_EN: 0
; COMPUTE_PGM_RSRC2:TGID_Z_EN: 0
; COMPUTE_PGM_RSRC2:TIDIG_COMP_CNT: 0
; COMPUTE_PGM_RSRC3_GFX90A:ACCUM_OFFSET: 15
; COMPUTE_PGM_RSRC3_GFX90A:TG_SPLIT: 0
	.section	.text._ZN9rocsparseL19gebsrmvn_4xn_kernelILj128ELj3ELj16E21rocsparse_complex_numIfEEEvi20rocsparse_direction_NS_24const_host_device_scalarIT2_EEPKiS8_PKS5_SA_S6_PS5_21rocsparse_index_base_b,"axG",@progbits,_ZN9rocsparseL19gebsrmvn_4xn_kernelILj128ELj3ELj16E21rocsparse_complex_numIfEEEvi20rocsparse_direction_NS_24const_host_device_scalarIT2_EEPKiS8_PKS5_SA_S6_PS5_21rocsparse_index_base_b,comdat
	.globl	_ZN9rocsparseL19gebsrmvn_4xn_kernelILj128ELj3ELj16E21rocsparse_complex_numIfEEEvi20rocsparse_direction_NS_24const_host_device_scalarIT2_EEPKiS8_PKS5_SA_S6_PS5_21rocsparse_index_base_b ; -- Begin function _ZN9rocsparseL19gebsrmvn_4xn_kernelILj128ELj3ELj16E21rocsparse_complex_numIfEEEvi20rocsparse_direction_NS_24const_host_device_scalarIT2_EEPKiS8_PKS5_SA_S6_PS5_21rocsparse_index_base_b
	.p2align	8
	.type	_ZN9rocsparseL19gebsrmvn_4xn_kernelILj128ELj3ELj16E21rocsparse_complex_numIfEEEvi20rocsparse_direction_NS_24const_host_device_scalarIT2_EEPKiS8_PKS5_SA_S6_PS5_21rocsparse_index_base_b,@function
_ZN9rocsparseL19gebsrmvn_4xn_kernelILj128ELj3ELj16E21rocsparse_complex_numIfEEEvi20rocsparse_direction_NS_24const_host_device_scalarIT2_EEPKiS8_PKS5_SA_S6_PS5_21rocsparse_index_base_b: ; @_ZN9rocsparseL19gebsrmvn_4xn_kernelILj128ELj3ELj16E21rocsparse_complex_numIfEEEvi20rocsparse_direction_NS_24const_host_device_scalarIT2_EEPKiS8_PKS5_SA_S6_PS5_21rocsparse_index_base_b
; %bb.0:
	s_load_dwordx2 s[4:5], s[0:1], 0x8
	s_load_dwordx2 s[6:7], s[0:1], 0x30
	;; [unrolled: 1-line block ×3, first 2 shown]
	s_add_u32 s3, s0, 8
	s_addc_u32 s8, s1, 0
	s_add_u32 s9, s0, 48
	s_addc_u32 s10, s1, 0
	s_waitcnt lgkmcnt(0)
	s_bitcmp1_b32 s13, 0
	s_cselect_b32 s3, s3, s4
	s_cselect_b32 s5, s8, s5
	v_mov_b32_e32 v2, s3
	s_cselect_b32 s3, s10, s7
	s_cselect_b32 s4, s9, s6
	v_mov_b32_e32 v3, s5
	v_mov_b32_e32 v4, s4
	;; [unrolled: 1-line block ×3, first 2 shown]
	flat_load_dwordx2 v[2:3], v[2:3]
	s_waitcnt vmcnt(0) lgkmcnt(0)
	v_cmp_eq_f32_e32 vcc, 0, v2
	flat_load_dwordx2 v[4:5], v[4:5]
	v_cmp_eq_f32_e64 s[4:5], 0, v3
	s_and_b64 s[4:5], vcc, s[4:5]
	s_waitcnt vmcnt(0) lgkmcnt(0)
	v_cmp_eq_f32_e64 s[6:7], 1.0, v4
	v_cmp_eq_f32_e64 s[8:9], 0, v5
	s_and_b64 s[6:7], s[6:7], s[8:9]
	s_and_b64 s[4:5], s[4:5], s[6:7]
	s_xor_b64 s[4:5], s[4:5], -1
	s_and_saveexec_b64 s[6:7], s[4:5]
	s_cbranch_execz .LBB86_19
; %bb.1:
	s_load_dwordx2 s[14:15], s[0:1], 0x0
	v_lshrrev_b32_e32 v1, 4, v0
	v_lshl_or_b32 v6, s2, 3, v1
	s_waitcnt lgkmcnt(0)
	v_cmp_gt_i32_e32 vcc, s14, v6
	s_and_b64 exec, exec, vcc
	s_cbranch_execz .LBB86_19
; %bb.2:
	s_load_dwordx8 s[4:11], s[0:1], 0x10
	v_ashrrev_i32_e32 v7, 31, v6
	s_cmp_lg_u32 s15, 0
	s_waitcnt lgkmcnt(0)
	v_lshl_add_u64 v[8:9], v[6:7], 2, s[4:5]
	global_load_dwordx2 v[8:9], v[8:9], off
	v_and_b32_e32 v7, 15, v0
	s_waitcnt vmcnt(0)
	v_subrev_u32_e32 v0, s12, v8
	v_subrev_u32_e32 v20, s12, v9
	v_add_u32_e32 v0, v0, v7
	v_cmp_lt_i32_e64 s[2:3], v0, v20
	s_cbranch_scc0 .LBB86_8
; %bb.3:
	v_mov_b32_e32 v15, 0
	v_mov_b32_e32 v14, v15
	;; [unrolled: 1-line block ×8, first 2 shown]
	s_and_saveexec_b64 s[4:5], s[2:3]
	s_cbranch_execz .LBB86_7
; %bb.4:
	v_mov_b32_e32 v17, 0
	v_mul_lo_u32 v16, v0, 12
	s_mov_b64 s[14:15], 0
	v_mov_b32_e32 v18, v0
	v_mov_b32_e32 v12, v17
	;; [unrolled: 1-line block ×9, first 2 shown]
.LBB86_5:                               ; =>This Inner Loop Header: Depth=1
	v_ashrrev_i32_e32 v19, 31, v18
	v_lshl_add_u64 v[22:23], v[18:19], 2, s[6:7]
	global_load_dword v1, v[22:23], off
	v_add_u32_e32 v32, 4, v16
	v_mov_b32_e32 v33, v17
	v_lshl_add_u64 v[30:31], v[16:17], 3, s[8:9]
	v_mov_b32_e32 v47, v17
	v_add_u32_e32 v34, 8, v16
	v_mov_b32_e32 v35, v17
	v_lshl_add_u64 v[52:53], v[32:33], 3, s[8:9]
	global_load_dwordx4 v[22:25], v[30:31], off offset:16
	global_load_dwordx4 v[26:29], v[30:31], off
	v_lshl_add_u64 v[54:55], v[34:35], 3, s[8:9]
	global_load_dwordx4 v[30:33], v[52:53], off offset:16
	global_load_dwordx4 v[34:37], v[52:53], off
	global_load_dwordx4 v[38:41], v[54:55], off offset:16
	global_load_dwordx4 v[42:45], v[54:55], off
	v_mov_b32_e32 v49, v17
	v_mov_b32_e32 v51, v17
	v_add_u32_e32 v18, 16, v18
	v_cmp_ge_i32_e32 vcc, v18, v20
	v_add_u32_e32 v16, 0xc0, v16
	s_or_b64 s[14:15], vcc, s[14:15]
	s_waitcnt vmcnt(6)
	v_subrev_u32_e32 v1, s12, v1
	v_lshl_add_u32 v46, v1, 1, v1
	v_lshl_add_u64 v[52:53], v[46:47], 3, s[10:11]
	v_add_u32_e32 v48, 1, v46
	v_add_u32_e32 v50, 2, v46
	global_load_dwordx2 v[46:47], v[52:53], off
	v_lshl_add_u64 v[48:49], v[48:49], 3, s[10:11]
	v_lshl_add_u64 v[50:51], v[50:51], 3, s[10:11]
	global_load_dwordx2 v[52:53], v[48:49], off
	global_load_dwordx2 v[54:55], v[50:51], off
	s_waitcnt vmcnt(7)
	v_xor_b32_e32 v48, 0x80000000, v29
	v_mov_b32_e32 v49, v28
	v_xor_b32_e32 v50, 0x80000000, v25
	v_mov_b32_e32 v51, v24
	s_waitcnt vmcnt(5)
	v_xor_b32_e32 v56, 0x80000000, v37
	v_mov_b32_e32 v57, v36
	v_xor_b32_e32 v60, 0x80000000, v33
	v_mov_b32_e32 v61, v32
	;; [unrolled: 5-line block ×3, first 2 shown]
	s_waitcnt vmcnt(2)
	v_pk_fma_f32 v[14:15], v[26:27], v[46:47], v[14:15] op_sel_hi:[1,0,1]
	v_pk_fma_f32 v[12:13], v[28:29], v[46:47], v[12:13] op_sel_hi:[1,0,1]
	v_pk_fma_f32 v[10:11], v[22:23], v[46:47], v[10:11] op_sel_hi:[1,0,1]
	v_pk_fma_f32 v[8:9], v[24:25], v[46:47], v[8:9] op_sel_hi:[1,0,1]
	v_pk_fma_f32 v[14:15], v[26:27], v[46:47], v[14:15] op_sel:[1,1,0] op_sel_hi:[0,1,1] neg_lo:[1,0,0]
	v_pk_fma_f32 v[12:13], v[48:49], v[46:47], v[12:13] op_sel:[0,1,0]
	v_pk_fma_f32 v[10:11], v[22:23], v[46:47], v[10:11] op_sel:[1,1,0] op_sel_hi:[0,1,1] neg_lo:[1,0,0]
	v_pk_fma_f32 v[8:9], v[50:51], v[46:47], v[8:9] op_sel:[0,1,0]
	s_waitcnt vmcnt(1)
	v_pk_fma_f32 v[14:15], v[34:35], v[52:53], v[14:15] op_sel_hi:[1,0,1]
	v_pk_fma_f32 v[12:13], v[36:37], v[52:53], v[12:13] op_sel_hi:[1,0,1]
	v_pk_fma_f32 v[10:11], v[30:31], v[52:53], v[10:11] op_sel_hi:[1,0,1]
	v_pk_fma_f32 v[8:9], v[32:33], v[52:53], v[8:9] op_sel_hi:[1,0,1]
	v_pk_fma_f32 v[14:15], v[34:35], v[52:53], v[14:15] op_sel:[1,1,0] op_sel_hi:[0,1,1] neg_lo:[1,0,0]
	v_pk_fma_f32 v[12:13], v[56:57], v[52:53], v[12:13] op_sel:[0,1,0]
	v_pk_fma_f32 v[10:11], v[30:31], v[52:53], v[10:11] op_sel:[1,1,0] op_sel_hi:[0,1,1] neg_lo:[1,0,0]
	v_pk_fma_f32 v[8:9], v[60:61], v[52:53], v[8:9] op_sel:[0,1,0]
	;; [unrolled: 9-line block ×3, first 2 shown]
	s_andn2_b64 exec, exec, s[14:15]
	s_cbranch_execnz .LBB86_5
; %bb.6:
	s_or_b64 exec, exec, s[14:15]
.LBB86_7:
	s_or_b64 exec, exec, s[4:5]
	s_cbranch_execz .LBB86_9
	s_branch .LBB86_14
.LBB86_8:
                                        ; implicit-def: $vgpr15
                                        ; implicit-def: $vgpr9
                                        ; implicit-def: $vgpr11
                                        ; implicit-def: $vgpr13
.LBB86_9:
	v_mov_b32_e32 v15, 0
	v_mov_b32_e32 v14, v15
	;; [unrolled: 1-line block ×8, first 2 shown]
	s_and_saveexec_b64 s[4:5], s[2:3]
	s_cbranch_execz .LBB86_13
; %bb.10:
	v_mad_u64_u32 v[16:17], s[2:3], v0, 12, 11
	v_mov_b32_e32 v19, 0
	s_mov_b64 s[2:3], 0
	v_mov_b32_e32 v12, v19
	v_mov_b32_e32 v13, v19
	;; [unrolled: 1-line block ×8, first 2 shown]
.LBB86_11:                              ; =>This Inner Loop Header: Depth=1
	v_ashrrev_i32_e32 v1, 31, v0
	v_lshl_add_u64 v[22:23], v[0:1], 2, s[6:7]
	global_load_dword v1, v[22:23], off
	v_add_u32_e32 v18, -11, v16
	v_add_u32_e32 v22, -5, v16
	v_mov_b32_e32 v23, v19
	v_add_u32_e32 v24, -2, v16
	v_mov_b32_e32 v31, v19
	v_mov_b32_e32 v25, v19
	v_lshl_add_u64 v[32:33], v[18:19], 3, s[8:9]
	v_lshl_add_u64 v[34:35], v[22:23], 3, s[8:9]
	;; [unrolled: 1-line block ×3, first 2 shown]
	global_load_dwordx4 v[22:25], v[32:33], off
	global_load_dwordx4 v[26:29], v[32:33], off offset:16
	global_load_dwordx2 v[40:41], v[34:35], off
	global_load_dwordx2 v[42:43], v[36:37], off
	v_mov_b32_e32 v17, v19
	v_lshl_add_u64 v[38:39], v[16:17], 3, s[8:9]
	v_add_u32_e32 v0, 16, v0
	v_cmp_ge_i32_e32 vcc, v0, v20
	s_or_b64 s[2:3], vcc, s[2:3]
	s_waitcnt vmcnt(4)
	v_subrev_u32_e32 v1, s12, v1
	v_lshl_add_u32 v30, v1, 1, v1
	v_add_u32_e32 v18, 1, v30
	v_lshl_add_u64 v[32:33], v[30:31], 3, s[10:11]
	v_lshl_add_u64 v[34:35], v[18:19], 3, s[10:11]
	v_add_u32_e32 v18, -7, v16
	global_load_dwordx2 v[32:33], v[32:33], off
	v_lshl_add_u64 v[36:37], v[18:19], 3, s[8:9]
	v_add_u32_e32 v18, -4, v16
	v_lshl_add_u64 v[44:45], v[18:19], 3, s[8:9]
	v_add_u32_e32 v18, -1, v16
	global_load_dwordx2 v[34:35], v[34:35], off
	v_lshl_add_u64 v[46:47], v[18:19], 3, s[8:9]
	global_load_dwordx2 v[36:37], v[36:37], off
	v_add_u32_e32 v18, 2, v30
	global_load_dwordx2 v[44:45], v[44:45], off
	s_waitcnt vmcnt(5)
	v_xor_b32_e32 v56, 0x80000000, v41
	global_load_dwordx2 v[30:31], v[46:47], off
	v_lshl_add_u64 v[46:47], v[18:19], 3, s[10:11]
	v_add_u32_e32 v18, -6, v16
	v_lshl_add_u64 v[48:49], v[18:19], 3, s[8:9]
	v_add_u32_e32 v18, -3, v16
	global_load_dwordx2 v[46:47], v[46:47], off
	v_lshl_add_u64 v[50:51], v[18:19], 3, s[8:9]
	global_load_dwordx2 v[48:49], v[48:49], off
	s_nop 0
	global_load_dwordx2 v[52:53], v[50:51], off
	global_load_dwordx2 v[54:55], v[38:39], off
	v_xor_b32_e32 v50, 0x80000000, v29
	v_mov_b32_e32 v51, v28
	v_mov_b32_e32 v57, v40
	s_waitcnt vmcnt(9)
	v_xor_b32_e32 v58, 0x80000000, v43
	v_mov_b32_e32 v59, v42
	v_xor_b32_e32 v38, 0x80000000, v25
	v_mov_b32_e32 v39, v24
	v_add_u32_e32 v16, 0xc0, v16
	s_waitcnt vmcnt(8)
	v_pk_fma_f32 v[12:13], v[28:29], v[32:33], v[12:13] op_sel_hi:[1,0,1]
	v_pk_fma_f32 v[14:15], v[22:23], v[32:33], v[14:15] op_sel_hi:[1,0,1]
	;; [unrolled: 1-line block ×3, first 2 shown]
	v_pk_fma_f32 v[12:13], v[50:51], v[32:33], v[12:13] op_sel:[0,1,0]
	v_pk_fma_f32 v[8:9], v[42:43], v[32:33], v[8:9] op_sel_hi:[1,0,1]
	v_pk_fma_f32 v[14:15], v[22:23], v[32:33], v[14:15] op_sel:[1,1,0] op_sel_hi:[0,1,1] neg_lo:[1,0,0]
	v_pk_fma_f32 v[10:11], v[56:57], v[32:33], v[10:11] op_sel:[0,1,0]
	s_waitcnt vmcnt(6)
	v_xor_b32_e32 v22, 0x80000000, v37
	v_pk_fma_f32 v[12:13], v[36:37], v[34:35], v[12:13] op_sel_hi:[1,0,1]
	v_mov_b32_e32 v23, v36
	v_pk_fma_f32 v[8:9], v[58:59], v[32:33], v[8:9] op_sel:[0,1,0]
	v_pk_fma_f32 v[12:13], v[22:23], v[34:35], v[12:13] op_sel:[0,1,0]
	s_waitcnt vmcnt(5)
	v_xor_b32_e32 v22, 0x80000000, v45
	v_pk_fma_f32 v[10:11], v[44:45], v[34:35], v[10:11] op_sel_hi:[1,0,1]
	v_mov_b32_e32 v23, v44
	v_pk_fma_f32 v[14:15], v[24:25], v[34:35], v[14:15] op_sel_hi:[1,0,1]
	v_pk_fma_f32 v[10:11], v[22:23], v[34:35], v[10:11] op_sel:[0,1,0]
	s_waitcnt vmcnt(4)
	v_xor_b32_e32 v22, 0x80000000, v31
	v_pk_fma_f32 v[8:9], v[30:31], v[34:35], v[8:9] op_sel_hi:[1,0,1]
	v_mov_b32_e32 v23, v30
	v_pk_fma_f32 v[14:15], v[38:39], v[34:35], v[14:15] op_sel:[0,1,0]
	v_pk_fma_f32 v[8:9], v[22:23], v[34:35], v[8:9] op_sel:[0,1,0]
	s_waitcnt vmcnt(2)
	v_xor_b32_e32 v22, 0x80000000, v49
	v_pk_fma_f32 v[12:13], v[48:49], v[46:47], v[12:13] op_sel_hi:[1,0,1]
	v_mov_b32_e32 v23, v48
	v_pk_fma_f32 v[14:15], v[26:27], v[46:47], v[14:15] op_sel_hi:[1,0,1]
	v_pk_fma_f32 v[12:13], v[22:23], v[46:47], v[12:13] op_sel:[0,1,0]
	s_waitcnt vmcnt(1)
	v_xor_b32_e32 v22, 0x80000000, v53
	v_pk_fma_f32 v[10:11], v[52:53], v[46:47], v[10:11] op_sel_hi:[1,0,1]
	v_mov_b32_e32 v23, v52
	s_waitcnt vmcnt(0)
	v_xor_b32_e32 v24, 0x80000000, v55
	v_pk_fma_f32 v[8:9], v[54:55], v[46:47], v[8:9] op_sel_hi:[1,0,1]
	v_mov_b32_e32 v25, v54
	v_pk_fma_f32 v[14:15], v[26:27], v[46:47], v[14:15] op_sel:[1,1,0] op_sel_hi:[0,1,1] neg_lo:[1,0,0]
	v_pk_fma_f32 v[10:11], v[22:23], v[46:47], v[10:11] op_sel:[0,1,0]
	v_pk_fma_f32 v[8:9], v[24:25], v[46:47], v[8:9] op_sel:[0,1,0]
	s_andn2_b64 exec, exec, s[2:3]
	s_cbranch_execnz .LBB86_11
; %bb.12:
	s_or_b64 exec, exec, s[2:3]
.LBB86_13:
	s_or_b64 exec, exec, s[4:5]
.LBB86_14:
	v_mov_b32_dpp v16, v12 row_shr:1 row_mask:0xf bank_mask:0xf
	v_add_f32_e32 v12, v12, v16
	v_mov_b32_dpp v0, v14 row_shr:1 row_mask:0xf bank_mask:0xf
	v_add_f32_e32 v0, v14, v0
	;; [unrolled: 2-line block ×6, first 2 shown]
	v_mov_b32_dpp v1, v0 row_shr:2 row_mask:0xf bank_mask:0xf
	v_mov_b32_dpp v15, v14 row_shr:2 row_mask:0xf bank_mask:0xf
	;; [unrolled: 1-line block ×3, first 2 shown]
	v_add_f32_e32 v12, v12, v13
	v_add_f32_e32 v0, v0, v1
	;; [unrolled: 1-line block ×3, first 2 shown]
	v_mov_b32_dpp v13, v12 row_shr:4 row_mask:0xf bank_mask:0xe
	v_add_f32_e32 v13, v12, v13
	v_mov_b32_dpp v12, v10 row_shr:1 row_mask:0xf bank_mask:0xf
	v_add_f32_e32 v10, v10, v12
	v_mov_b32_dpp v1, v0 row_shr:4 row_mask:0xf bank_mask:0xe
	v_mov_b32_dpp v15, v14 row_shr:4 row_mask:0xf bank_mask:0xe
	;; [unrolled: 1-line block ×3, first 2 shown]
	v_add_f32_e32 v10, v10, v12
	v_add_f32_e32 v0, v0, v1
	;; [unrolled: 1-line block ×3, first 2 shown]
	v_mov_b32_dpp v12, v10 row_shr:4 row_mask:0xf bank_mask:0xe
	v_add_f32_e32 v19, v10, v12
	v_mov_b32_dpp v10, v11 row_shr:1 row_mask:0xf bank_mask:0xf
	v_add_f32_e32 v10, v11, v10
	v_mov_b32_dpp v1, v0 row_shr:8 row_mask:0xf bank_mask:0xc
	v_mov_b32_dpp v15, v14 row_shr:8 row_mask:0xf bank_mask:0xc
	;; [unrolled: 1-line block ×3, first 2 shown]
	v_add_f32_e32 v10, v10, v11
	v_mov_b32_dpp v17, v16 row_shr:8 row_mask:0xf bank_mask:0xc
	v_mov_b32_dpp v18, v13 row_shr:8 row_mask:0xf bank_mask:0xc
	;; [unrolled: 1-line block ×3, first 2 shown]
	v_add_f32_e32 v11, v10, v11
	v_mov_b32_dpp v10, v8 row_shr:1 row_mask:0xf bank_mask:0xf
	v_add_f32_e32 v8, v8, v10
	v_mov_b32_dpp v21, v19 row_shr:8 row_mask:0xf bank_mask:0xc
	v_mov_b32_dpp v22, v11 row_shr:8 row_mask:0xf bank_mask:0xc
	v_mov_b32_dpp v10, v8 row_shr:2 row_mask:0xf bank_mask:0xf
	v_add_f32_e32 v8, v8, v10
	v_cmp_eq_u32_e32 vcc, 15, v7
	s_nop 0
	v_mov_b32_dpp v10, v8 row_shr:4 row_mask:0xf bank_mask:0xe
	v_add_f32_e32 v23, v8, v10
	v_mov_b32_dpp v8, v9 row_shr:1 row_mask:0xf bank_mask:0xf
	v_add_f32_e32 v8, v9, v8
	v_mov_b32_dpp v24, v23 row_shr:8 row_mask:0xf bank_mask:0xc
	s_nop 0
	v_mov_b32_dpp v9, v8 row_shr:2 row_mask:0xf bank_mask:0xf
	v_add_f32_e32 v8, v8, v9
	s_nop 1
	v_mov_b32_dpp v9, v8 row_shr:4 row_mask:0xf bank_mask:0xe
	v_add_f32_e32 v9, v8, v9
	s_nop 1
	v_mov_b32_dpp v25, v9 row_shr:8 row_mask:0xf bank_mask:0xc
	s_and_b64 exec, exec, vcc
	s_cbranch_execz .LBB86_19
; %bb.15:
	s_load_dwordx2 s[2:3], s[0:1], 0x38
	v_cmp_eq_f32_e32 vcc, 0, v4
	v_cmp_eq_f32_e64 s[0:1], 0, v5
	v_add_f32_e32 v12, v0, v1
	v_add_f32_e32 v20, v14, v15
	;; [unrolled: 1-line block ×8, first 2 shown]
	s_and_b64 s[0:1], vcc, s[0:1]
	s_and_saveexec_b64 s[4:5], s[0:1]
	s_xor_b64 s[0:1], exec, s[4:5]
	s_cbranch_execz .LBB86_17
; %bb.16:
	v_lshlrev_b32_e32 v4, 2, v6
	v_xor_b32_e32 v22, 0x80000000, v3
	v_ashrrev_i32_e32 v5, 31, v4
	v_mov_b32_e32 v23, v2
	s_waitcnt lgkmcnt(0)
	v_lshl_add_u64 v[24:25], v[4:5], 3, s[2:3]
	v_pk_mul_f32 v[4:5], v[20:21], v[22:23] op_sel_hi:[0,1]
	v_pk_mul_f32 v[6:7], v[18:19], v[22:23] op_sel_hi:[0,1]
	v_pk_fma_f32 v[4:5], v[2:3], v[12:13], v[4:5] op_sel_hi:[1,0,1]
	v_pk_fma_f32 v[6:7], v[2:3], v[10:11], v[6:7] op_sel_hi:[1,0,1]
	global_store_dwordx4 v[24:25], v[4:7], off
                                        ; implicit-def: $vgpr12
                                        ; implicit-def: $vgpr20
                                        ; implicit-def: $vgpr10
                                        ; implicit-def: $vgpr18
	s_nop 1
	v_pk_mul_f32 v[4:5], v[16:17], v[22:23] op_sel_hi:[0,1]
	v_pk_mul_f32 v[6:7], v[14:15], v[22:23] op_sel_hi:[0,1]
	v_pk_fma_f32 v[4:5], v[2:3], v[8:9], v[4:5] op_sel_hi:[1,0,1]
	v_pk_fma_f32 v[6:7], v[2:3], v[0:1], v[6:7] op_sel_hi:[1,0,1]
	global_store_dwordx4 v[24:25], v[4:7], off offset:16
                                        ; implicit-def: $vgpr6
                                        ; implicit-def: $vgpr8
                                        ; implicit-def: $vgpr16
                                        ; implicit-def: $vgpr0
                                        ; implicit-def: $vgpr14
                                        ; implicit-def: $vgpr2_vgpr3
                                        ; implicit-def: $vgpr4_vgpr5
.LBB86_17:
	s_andn2_saveexec_b64 s[0:1], s[0:1]
	s_cbranch_execz .LBB86_19
; %bb.18:
	v_lshlrev_b32_e32 v6, 2, v6
	v_ashrrev_i32_e32 v7, 31, v6
	s_waitcnt lgkmcnt(0)
	v_lshl_add_u64 v[30:31], v[6:7], 3, s[2:3]
	global_load_dwordx4 v[22:25], v[30:31], off
	global_load_dwordx4 v[26:29], v[30:31], off offset:16
	v_xor_b32_e32 v6, 0x80000000, v3
	v_mov_b32_e32 v7, v2
	v_pk_mul_f32 v[20:21], v[20:21], v[6:7] op_sel_hi:[0,1]
	v_pk_mul_f32 v[18:19], v[18:19], v[6:7] op_sel_hi:[0,1]
	;; [unrolled: 1-line block ×4, first 2 shown]
	v_pk_fma_f32 v[12:13], v[2:3], v[12:13], v[20:21] op_sel_hi:[1,0,1]
	v_pk_fma_f32 v[10:11], v[2:3], v[10:11], v[18:19] op_sel_hi:[1,0,1]
	v_xor_b32_e32 v32, 0x80000000, v5
	v_mov_b32_e32 v33, v4
	v_pk_fma_f32 v[8:9], v[2:3], v[8:9], v[16:17] op_sel_hi:[1,0,1]
	v_pk_fma_f32 v[0:1], v[2:3], v[0:1], v[6:7] op_sel_hi:[1,0,1]
	s_waitcnt vmcnt(1)
	v_pk_fma_f32 v[2:3], v[4:5], v[22:23], v[12:13] op_sel_hi:[1,0,1]
	v_pk_fma_f32 v[6:7], v[4:5], v[24:25], v[10:11] op_sel_hi:[1,0,1]
	v_mov_b32_e32 v10, v25
	s_waitcnt vmcnt(0)
	v_pk_fma_f32 v[8:9], v[4:5], v[26:27], v[8:9] op_sel_hi:[1,0,1]
	v_pk_fma_f32 v[12:13], v[4:5], v[28:29], v[0:1] op_sel_hi:[1,0,1]
	v_mov_b32_e32 v14, v29
	v_pk_fma_f32 v[0:1], v[32:33], v[22:23], v[2:3] op_sel:[0,1,0]
	v_pk_fma_f32 v[2:3], v[32:33], v[10:11], v[6:7] op_sel_hi:[1,0,1]
	v_pk_fma_f32 v[4:5], v[32:33], v[26:27], v[8:9] op_sel:[0,1,0]
	v_pk_fma_f32 v[6:7], v[32:33], v[14:15], v[12:13] op_sel_hi:[1,0,1]
	global_store_dwordx4 v[30:31], v[0:3], off
	global_store_dwordx4 v[30:31], v[4:7], off offset:16
.LBB86_19:
	s_endpgm
	.section	.rodata,"a",@progbits
	.p2align	6, 0x0
	.amdhsa_kernel _ZN9rocsparseL19gebsrmvn_4xn_kernelILj128ELj3ELj16E21rocsparse_complex_numIfEEEvi20rocsparse_direction_NS_24const_host_device_scalarIT2_EEPKiS8_PKS5_SA_S6_PS5_21rocsparse_index_base_b
		.amdhsa_group_segment_fixed_size 0
		.amdhsa_private_segment_fixed_size 0
		.amdhsa_kernarg_size 72
		.amdhsa_user_sgpr_count 2
		.amdhsa_user_sgpr_dispatch_ptr 0
		.amdhsa_user_sgpr_queue_ptr 0
		.amdhsa_user_sgpr_kernarg_segment_ptr 1
		.amdhsa_user_sgpr_dispatch_id 0
		.amdhsa_user_sgpr_kernarg_preload_length 0
		.amdhsa_user_sgpr_kernarg_preload_offset 0
		.amdhsa_user_sgpr_private_segment_size 0
		.amdhsa_uses_dynamic_stack 0
		.amdhsa_enable_private_segment 0
		.amdhsa_system_sgpr_workgroup_id_x 1
		.amdhsa_system_sgpr_workgroup_id_y 0
		.amdhsa_system_sgpr_workgroup_id_z 0
		.amdhsa_system_sgpr_workgroup_info 0
		.amdhsa_system_vgpr_workitem_id 0
		.amdhsa_next_free_vgpr 64
		.amdhsa_next_free_sgpr 16
		.amdhsa_accum_offset 64
		.amdhsa_reserve_vcc 1
		.amdhsa_float_round_mode_32 0
		.amdhsa_float_round_mode_16_64 0
		.amdhsa_float_denorm_mode_32 3
		.amdhsa_float_denorm_mode_16_64 3
		.amdhsa_dx10_clamp 1
		.amdhsa_ieee_mode 1
		.amdhsa_fp16_overflow 0
		.amdhsa_tg_split 0
		.amdhsa_exception_fp_ieee_invalid_op 0
		.amdhsa_exception_fp_denorm_src 0
		.amdhsa_exception_fp_ieee_div_zero 0
		.amdhsa_exception_fp_ieee_overflow 0
		.amdhsa_exception_fp_ieee_underflow 0
		.amdhsa_exception_fp_ieee_inexact 0
		.amdhsa_exception_int_div_zero 0
	.end_amdhsa_kernel
	.section	.text._ZN9rocsparseL19gebsrmvn_4xn_kernelILj128ELj3ELj16E21rocsparse_complex_numIfEEEvi20rocsparse_direction_NS_24const_host_device_scalarIT2_EEPKiS8_PKS5_SA_S6_PS5_21rocsparse_index_base_b,"axG",@progbits,_ZN9rocsparseL19gebsrmvn_4xn_kernelILj128ELj3ELj16E21rocsparse_complex_numIfEEEvi20rocsparse_direction_NS_24const_host_device_scalarIT2_EEPKiS8_PKS5_SA_S6_PS5_21rocsparse_index_base_b,comdat
.Lfunc_end86:
	.size	_ZN9rocsparseL19gebsrmvn_4xn_kernelILj128ELj3ELj16E21rocsparse_complex_numIfEEEvi20rocsparse_direction_NS_24const_host_device_scalarIT2_EEPKiS8_PKS5_SA_S6_PS5_21rocsparse_index_base_b, .Lfunc_end86-_ZN9rocsparseL19gebsrmvn_4xn_kernelILj128ELj3ELj16E21rocsparse_complex_numIfEEEvi20rocsparse_direction_NS_24const_host_device_scalarIT2_EEPKiS8_PKS5_SA_S6_PS5_21rocsparse_index_base_b
                                        ; -- End function
	.set _ZN9rocsparseL19gebsrmvn_4xn_kernelILj128ELj3ELj16E21rocsparse_complex_numIfEEEvi20rocsparse_direction_NS_24const_host_device_scalarIT2_EEPKiS8_PKS5_SA_S6_PS5_21rocsparse_index_base_b.num_vgpr, 64
	.set _ZN9rocsparseL19gebsrmvn_4xn_kernelILj128ELj3ELj16E21rocsparse_complex_numIfEEEvi20rocsparse_direction_NS_24const_host_device_scalarIT2_EEPKiS8_PKS5_SA_S6_PS5_21rocsparse_index_base_b.num_agpr, 0
	.set _ZN9rocsparseL19gebsrmvn_4xn_kernelILj128ELj3ELj16E21rocsparse_complex_numIfEEEvi20rocsparse_direction_NS_24const_host_device_scalarIT2_EEPKiS8_PKS5_SA_S6_PS5_21rocsparse_index_base_b.numbered_sgpr, 16
	.set _ZN9rocsparseL19gebsrmvn_4xn_kernelILj128ELj3ELj16E21rocsparse_complex_numIfEEEvi20rocsparse_direction_NS_24const_host_device_scalarIT2_EEPKiS8_PKS5_SA_S6_PS5_21rocsparse_index_base_b.num_named_barrier, 0
	.set _ZN9rocsparseL19gebsrmvn_4xn_kernelILj128ELj3ELj16E21rocsparse_complex_numIfEEEvi20rocsparse_direction_NS_24const_host_device_scalarIT2_EEPKiS8_PKS5_SA_S6_PS5_21rocsparse_index_base_b.private_seg_size, 0
	.set _ZN9rocsparseL19gebsrmvn_4xn_kernelILj128ELj3ELj16E21rocsparse_complex_numIfEEEvi20rocsparse_direction_NS_24const_host_device_scalarIT2_EEPKiS8_PKS5_SA_S6_PS5_21rocsparse_index_base_b.uses_vcc, 1
	.set _ZN9rocsparseL19gebsrmvn_4xn_kernelILj128ELj3ELj16E21rocsparse_complex_numIfEEEvi20rocsparse_direction_NS_24const_host_device_scalarIT2_EEPKiS8_PKS5_SA_S6_PS5_21rocsparse_index_base_b.uses_flat_scratch, 0
	.set _ZN9rocsparseL19gebsrmvn_4xn_kernelILj128ELj3ELj16E21rocsparse_complex_numIfEEEvi20rocsparse_direction_NS_24const_host_device_scalarIT2_EEPKiS8_PKS5_SA_S6_PS5_21rocsparse_index_base_b.has_dyn_sized_stack, 0
	.set _ZN9rocsparseL19gebsrmvn_4xn_kernelILj128ELj3ELj16E21rocsparse_complex_numIfEEEvi20rocsparse_direction_NS_24const_host_device_scalarIT2_EEPKiS8_PKS5_SA_S6_PS5_21rocsparse_index_base_b.has_recursion, 0
	.set _ZN9rocsparseL19gebsrmvn_4xn_kernelILj128ELj3ELj16E21rocsparse_complex_numIfEEEvi20rocsparse_direction_NS_24const_host_device_scalarIT2_EEPKiS8_PKS5_SA_S6_PS5_21rocsparse_index_base_b.has_indirect_call, 0
	.section	.AMDGPU.csdata,"",@progbits
; Kernel info:
; codeLenInByte = 2440
; TotalNumSgprs: 22
; NumVgprs: 64
; NumAgprs: 0
; TotalNumVgprs: 64
; ScratchSize: 0
; MemoryBound: 0
; FloatMode: 240
; IeeeMode: 1
; LDSByteSize: 0 bytes/workgroup (compile time only)
; SGPRBlocks: 2
; VGPRBlocks: 7
; NumSGPRsForWavesPerEU: 22
; NumVGPRsForWavesPerEU: 64
; AccumOffset: 64
; Occupancy: 8
; WaveLimiterHint : 1
; COMPUTE_PGM_RSRC2:SCRATCH_EN: 0
; COMPUTE_PGM_RSRC2:USER_SGPR: 2
; COMPUTE_PGM_RSRC2:TRAP_HANDLER: 0
; COMPUTE_PGM_RSRC2:TGID_X_EN: 1
; COMPUTE_PGM_RSRC2:TGID_Y_EN: 0
; COMPUTE_PGM_RSRC2:TGID_Z_EN: 0
; COMPUTE_PGM_RSRC2:TIDIG_COMP_CNT: 0
; COMPUTE_PGM_RSRC3_GFX90A:ACCUM_OFFSET: 15
; COMPUTE_PGM_RSRC3_GFX90A:TG_SPLIT: 0
	.section	.text._ZN9rocsparseL19gebsrmvn_4xn_kernelILj128ELj3ELj32E21rocsparse_complex_numIfEEEvi20rocsparse_direction_NS_24const_host_device_scalarIT2_EEPKiS8_PKS5_SA_S6_PS5_21rocsparse_index_base_b,"axG",@progbits,_ZN9rocsparseL19gebsrmvn_4xn_kernelILj128ELj3ELj32E21rocsparse_complex_numIfEEEvi20rocsparse_direction_NS_24const_host_device_scalarIT2_EEPKiS8_PKS5_SA_S6_PS5_21rocsparse_index_base_b,comdat
	.globl	_ZN9rocsparseL19gebsrmvn_4xn_kernelILj128ELj3ELj32E21rocsparse_complex_numIfEEEvi20rocsparse_direction_NS_24const_host_device_scalarIT2_EEPKiS8_PKS5_SA_S6_PS5_21rocsparse_index_base_b ; -- Begin function _ZN9rocsparseL19gebsrmvn_4xn_kernelILj128ELj3ELj32E21rocsparse_complex_numIfEEEvi20rocsparse_direction_NS_24const_host_device_scalarIT2_EEPKiS8_PKS5_SA_S6_PS5_21rocsparse_index_base_b
	.p2align	8
	.type	_ZN9rocsparseL19gebsrmvn_4xn_kernelILj128ELj3ELj32E21rocsparse_complex_numIfEEEvi20rocsparse_direction_NS_24const_host_device_scalarIT2_EEPKiS8_PKS5_SA_S6_PS5_21rocsparse_index_base_b,@function
_ZN9rocsparseL19gebsrmvn_4xn_kernelILj128ELj3ELj32E21rocsparse_complex_numIfEEEvi20rocsparse_direction_NS_24const_host_device_scalarIT2_EEPKiS8_PKS5_SA_S6_PS5_21rocsparse_index_base_b: ; @_ZN9rocsparseL19gebsrmvn_4xn_kernelILj128ELj3ELj32E21rocsparse_complex_numIfEEEvi20rocsparse_direction_NS_24const_host_device_scalarIT2_EEPKiS8_PKS5_SA_S6_PS5_21rocsparse_index_base_b
; %bb.0:
	s_load_dwordx2 s[4:5], s[0:1], 0x8
	s_load_dwordx2 s[6:7], s[0:1], 0x30
	;; [unrolled: 1-line block ×3, first 2 shown]
	s_add_u32 s3, s0, 8
	s_addc_u32 s8, s1, 0
	s_add_u32 s9, s0, 48
	s_addc_u32 s10, s1, 0
	s_waitcnt lgkmcnt(0)
	s_bitcmp1_b32 s13, 0
	s_cselect_b32 s3, s3, s4
	s_cselect_b32 s5, s8, s5
	v_mov_b32_e32 v2, s3
	s_cselect_b32 s3, s10, s7
	s_cselect_b32 s4, s9, s6
	v_mov_b32_e32 v3, s5
	v_mov_b32_e32 v4, s4
	;; [unrolled: 1-line block ×3, first 2 shown]
	flat_load_dwordx2 v[2:3], v[2:3]
	s_waitcnt vmcnt(0) lgkmcnt(0)
	v_cmp_eq_f32_e32 vcc, 0, v2
	flat_load_dwordx2 v[4:5], v[4:5]
	v_cmp_eq_f32_e64 s[4:5], 0, v3
	s_and_b64 s[4:5], vcc, s[4:5]
	s_waitcnt vmcnt(0) lgkmcnt(0)
	v_cmp_eq_f32_e64 s[6:7], 1.0, v4
	v_cmp_eq_f32_e64 s[8:9], 0, v5
	s_and_b64 s[6:7], s[6:7], s[8:9]
	s_and_b64 s[4:5], s[4:5], s[6:7]
	s_xor_b64 s[4:5], s[4:5], -1
	s_and_saveexec_b64 s[6:7], s[4:5]
	s_cbranch_execz .LBB87_19
; %bb.1:
	s_load_dwordx2 s[14:15], s[0:1], 0x0
	v_lshrrev_b32_e32 v1, 5, v0
	v_lshl_or_b32 v6, s2, 2, v1
	s_waitcnt lgkmcnt(0)
	v_cmp_gt_i32_e32 vcc, s14, v6
	s_and_b64 exec, exec, vcc
	s_cbranch_execz .LBB87_19
; %bb.2:
	s_load_dwordx8 s[4:11], s[0:1], 0x10
	v_ashrrev_i32_e32 v7, 31, v6
	s_cmp_lg_u32 s15, 0
	s_waitcnt lgkmcnt(0)
	v_lshl_add_u64 v[8:9], v[6:7], 2, s[4:5]
	global_load_dwordx2 v[8:9], v[8:9], off
	v_and_b32_e32 v7, 31, v0
	s_waitcnt vmcnt(0)
	v_subrev_u32_e32 v0, s12, v8
	v_subrev_u32_e32 v20, s12, v9
	v_add_u32_e32 v8, v0, v7
	v_cmp_lt_i32_e64 s[2:3], v8, v20
	s_cbranch_scc0 .LBB87_8
; %bb.3:
	v_mov_b32_e32 v15, 0
	v_mov_b32_e32 v14, v15
	;; [unrolled: 1-line block ×8, first 2 shown]
	s_and_saveexec_b64 s[4:5], s[2:3]
	s_cbranch_execz .LBB87_7
; %bb.4:
	v_mov_b32_e32 v17, 0
	v_mul_lo_u32 v16, v8, 12
	s_mov_b64 s[14:15], 0
	v_mov_b32_e32 v18, v8
	v_mov_b32_e32 v12, v17
	;; [unrolled: 1-line block ×9, first 2 shown]
.LBB87_5:                               ; =>This Inner Loop Header: Depth=1
	v_ashrrev_i32_e32 v19, 31, v18
	v_lshl_add_u64 v[22:23], v[18:19], 2, s[6:7]
	global_load_dword v9, v[22:23], off
	v_add_u32_e32 v32, 4, v16
	v_mov_b32_e32 v33, v17
	v_lshl_add_u64 v[30:31], v[16:17], 3, s[8:9]
	v_mov_b32_e32 v47, v17
	v_add_u32_e32 v34, 8, v16
	v_mov_b32_e32 v35, v17
	v_lshl_add_u64 v[52:53], v[32:33], 3, s[8:9]
	global_load_dwordx4 v[22:25], v[30:31], off offset:16
	global_load_dwordx4 v[26:29], v[30:31], off
	v_lshl_add_u64 v[54:55], v[34:35], 3, s[8:9]
	global_load_dwordx4 v[30:33], v[52:53], off offset:16
	global_load_dwordx4 v[34:37], v[52:53], off
	global_load_dwordx4 v[38:41], v[54:55], off offset:16
	global_load_dwordx4 v[42:45], v[54:55], off
	v_mov_b32_e32 v49, v17
	v_mov_b32_e32 v51, v17
	v_add_u32_e32 v18, 32, v18
	v_cmp_ge_i32_e32 vcc, v18, v20
	v_add_u32_e32 v16, 0x180, v16
	s_or_b64 s[14:15], vcc, s[14:15]
	s_waitcnt vmcnt(6)
	v_subrev_u32_e32 v9, s12, v9
	v_lshl_add_u32 v46, v9, 1, v9
	v_lshl_add_u64 v[52:53], v[46:47], 3, s[10:11]
	v_add_u32_e32 v48, 1, v46
	v_add_u32_e32 v50, 2, v46
	global_load_dwordx2 v[46:47], v[52:53], off
	v_lshl_add_u64 v[48:49], v[48:49], 3, s[10:11]
	v_lshl_add_u64 v[50:51], v[50:51], 3, s[10:11]
	global_load_dwordx2 v[52:53], v[48:49], off
	global_load_dwordx2 v[54:55], v[50:51], off
	s_waitcnt vmcnt(7)
	v_xor_b32_e32 v48, 0x80000000, v29
	v_mov_b32_e32 v49, v28
	v_xor_b32_e32 v50, 0x80000000, v25
	v_mov_b32_e32 v51, v24
	s_waitcnt vmcnt(5)
	v_xor_b32_e32 v56, 0x80000000, v37
	v_mov_b32_e32 v57, v36
	v_xor_b32_e32 v60, 0x80000000, v33
	v_mov_b32_e32 v61, v32
	;; [unrolled: 5-line block ×3, first 2 shown]
	s_waitcnt vmcnt(2)
	v_pk_fma_f32 v[14:15], v[26:27], v[46:47], v[14:15] op_sel_hi:[1,0,1]
	v_pk_fma_f32 v[12:13], v[28:29], v[46:47], v[12:13] op_sel_hi:[1,0,1]
	v_pk_fma_f32 v[10:11], v[22:23], v[46:47], v[10:11] op_sel_hi:[1,0,1]
	v_pk_fma_f32 v[0:1], v[24:25], v[46:47], v[0:1] op_sel_hi:[1,0,1]
	v_pk_fma_f32 v[14:15], v[26:27], v[46:47], v[14:15] op_sel:[1,1,0] op_sel_hi:[0,1,1] neg_lo:[1,0,0]
	v_pk_fma_f32 v[12:13], v[48:49], v[46:47], v[12:13] op_sel:[0,1,0]
	v_pk_fma_f32 v[10:11], v[22:23], v[46:47], v[10:11] op_sel:[1,1,0] op_sel_hi:[0,1,1] neg_lo:[1,0,0]
	v_pk_fma_f32 v[0:1], v[50:51], v[46:47], v[0:1] op_sel:[0,1,0]
	s_waitcnt vmcnt(1)
	v_pk_fma_f32 v[14:15], v[34:35], v[52:53], v[14:15] op_sel_hi:[1,0,1]
	v_pk_fma_f32 v[12:13], v[36:37], v[52:53], v[12:13] op_sel_hi:[1,0,1]
	v_pk_fma_f32 v[10:11], v[30:31], v[52:53], v[10:11] op_sel_hi:[1,0,1]
	v_pk_fma_f32 v[0:1], v[32:33], v[52:53], v[0:1] op_sel_hi:[1,0,1]
	v_pk_fma_f32 v[14:15], v[34:35], v[52:53], v[14:15] op_sel:[1,1,0] op_sel_hi:[0,1,1] neg_lo:[1,0,0]
	v_pk_fma_f32 v[12:13], v[56:57], v[52:53], v[12:13] op_sel:[0,1,0]
	v_pk_fma_f32 v[10:11], v[30:31], v[52:53], v[10:11] op_sel:[1,1,0] op_sel_hi:[0,1,1] neg_lo:[1,0,0]
	v_pk_fma_f32 v[0:1], v[60:61], v[52:53], v[0:1] op_sel:[0,1,0]
	;; [unrolled: 9-line block ×3, first 2 shown]
	s_andn2_b64 exec, exec, s[14:15]
	s_cbranch_execnz .LBB87_5
; %bb.6:
	s_or_b64 exec, exec, s[14:15]
.LBB87_7:
	s_or_b64 exec, exec, s[4:5]
	s_cbranch_execz .LBB87_9
	s_branch .LBB87_14
.LBB87_8:
                                        ; implicit-def: $vgpr15
                                        ; implicit-def: $vgpr1
                                        ; implicit-def: $vgpr11
                                        ; implicit-def: $vgpr13
.LBB87_9:
	v_mov_b32_e32 v15, 0
	v_mov_b32_e32 v14, v15
	;; [unrolled: 1-line block ×8, first 2 shown]
	s_and_saveexec_b64 s[4:5], s[2:3]
	s_cbranch_execz .LBB87_13
; %bb.10:
	v_mad_u64_u32 v[16:17], s[2:3], v8, 12, 11
	v_mov_b32_e32 v19, 0
	s_mov_b64 s[2:3], 0
	v_mov_b32_e32 v12, v19
	v_mov_b32_e32 v13, v19
	;; [unrolled: 1-line block ×8, first 2 shown]
.LBB87_11:                              ; =>This Inner Loop Header: Depth=1
	v_ashrrev_i32_e32 v9, 31, v8
	v_lshl_add_u64 v[22:23], v[8:9], 2, s[6:7]
	global_load_dword v9, v[22:23], off
	v_add_u32_e32 v18, -11, v16
	v_add_u32_e32 v22, -5, v16
	v_mov_b32_e32 v23, v19
	v_add_u32_e32 v24, -2, v16
	v_mov_b32_e32 v31, v19
	v_mov_b32_e32 v25, v19
	v_lshl_add_u64 v[32:33], v[18:19], 3, s[8:9]
	v_lshl_add_u64 v[34:35], v[22:23], 3, s[8:9]
	;; [unrolled: 1-line block ×3, first 2 shown]
	global_load_dwordx4 v[22:25], v[32:33], off
	global_load_dwordx4 v[26:29], v[32:33], off offset:16
	global_load_dwordx2 v[40:41], v[34:35], off
	global_load_dwordx2 v[42:43], v[36:37], off
	v_mov_b32_e32 v17, v19
	v_lshl_add_u64 v[38:39], v[16:17], 3, s[8:9]
	v_add_u32_e32 v8, 32, v8
	v_cmp_ge_i32_e32 vcc, v8, v20
	s_or_b64 s[2:3], vcc, s[2:3]
	s_waitcnt vmcnt(4)
	v_subrev_u32_e32 v9, s12, v9
	v_lshl_add_u32 v30, v9, 1, v9
	v_add_u32_e32 v18, 1, v30
	v_lshl_add_u64 v[32:33], v[30:31], 3, s[10:11]
	v_lshl_add_u64 v[34:35], v[18:19], 3, s[10:11]
	v_add_u32_e32 v18, -7, v16
	global_load_dwordx2 v[32:33], v[32:33], off
	v_lshl_add_u64 v[36:37], v[18:19], 3, s[8:9]
	v_add_u32_e32 v18, -4, v16
	v_lshl_add_u64 v[44:45], v[18:19], 3, s[8:9]
	v_add_u32_e32 v18, -1, v16
	global_load_dwordx2 v[34:35], v[34:35], off
	v_lshl_add_u64 v[46:47], v[18:19], 3, s[8:9]
	global_load_dwordx2 v[36:37], v[36:37], off
	v_add_u32_e32 v18, 2, v30
	global_load_dwordx2 v[44:45], v[44:45], off
	s_waitcnt vmcnt(5)
	v_xor_b32_e32 v56, 0x80000000, v41
	global_load_dwordx2 v[30:31], v[46:47], off
	v_lshl_add_u64 v[46:47], v[18:19], 3, s[10:11]
	v_add_u32_e32 v18, -6, v16
	v_lshl_add_u64 v[48:49], v[18:19], 3, s[8:9]
	v_add_u32_e32 v18, -3, v16
	global_load_dwordx2 v[46:47], v[46:47], off
	v_lshl_add_u64 v[50:51], v[18:19], 3, s[8:9]
	global_load_dwordx2 v[48:49], v[48:49], off
	s_nop 0
	global_load_dwordx2 v[52:53], v[50:51], off
	global_load_dwordx2 v[54:55], v[38:39], off
	v_xor_b32_e32 v50, 0x80000000, v29
	v_mov_b32_e32 v51, v28
	v_mov_b32_e32 v57, v40
	s_waitcnt vmcnt(9)
	v_xor_b32_e32 v58, 0x80000000, v43
	v_mov_b32_e32 v59, v42
	v_xor_b32_e32 v38, 0x80000000, v25
	v_mov_b32_e32 v39, v24
	v_add_u32_e32 v16, 0x180, v16
	s_waitcnt vmcnt(8)
	v_pk_fma_f32 v[12:13], v[28:29], v[32:33], v[12:13] op_sel_hi:[1,0,1]
	v_pk_fma_f32 v[14:15], v[22:23], v[32:33], v[14:15] op_sel_hi:[1,0,1]
	;; [unrolled: 1-line block ×3, first 2 shown]
	v_pk_fma_f32 v[12:13], v[50:51], v[32:33], v[12:13] op_sel:[0,1,0]
	v_pk_fma_f32 v[0:1], v[42:43], v[32:33], v[0:1] op_sel_hi:[1,0,1]
	v_pk_fma_f32 v[14:15], v[22:23], v[32:33], v[14:15] op_sel:[1,1,0] op_sel_hi:[0,1,1] neg_lo:[1,0,0]
	v_pk_fma_f32 v[10:11], v[56:57], v[32:33], v[10:11] op_sel:[0,1,0]
	s_waitcnt vmcnt(6)
	v_xor_b32_e32 v22, 0x80000000, v37
	v_pk_fma_f32 v[12:13], v[36:37], v[34:35], v[12:13] op_sel_hi:[1,0,1]
	v_mov_b32_e32 v23, v36
	v_pk_fma_f32 v[0:1], v[58:59], v[32:33], v[0:1] op_sel:[0,1,0]
	v_pk_fma_f32 v[12:13], v[22:23], v[34:35], v[12:13] op_sel:[0,1,0]
	s_waitcnt vmcnt(5)
	v_xor_b32_e32 v22, 0x80000000, v45
	v_pk_fma_f32 v[10:11], v[44:45], v[34:35], v[10:11] op_sel_hi:[1,0,1]
	v_mov_b32_e32 v23, v44
	v_pk_fma_f32 v[14:15], v[24:25], v[34:35], v[14:15] op_sel_hi:[1,0,1]
	v_pk_fma_f32 v[10:11], v[22:23], v[34:35], v[10:11] op_sel:[0,1,0]
	s_waitcnt vmcnt(4)
	v_xor_b32_e32 v22, 0x80000000, v31
	v_pk_fma_f32 v[0:1], v[30:31], v[34:35], v[0:1] op_sel_hi:[1,0,1]
	v_mov_b32_e32 v23, v30
	v_pk_fma_f32 v[14:15], v[38:39], v[34:35], v[14:15] op_sel:[0,1,0]
	v_pk_fma_f32 v[0:1], v[22:23], v[34:35], v[0:1] op_sel:[0,1,0]
	s_waitcnt vmcnt(2)
	v_xor_b32_e32 v22, 0x80000000, v49
	v_pk_fma_f32 v[12:13], v[48:49], v[46:47], v[12:13] op_sel_hi:[1,0,1]
	v_mov_b32_e32 v23, v48
	v_pk_fma_f32 v[14:15], v[26:27], v[46:47], v[14:15] op_sel_hi:[1,0,1]
	v_pk_fma_f32 v[12:13], v[22:23], v[46:47], v[12:13] op_sel:[0,1,0]
	s_waitcnt vmcnt(1)
	v_xor_b32_e32 v22, 0x80000000, v53
	v_pk_fma_f32 v[10:11], v[52:53], v[46:47], v[10:11] op_sel_hi:[1,0,1]
	v_mov_b32_e32 v23, v52
	s_waitcnt vmcnt(0)
	v_xor_b32_e32 v24, 0x80000000, v55
	v_pk_fma_f32 v[0:1], v[54:55], v[46:47], v[0:1] op_sel_hi:[1,0,1]
	v_mov_b32_e32 v25, v54
	v_pk_fma_f32 v[14:15], v[26:27], v[46:47], v[14:15] op_sel:[1,1,0] op_sel_hi:[0,1,1] neg_lo:[1,0,0]
	v_pk_fma_f32 v[10:11], v[22:23], v[46:47], v[10:11] op_sel:[0,1,0]
	v_pk_fma_f32 v[0:1], v[24:25], v[46:47], v[0:1] op_sel:[0,1,0]
	s_andn2_b64 exec, exec, s[2:3]
	s_cbranch_execnz .LBB87_11
; %bb.12:
	s_or_b64 exec, exec, s[2:3]
.LBB87_13:
	s_or_b64 exec, exec, s[4:5]
.LBB87_14:
	v_mov_b32_dpp v16, v12 row_shr:1 row_mask:0xf bank_mask:0xf
	v_add_f32_e32 v12, v12, v16
	v_mov_b32_dpp v8, v14 row_shr:1 row_mask:0xf bank_mask:0xf
	v_add_f32_e32 v8, v14, v8
	v_mov_b32_dpp v16, v12 row_shr:2 row_mask:0xf bank_mask:0xf
	v_add_f32_e32 v12, v12, v16
	v_mov_b32_dpp v14, v15 row_shr:1 row_mask:0xf bank_mask:0xf
	v_add_f32_e32 v14, v15, v14
	v_mov_b32_dpp v16, v12 row_shr:4 row_mask:0xf bank_mask:0xe
	v_add_f32_e32 v12, v12, v16
	v_mov_b32_dpp v9, v8 row_shr:2 row_mask:0xf bank_mask:0xf
	v_mov_b32_dpp v15, v14 row_shr:2 row_mask:0xf bank_mask:0xf
	;; [unrolled: 1-line block ×3, first 2 shown]
	v_add_f32_e32 v16, v12, v16
	v_mov_b32_dpp v12, v13 row_shr:1 row_mask:0xf bank_mask:0xf
	v_add_f32_e32 v12, v13, v12
	v_add_f32_e32 v8, v8, v9
	;; [unrolled: 1-line block ×3, first 2 shown]
	v_mov_b32_dpp v13, v12 row_shr:2 row_mask:0xf bank_mask:0xf
	v_add_f32_e32 v12, v12, v13
	v_mov_b32_dpp v9, v8 row_shr:4 row_mask:0xf bank_mask:0xe
	v_mov_b32_dpp v15, v14 row_shr:4 row_mask:0xf bank_mask:0xe
	;; [unrolled: 1-line block ×3, first 2 shown]
	v_add_f32_e32 v12, v12, v13
	v_add_f32_e32 v8, v8, v9
	;; [unrolled: 1-line block ×3, first 2 shown]
	v_mov_b32_dpp v13, v12 row_shr:8 row_mask:0xf bank_mask:0xc
	v_add_f32_e32 v13, v12, v13
	v_mov_b32_dpp v12, v10 row_shr:1 row_mask:0xf bank_mask:0xf
	v_add_f32_e32 v10, v10, v12
	v_mov_b32_dpp v9, v8 row_shr:8 row_mask:0xf bank_mask:0xc
	v_mov_b32_dpp v15, v14 row_shr:8 row_mask:0xf bank_mask:0xc
	;; [unrolled: 1-line block ×3, first 2 shown]
	v_add_f32_e32 v10, v10, v12
	v_add_f32_e32 v8, v8, v9
	v_add_f32_e32 v14, v14, v15
	v_mov_b32_dpp v12, v10 row_shr:4 row_mask:0xf bank_mask:0xe
	v_add_f32_e32 v10, v10, v12
	v_mov_b32_dpp v9, v8 row_bcast:15 row_mask:0xa bank_mask:0xf
	v_mov_b32_dpp v15, v14 row_bcast:15 row_mask:0xa bank_mask:0xf
	v_mov_b32_dpp v12, v10 row_shr:8 row_mask:0xf bank_mask:0xc
	v_add_f32_e32 v19, v10, v12
	v_mov_b32_dpp v10, v11 row_shr:1 row_mask:0xf bank_mask:0xf
	v_add_f32_e32 v10, v11, v10
	v_mov_b32_dpp v17, v16 row_bcast:15 row_mask:0xa bank_mask:0xf
	v_mov_b32_dpp v18, v13 row_bcast:15 row_mask:0xa bank_mask:0xf
	v_mov_b32_dpp v11, v10 row_shr:2 row_mask:0xf bank_mask:0xf
	v_add_f32_e32 v10, v10, v11
	v_mov_b32_dpp v21, v19 row_bcast:15 row_mask:0xa bank_mask:0xf
	v_cmp_eq_u32_e32 vcc, 31, v7
	v_mov_b32_dpp v11, v10 row_shr:4 row_mask:0xf bank_mask:0xe
	v_add_f32_e32 v10, v10, v11
	s_nop 1
	v_mov_b32_dpp v11, v10 row_shr:8 row_mask:0xf bank_mask:0xc
	v_add_f32_e32 v11, v10, v11
	v_mov_b32_dpp v10, v0 row_shr:1 row_mask:0xf bank_mask:0xf
	v_add_f32_e32 v0, v0, v10
	v_mov_b32_dpp v22, v11 row_bcast:15 row_mask:0xa bank_mask:0xf
	s_nop 0
	v_mov_b32_dpp v10, v0 row_shr:2 row_mask:0xf bank_mask:0xf
	v_add_f32_e32 v0, v0, v10
	s_nop 1
	v_mov_b32_dpp v10, v0 row_shr:4 row_mask:0xf bank_mask:0xe
	v_add_f32_e32 v0, v0, v10
	;; [unrolled: 3-line block ×4, first 2 shown]
	v_mov_b32_dpp v23, v0 row_bcast:15 row_mask:0xa bank_mask:0xf
	s_nop 0
	v_mov_b32_dpp v10, v1 row_shr:2 row_mask:0xf bank_mask:0xf
	v_add_f32_e32 v1, v1, v10
	s_nop 1
	v_mov_b32_dpp v10, v1 row_shr:4 row_mask:0xf bank_mask:0xe
	v_add_f32_e32 v1, v1, v10
	;; [unrolled: 3-line block ×3, first 2 shown]
	s_nop 1
	v_mov_b32_dpp v24, v1 row_bcast:15 row_mask:0xa bank_mask:0xf
	s_and_b64 exec, exec, vcc
	s_cbranch_execz .LBB87_19
; %bb.15:
	s_load_dwordx2 s[2:3], s[0:1], 0x38
	v_cmp_eq_f32_e32 vcc, 0, v4
	v_cmp_eq_f32_e64 s[0:1], 0, v5
	v_add_f32_e32 v12, v8, v9
	v_add_f32_e32 v20, v14, v15
	;; [unrolled: 1-line block ×8, first 2 shown]
	s_and_b64 s[0:1], vcc, s[0:1]
	s_and_saveexec_b64 s[4:5], s[0:1]
	s_xor_b64 s[0:1], exec, s[4:5]
	s_cbranch_execz .LBB87_17
; %bb.16:
	v_lshlrev_b32_e32 v4, 2, v6
	v_xor_b32_e32 v22, 0x80000000, v3
	v_ashrrev_i32_e32 v5, 31, v4
	v_mov_b32_e32 v23, v2
	s_waitcnt lgkmcnt(0)
	v_lshl_add_u64 v[24:25], v[4:5], 3, s[2:3]
	v_pk_mul_f32 v[4:5], v[20:21], v[22:23] op_sel_hi:[0,1]
	v_pk_mul_f32 v[6:7], v[18:19], v[22:23] op_sel_hi:[0,1]
	v_pk_fma_f32 v[4:5], v[2:3], v[12:13], v[4:5] op_sel_hi:[1,0,1]
	v_pk_fma_f32 v[6:7], v[2:3], v[10:11], v[6:7] op_sel_hi:[1,0,1]
	global_store_dwordx4 v[24:25], v[4:7], off
                                        ; implicit-def: $vgpr12
                                        ; implicit-def: $vgpr20
                                        ; implicit-def: $vgpr10
                                        ; implicit-def: $vgpr18
	s_nop 1
	v_pk_mul_f32 v[4:5], v[16:17], v[22:23] op_sel_hi:[0,1]
	v_pk_mul_f32 v[6:7], v[14:15], v[22:23] op_sel_hi:[0,1]
	v_pk_fma_f32 v[4:5], v[2:3], v[8:9], v[4:5] op_sel_hi:[1,0,1]
	v_pk_fma_f32 v[6:7], v[2:3], v[0:1], v[6:7] op_sel_hi:[1,0,1]
	global_store_dwordx4 v[24:25], v[4:7], off offset:16
                                        ; implicit-def: $vgpr6
                                        ; implicit-def: $vgpr8
                                        ; implicit-def: $vgpr16
                                        ; implicit-def: $vgpr0
                                        ; implicit-def: $vgpr14
                                        ; implicit-def: $vgpr2_vgpr3
                                        ; implicit-def: $vgpr4_vgpr5
.LBB87_17:
	s_andn2_saveexec_b64 s[0:1], s[0:1]
	s_cbranch_execz .LBB87_19
; %bb.18:
	v_lshlrev_b32_e32 v6, 2, v6
	v_ashrrev_i32_e32 v7, 31, v6
	s_waitcnt lgkmcnt(0)
	v_lshl_add_u64 v[30:31], v[6:7], 3, s[2:3]
	global_load_dwordx4 v[22:25], v[30:31], off
	global_load_dwordx4 v[26:29], v[30:31], off offset:16
	v_xor_b32_e32 v6, 0x80000000, v3
	v_mov_b32_e32 v7, v2
	v_pk_mul_f32 v[20:21], v[20:21], v[6:7] op_sel_hi:[0,1]
	v_pk_mul_f32 v[18:19], v[18:19], v[6:7] op_sel_hi:[0,1]
	;; [unrolled: 1-line block ×4, first 2 shown]
	v_pk_fma_f32 v[12:13], v[2:3], v[12:13], v[20:21] op_sel_hi:[1,0,1]
	v_pk_fma_f32 v[10:11], v[2:3], v[10:11], v[18:19] op_sel_hi:[1,0,1]
	v_xor_b32_e32 v32, 0x80000000, v5
	v_mov_b32_e32 v33, v4
	v_pk_fma_f32 v[8:9], v[2:3], v[8:9], v[16:17] op_sel_hi:[1,0,1]
	v_pk_fma_f32 v[0:1], v[2:3], v[0:1], v[6:7] op_sel_hi:[1,0,1]
	s_waitcnt vmcnt(1)
	v_pk_fma_f32 v[2:3], v[4:5], v[22:23], v[12:13] op_sel_hi:[1,0,1]
	v_pk_fma_f32 v[6:7], v[4:5], v[24:25], v[10:11] op_sel_hi:[1,0,1]
	v_mov_b32_e32 v10, v25
	s_waitcnt vmcnt(0)
	v_pk_fma_f32 v[8:9], v[4:5], v[26:27], v[8:9] op_sel_hi:[1,0,1]
	v_pk_fma_f32 v[12:13], v[4:5], v[28:29], v[0:1] op_sel_hi:[1,0,1]
	v_mov_b32_e32 v14, v29
	v_pk_fma_f32 v[0:1], v[32:33], v[22:23], v[2:3] op_sel:[0,1,0]
	v_pk_fma_f32 v[2:3], v[32:33], v[10:11], v[6:7] op_sel_hi:[1,0,1]
	v_pk_fma_f32 v[4:5], v[32:33], v[26:27], v[8:9] op_sel:[0,1,0]
	v_pk_fma_f32 v[6:7], v[32:33], v[14:15], v[12:13] op_sel_hi:[1,0,1]
	global_store_dwordx4 v[30:31], v[0:3], off
	global_store_dwordx4 v[30:31], v[4:7], off offset:16
.LBB87_19:
	s_endpgm
	.section	.rodata,"a",@progbits
	.p2align	6, 0x0
	.amdhsa_kernel _ZN9rocsparseL19gebsrmvn_4xn_kernelILj128ELj3ELj32E21rocsparse_complex_numIfEEEvi20rocsparse_direction_NS_24const_host_device_scalarIT2_EEPKiS8_PKS5_SA_S6_PS5_21rocsparse_index_base_b
		.amdhsa_group_segment_fixed_size 0
		.amdhsa_private_segment_fixed_size 0
		.amdhsa_kernarg_size 72
		.amdhsa_user_sgpr_count 2
		.amdhsa_user_sgpr_dispatch_ptr 0
		.amdhsa_user_sgpr_queue_ptr 0
		.amdhsa_user_sgpr_kernarg_segment_ptr 1
		.amdhsa_user_sgpr_dispatch_id 0
		.amdhsa_user_sgpr_kernarg_preload_length 0
		.amdhsa_user_sgpr_kernarg_preload_offset 0
		.amdhsa_user_sgpr_private_segment_size 0
		.amdhsa_uses_dynamic_stack 0
		.amdhsa_enable_private_segment 0
		.amdhsa_system_sgpr_workgroup_id_x 1
		.amdhsa_system_sgpr_workgroup_id_y 0
		.amdhsa_system_sgpr_workgroup_id_z 0
		.amdhsa_system_sgpr_workgroup_info 0
		.amdhsa_system_vgpr_workitem_id 0
		.amdhsa_next_free_vgpr 64
		.amdhsa_next_free_sgpr 16
		.amdhsa_accum_offset 64
		.amdhsa_reserve_vcc 1
		.amdhsa_float_round_mode_32 0
		.amdhsa_float_round_mode_16_64 0
		.amdhsa_float_denorm_mode_32 3
		.amdhsa_float_denorm_mode_16_64 3
		.amdhsa_dx10_clamp 1
		.amdhsa_ieee_mode 1
		.amdhsa_fp16_overflow 0
		.amdhsa_tg_split 0
		.amdhsa_exception_fp_ieee_invalid_op 0
		.amdhsa_exception_fp_denorm_src 0
		.amdhsa_exception_fp_ieee_div_zero 0
		.amdhsa_exception_fp_ieee_overflow 0
		.amdhsa_exception_fp_ieee_underflow 0
		.amdhsa_exception_fp_ieee_inexact 0
		.amdhsa_exception_int_div_zero 0
	.end_amdhsa_kernel
	.section	.text._ZN9rocsparseL19gebsrmvn_4xn_kernelILj128ELj3ELj32E21rocsparse_complex_numIfEEEvi20rocsparse_direction_NS_24const_host_device_scalarIT2_EEPKiS8_PKS5_SA_S6_PS5_21rocsparse_index_base_b,"axG",@progbits,_ZN9rocsparseL19gebsrmvn_4xn_kernelILj128ELj3ELj32E21rocsparse_complex_numIfEEEvi20rocsparse_direction_NS_24const_host_device_scalarIT2_EEPKiS8_PKS5_SA_S6_PS5_21rocsparse_index_base_b,comdat
.Lfunc_end87:
	.size	_ZN9rocsparseL19gebsrmvn_4xn_kernelILj128ELj3ELj32E21rocsparse_complex_numIfEEEvi20rocsparse_direction_NS_24const_host_device_scalarIT2_EEPKiS8_PKS5_SA_S6_PS5_21rocsparse_index_base_b, .Lfunc_end87-_ZN9rocsparseL19gebsrmvn_4xn_kernelILj128ELj3ELj32E21rocsparse_complex_numIfEEEvi20rocsparse_direction_NS_24const_host_device_scalarIT2_EEPKiS8_PKS5_SA_S6_PS5_21rocsparse_index_base_b
                                        ; -- End function
	.set _ZN9rocsparseL19gebsrmvn_4xn_kernelILj128ELj3ELj32E21rocsparse_complex_numIfEEEvi20rocsparse_direction_NS_24const_host_device_scalarIT2_EEPKiS8_PKS5_SA_S6_PS5_21rocsparse_index_base_b.num_vgpr, 64
	.set _ZN9rocsparseL19gebsrmvn_4xn_kernelILj128ELj3ELj32E21rocsparse_complex_numIfEEEvi20rocsparse_direction_NS_24const_host_device_scalarIT2_EEPKiS8_PKS5_SA_S6_PS5_21rocsparse_index_base_b.num_agpr, 0
	.set _ZN9rocsparseL19gebsrmvn_4xn_kernelILj128ELj3ELj32E21rocsparse_complex_numIfEEEvi20rocsparse_direction_NS_24const_host_device_scalarIT2_EEPKiS8_PKS5_SA_S6_PS5_21rocsparse_index_base_b.numbered_sgpr, 16
	.set _ZN9rocsparseL19gebsrmvn_4xn_kernelILj128ELj3ELj32E21rocsparse_complex_numIfEEEvi20rocsparse_direction_NS_24const_host_device_scalarIT2_EEPKiS8_PKS5_SA_S6_PS5_21rocsparse_index_base_b.num_named_barrier, 0
	.set _ZN9rocsparseL19gebsrmvn_4xn_kernelILj128ELj3ELj32E21rocsparse_complex_numIfEEEvi20rocsparse_direction_NS_24const_host_device_scalarIT2_EEPKiS8_PKS5_SA_S6_PS5_21rocsparse_index_base_b.private_seg_size, 0
	.set _ZN9rocsparseL19gebsrmvn_4xn_kernelILj128ELj3ELj32E21rocsparse_complex_numIfEEEvi20rocsparse_direction_NS_24const_host_device_scalarIT2_EEPKiS8_PKS5_SA_S6_PS5_21rocsparse_index_base_b.uses_vcc, 1
	.set _ZN9rocsparseL19gebsrmvn_4xn_kernelILj128ELj3ELj32E21rocsparse_complex_numIfEEEvi20rocsparse_direction_NS_24const_host_device_scalarIT2_EEPKiS8_PKS5_SA_S6_PS5_21rocsparse_index_base_b.uses_flat_scratch, 0
	.set _ZN9rocsparseL19gebsrmvn_4xn_kernelILj128ELj3ELj32E21rocsparse_complex_numIfEEEvi20rocsparse_direction_NS_24const_host_device_scalarIT2_EEPKiS8_PKS5_SA_S6_PS5_21rocsparse_index_base_b.has_dyn_sized_stack, 0
	.set _ZN9rocsparseL19gebsrmvn_4xn_kernelILj128ELj3ELj32E21rocsparse_complex_numIfEEEvi20rocsparse_direction_NS_24const_host_device_scalarIT2_EEPKiS8_PKS5_SA_S6_PS5_21rocsparse_index_base_b.has_recursion, 0
	.set _ZN9rocsparseL19gebsrmvn_4xn_kernelILj128ELj3ELj32E21rocsparse_complex_numIfEEEvi20rocsparse_direction_NS_24const_host_device_scalarIT2_EEPKiS8_PKS5_SA_S6_PS5_21rocsparse_index_base_b.has_indirect_call, 0
	.section	.AMDGPU.csdata,"",@progbits
; Kernel info:
; codeLenInByte = 2556
; TotalNumSgprs: 22
; NumVgprs: 64
; NumAgprs: 0
; TotalNumVgprs: 64
; ScratchSize: 0
; MemoryBound: 0
; FloatMode: 240
; IeeeMode: 1
; LDSByteSize: 0 bytes/workgroup (compile time only)
; SGPRBlocks: 2
; VGPRBlocks: 7
; NumSGPRsForWavesPerEU: 22
; NumVGPRsForWavesPerEU: 64
; AccumOffset: 64
; Occupancy: 8
; WaveLimiterHint : 1
; COMPUTE_PGM_RSRC2:SCRATCH_EN: 0
; COMPUTE_PGM_RSRC2:USER_SGPR: 2
; COMPUTE_PGM_RSRC2:TRAP_HANDLER: 0
; COMPUTE_PGM_RSRC2:TGID_X_EN: 1
; COMPUTE_PGM_RSRC2:TGID_Y_EN: 0
; COMPUTE_PGM_RSRC2:TGID_Z_EN: 0
; COMPUTE_PGM_RSRC2:TIDIG_COMP_CNT: 0
; COMPUTE_PGM_RSRC3_GFX90A:ACCUM_OFFSET: 15
; COMPUTE_PGM_RSRC3_GFX90A:TG_SPLIT: 0
	.section	.text._ZN9rocsparseL19gebsrmvn_4xn_kernelILj128ELj3ELj64E21rocsparse_complex_numIfEEEvi20rocsparse_direction_NS_24const_host_device_scalarIT2_EEPKiS8_PKS5_SA_S6_PS5_21rocsparse_index_base_b,"axG",@progbits,_ZN9rocsparseL19gebsrmvn_4xn_kernelILj128ELj3ELj64E21rocsparse_complex_numIfEEEvi20rocsparse_direction_NS_24const_host_device_scalarIT2_EEPKiS8_PKS5_SA_S6_PS5_21rocsparse_index_base_b,comdat
	.globl	_ZN9rocsparseL19gebsrmvn_4xn_kernelILj128ELj3ELj64E21rocsparse_complex_numIfEEEvi20rocsparse_direction_NS_24const_host_device_scalarIT2_EEPKiS8_PKS5_SA_S6_PS5_21rocsparse_index_base_b ; -- Begin function _ZN9rocsparseL19gebsrmvn_4xn_kernelILj128ELj3ELj64E21rocsparse_complex_numIfEEEvi20rocsparse_direction_NS_24const_host_device_scalarIT2_EEPKiS8_PKS5_SA_S6_PS5_21rocsparse_index_base_b
	.p2align	8
	.type	_ZN9rocsparseL19gebsrmvn_4xn_kernelILj128ELj3ELj64E21rocsparse_complex_numIfEEEvi20rocsparse_direction_NS_24const_host_device_scalarIT2_EEPKiS8_PKS5_SA_S6_PS5_21rocsparse_index_base_b,@function
_ZN9rocsparseL19gebsrmvn_4xn_kernelILj128ELj3ELj64E21rocsparse_complex_numIfEEEvi20rocsparse_direction_NS_24const_host_device_scalarIT2_EEPKiS8_PKS5_SA_S6_PS5_21rocsparse_index_base_b: ; @_ZN9rocsparseL19gebsrmvn_4xn_kernelILj128ELj3ELj64E21rocsparse_complex_numIfEEEvi20rocsparse_direction_NS_24const_host_device_scalarIT2_EEPKiS8_PKS5_SA_S6_PS5_21rocsparse_index_base_b
; %bb.0:
	s_load_dwordx2 s[4:5], s[0:1], 0x8
	s_load_dwordx2 s[6:7], s[0:1], 0x30
	;; [unrolled: 1-line block ×3, first 2 shown]
	s_add_u32 s3, s0, 8
	s_addc_u32 s8, s1, 0
	s_add_u32 s9, s0, 48
	s_addc_u32 s10, s1, 0
	s_waitcnt lgkmcnt(0)
	s_bitcmp1_b32 s13, 0
	s_cselect_b32 s3, s3, s4
	s_cselect_b32 s5, s8, s5
	v_mov_b32_e32 v2, s3
	s_cselect_b32 s3, s10, s7
	s_cselect_b32 s4, s9, s6
	v_mov_b32_e32 v3, s5
	v_mov_b32_e32 v4, s4
	;; [unrolled: 1-line block ×3, first 2 shown]
	flat_load_dwordx2 v[2:3], v[2:3]
	s_waitcnt vmcnt(0) lgkmcnt(0)
	v_cmp_eq_f32_e32 vcc, 0, v2
	flat_load_dwordx2 v[4:5], v[4:5]
	v_cmp_eq_f32_e64 s[4:5], 0, v3
	s_and_b64 s[4:5], vcc, s[4:5]
	s_waitcnt vmcnt(0) lgkmcnt(0)
	v_cmp_eq_f32_e64 s[6:7], 1.0, v4
	v_cmp_eq_f32_e64 s[8:9], 0, v5
	s_and_b64 s[6:7], s[6:7], s[8:9]
	s_and_b64 s[4:5], s[4:5], s[6:7]
	s_xor_b64 s[4:5], s[4:5], -1
	s_and_saveexec_b64 s[6:7], s[4:5]
	s_cbranch_execz .LBB88_19
; %bb.1:
	s_load_dwordx2 s[14:15], s[0:1], 0x0
	v_lshrrev_b32_e32 v1, 6, v0
	v_lshl_or_b32 v6, s2, 1, v1
	s_waitcnt lgkmcnt(0)
	v_cmp_gt_i32_e32 vcc, s14, v6
	s_and_b64 exec, exec, vcc
	s_cbranch_execz .LBB88_19
; %bb.2:
	s_load_dwordx8 s[4:11], s[0:1], 0x10
	v_ashrrev_i32_e32 v7, 31, v6
	s_cmp_lg_u32 s15, 0
	s_waitcnt lgkmcnt(0)
	v_lshl_add_u64 v[8:9], v[6:7], 2, s[4:5]
	global_load_dwordx2 v[8:9], v[8:9], off
	v_and_b32_e32 v7, 63, v0
	s_waitcnt vmcnt(0)
	v_subrev_u32_e32 v0, s12, v8
	v_subrev_u32_e32 v20, s12, v9
	v_add_u32_e32 v10, v0, v7
	v_cmp_lt_i32_e64 s[2:3], v10, v20
	s_cbranch_scc0 .LBB88_8
; %bb.3:
	v_mov_b32_e32 v15, 0
	v_mov_b32_e32 v14, v15
	;; [unrolled: 1-line block ×8, first 2 shown]
	s_and_saveexec_b64 s[4:5], s[2:3]
	s_cbranch_execz .LBB88_7
; %bb.4:
	v_mov_b32_e32 v17, 0
	v_mul_lo_u32 v16, v10, 12
	s_mov_b64 s[14:15], 0
	v_mov_b32_e32 v18, v10
	v_mov_b32_e32 v12, v17
	;; [unrolled: 1-line block ×9, first 2 shown]
.LBB88_5:                               ; =>This Inner Loop Header: Depth=1
	v_ashrrev_i32_e32 v19, 31, v18
	v_lshl_add_u64 v[22:23], v[18:19], 2, s[6:7]
	global_load_dword v11, v[22:23], off
	v_add_u32_e32 v32, 4, v16
	v_mov_b32_e32 v33, v17
	v_lshl_add_u64 v[30:31], v[16:17], 3, s[8:9]
	v_mov_b32_e32 v47, v17
	v_add_u32_e32 v34, 8, v16
	v_mov_b32_e32 v35, v17
	v_lshl_add_u64 v[52:53], v[32:33], 3, s[8:9]
	global_load_dwordx4 v[22:25], v[30:31], off offset:16
	global_load_dwordx4 v[26:29], v[30:31], off
	v_lshl_add_u64 v[54:55], v[34:35], 3, s[8:9]
	global_load_dwordx4 v[30:33], v[52:53], off offset:16
	global_load_dwordx4 v[34:37], v[52:53], off
	global_load_dwordx4 v[38:41], v[54:55], off offset:16
	global_load_dwordx4 v[42:45], v[54:55], off
	v_mov_b32_e32 v49, v17
	v_mov_b32_e32 v51, v17
	v_add_u32_e32 v18, 64, v18
	v_cmp_ge_i32_e32 vcc, v18, v20
	v_add_u32_e32 v16, 0x300, v16
	s_or_b64 s[14:15], vcc, s[14:15]
	s_waitcnt vmcnt(6)
	v_subrev_u32_e32 v11, s12, v11
	v_lshl_add_u32 v46, v11, 1, v11
	v_lshl_add_u64 v[52:53], v[46:47], 3, s[10:11]
	v_add_u32_e32 v48, 1, v46
	v_add_u32_e32 v50, 2, v46
	global_load_dwordx2 v[46:47], v[52:53], off
	v_lshl_add_u64 v[48:49], v[48:49], 3, s[10:11]
	v_lshl_add_u64 v[50:51], v[50:51], 3, s[10:11]
	global_load_dwordx2 v[52:53], v[48:49], off
	global_load_dwordx2 v[54:55], v[50:51], off
	s_waitcnt vmcnt(7)
	v_xor_b32_e32 v48, 0x80000000, v29
	v_mov_b32_e32 v49, v28
	v_xor_b32_e32 v50, 0x80000000, v25
	v_mov_b32_e32 v51, v24
	s_waitcnt vmcnt(5)
	v_xor_b32_e32 v56, 0x80000000, v37
	v_mov_b32_e32 v57, v36
	v_xor_b32_e32 v60, 0x80000000, v33
	v_mov_b32_e32 v61, v32
	;; [unrolled: 5-line block ×3, first 2 shown]
	s_waitcnt vmcnt(2)
	v_pk_fma_f32 v[14:15], v[26:27], v[46:47], v[14:15] op_sel_hi:[1,0,1]
	v_pk_fma_f32 v[12:13], v[28:29], v[46:47], v[12:13] op_sel_hi:[1,0,1]
	v_pk_fma_f32 v[8:9], v[22:23], v[46:47], v[8:9] op_sel_hi:[1,0,1]
	v_pk_fma_f32 v[0:1], v[24:25], v[46:47], v[0:1] op_sel_hi:[1,0,1]
	v_pk_fma_f32 v[14:15], v[26:27], v[46:47], v[14:15] op_sel:[1,1,0] op_sel_hi:[0,1,1] neg_lo:[1,0,0]
	v_pk_fma_f32 v[12:13], v[48:49], v[46:47], v[12:13] op_sel:[0,1,0]
	v_pk_fma_f32 v[8:9], v[22:23], v[46:47], v[8:9] op_sel:[1,1,0] op_sel_hi:[0,1,1] neg_lo:[1,0,0]
	v_pk_fma_f32 v[0:1], v[50:51], v[46:47], v[0:1] op_sel:[0,1,0]
	s_waitcnt vmcnt(1)
	v_pk_fma_f32 v[14:15], v[34:35], v[52:53], v[14:15] op_sel_hi:[1,0,1]
	v_pk_fma_f32 v[12:13], v[36:37], v[52:53], v[12:13] op_sel_hi:[1,0,1]
	v_pk_fma_f32 v[8:9], v[30:31], v[52:53], v[8:9] op_sel_hi:[1,0,1]
	v_pk_fma_f32 v[0:1], v[32:33], v[52:53], v[0:1] op_sel_hi:[1,0,1]
	v_pk_fma_f32 v[14:15], v[34:35], v[52:53], v[14:15] op_sel:[1,1,0] op_sel_hi:[0,1,1] neg_lo:[1,0,0]
	v_pk_fma_f32 v[12:13], v[56:57], v[52:53], v[12:13] op_sel:[0,1,0]
	v_pk_fma_f32 v[8:9], v[30:31], v[52:53], v[8:9] op_sel:[1,1,0] op_sel_hi:[0,1,1] neg_lo:[1,0,0]
	v_pk_fma_f32 v[0:1], v[60:61], v[52:53], v[0:1] op_sel:[0,1,0]
	;; [unrolled: 9-line block ×3, first 2 shown]
	s_andn2_b64 exec, exec, s[14:15]
	s_cbranch_execnz .LBB88_5
; %bb.6:
	s_or_b64 exec, exec, s[14:15]
.LBB88_7:
	s_or_b64 exec, exec, s[4:5]
	s_cbranch_execz .LBB88_9
	s_branch .LBB88_14
.LBB88_8:
                                        ; implicit-def: $vgpr15
                                        ; implicit-def: $vgpr1
                                        ; implicit-def: $vgpr9
                                        ; implicit-def: $vgpr13
.LBB88_9:
	v_mov_b32_e32 v15, 0
	v_mov_b32_e32 v14, v15
	;; [unrolled: 1-line block ×8, first 2 shown]
	s_and_saveexec_b64 s[4:5], s[2:3]
	s_cbranch_execz .LBB88_13
; %bb.10:
	v_mad_u64_u32 v[16:17], s[2:3], v10, 12, 11
	v_mov_b32_e32 v19, 0
	s_mov_b64 s[2:3], 0
	v_mov_b32_e32 v12, v19
	v_mov_b32_e32 v13, v19
	;; [unrolled: 1-line block ×8, first 2 shown]
.LBB88_11:                              ; =>This Inner Loop Header: Depth=1
	v_ashrrev_i32_e32 v11, 31, v10
	v_lshl_add_u64 v[22:23], v[10:11], 2, s[6:7]
	global_load_dword v11, v[22:23], off
	v_add_u32_e32 v18, -11, v16
	v_add_u32_e32 v22, -5, v16
	v_mov_b32_e32 v23, v19
	v_add_u32_e32 v24, -2, v16
	v_mov_b32_e32 v31, v19
	v_mov_b32_e32 v25, v19
	v_lshl_add_u64 v[32:33], v[18:19], 3, s[8:9]
	v_lshl_add_u64 v[34:35], v[22:23], 3, s[8:9]
	;; [unrolled: 1-line block ×3, first 2 shown]
	global_load_dwordx4 v[22:25], v[32:33], off
	global_load_dwordx4 v[26:29], v[32:33], off offset:16
	global_load_dwordx2 v[40:41], v[34:35], off
	global_load_dwordx2 v[42:43], v[36:37], off
	v_mov_b32_e32 v17, v19
	v_lshl_add_u64 v[38:39], v[16:17], 3, s[8:9]
	v_add_u32_e32 v10, 64, v10
	v_cmp_ge_i32_e32 vcc, v10, v20
	s_or_b64 s[2:3], vcc, s[2:3]
	s_waitcnt vmcnt(4)
	v_subrev_u32_e32 v11, s12, v11
	v_lshl_add_u32 v30, v11, 1, v11
	v_add_u32_e32 v18, 1, v30
	v_lshl_add_u64 v[32:33], v[30:31], 3, s[10:11]
	v_lshl_add_u64 v[34:35], v[18:19], 3, s[10:11]
	v_add_u32_e32 v18, -7, v16
	global_load_dwordx2 v[32:33], v[32:33], off
	v_lshl_add_u64 v[36:37], v[18:19], 3, s[8:9]
	v_add_u32_e32 v18, -4, v16
	v_lshl_add_u64 v[44:45], v[18:19], 3, s[8:9]
	v_add_u32_e32 v18, -1, v16
	global_load_dwordx2 v[34:35], v[34:35], off
	v_lshl_add_u64 v[46:47], v[18:19], 3, s[8:9]
	global_load_dwordx2 v[36:37], v[36:37], off
	v_add_u32_e32 v18, 2, v30
	global_load_dwordx2 v[44:45], v[44:45], off
	s_waitcnt vmcnt(5)
	v_xor_b32_e32 v56, 0x80000000, v41
	global_load_dwordx2 v[30:31], v[46:47], off
	v_lshl_add_u64 v[46:47], v[18:19], 3, s[10:11]
	v_add_u32_e32 v18, -6, v16
	v_lshl_add_u64 v[48:49], v[18:19], 3, s[8:9]
	v_add_u32_e32 v18, -3, v16
	global_load_dwordx2 v[46:47], v[46:47], off
	v_lshl_add_u64 v[50:51], v[18:19], 3, s[8:9]
	global_load_dwordx2 v[48:49], v[48:49], off
	s_nop 0
	global_load_dwordx2 v[52:53], v[50:51], off
	global_load_dwordx2 v[54:55], v[38:39], off
	v_xor_b32_e32 v50, 0x80000000, v29
	v_mov_b32_e32 v51, v28
	v_mov_b32_e32 v57, v40
	s_waitcnt vmcnt(9)
	v_xor_b32_e32 v58, 0x80000000, v43
	v_mov_b32_e32 v59, v42
	v_xor_b32_e32 v38, 0x80000000, v25
	v_mov_b32_e32 v39, v24
	v_add_u32_e32 v16, 0x300, v16
	s_waitcnt vmcnt(8)
	v_pk_fma_f32 v[12:13], v[28:29], v[32:33], v[12:13] op_sel_hi:[1,0,1]
	v_pk_fma_f32 v[14:15], v[22:23], v[32:33], v[14:15] op_sel_hi:[1,0,1]
	;; [unrolled: 1-line block ×3, first 2 shown]
	v_pk_fma_f32 v[12:13], v[50:51], v[32:33], v[12:13] op_sel:[0,1,0]
	v_pk_fma_f32 v[0:1], v[42:43], v[32:33], v[0:1] op_sel_hi:[1,0,1]
	v_pk_fma_f32 v[14:15], v[22:23], v[32:33], v[14:15] op_sel:[1,1,0] op_sel_hi:[0,1,1] neg_lo:[1,0,0]
	v_pk_fma_f32 v[8:9], v[56:57], v[32:33], v[8:9] op_sel:[0,1,0]
	s_waitcnt vmcnt(6)
	v_xor_b32_e32 v22, 0x80000000, v37
	v_pk_fma_f32 v[12:13], v[36:37], v[34:35], v[12:13] op_sel_hi:[1,0,1]
	v_mov_b32_e32 v23, v36
	v_pk_fma_f32 v[0:1], v[58:59], v[32:33], v[0:1] op_sel:[0,1,0]
	v_pk_fma_f32 v[12:13], v[22:23], v[34:35], v[12:13] op_sel:[0,1,0]
	s_waitcnt vmcnt(5)
	v_xor_b32_e32 v22, 0x80000000, v45
	v_pk_fma_f32 v[8:9], v[44:45], v[34:35], v[8:9] op_sel_hi:[1,0,1]
	v_mov_b32_e32 v23, v44
	v_pk_fma_f32 v[14:15], v[24:25], v[34:35], v[14:15] op_sel_hi:[1,0,1]
	v_pk_fma_f32 v[8:9], v[22:23], v[34:35], v[8:9] op_sel:[0,1,0]
	s_waitcnt vmcnt(4)
	v_xor_b32_e32 v22, 0x80000000, v31
	v_pk_fma_f32 v[0:1], v[30:31], v[34:35], v[0:1] op_sel_hi:[1,0,1]
	v_mov_b32_e32 v23, v30
	v_pk_fma_f32 v[14:15], v[38:39], v[34:35], v[14:15] op_sel:[0,1,0]
	v_pk_fma_f32 v[0:1], v[22:23], v[34:35], v[0:1] op_sel:[0,1,0]
	s_waitcnt vmcnt(2)
	v_xor_b32_e32 v22, 0x80000000, v49
	v_pk_fma_f32 v[12:13], v[48:49], v[46:47], v[12:13] op_sel_hi:[1,0,1]
	v_mov_b32_e32 v23, v48
	v_pk_fma_f32 v[14:15], v[26:27], v[46:47], v[14:15] op_sel_hi:[1,0,1]
	v_pk_fma_f32 v[12:13], v[22:23], v[46:47], v[12:13] op_sel:[0,1,0]
	s_waitcnt vmcnt(1)
	v_xor_b32_e32 v22, 0x80000000, v53
	v_pk_fma_f32 v[8:9], v[52:53], v[46:47], v[8:9] op_sel_hi:[1,0,1]
	v_mov_b32_e32 v23, v52
	s_waitcnt vmcnt(0)
	v_xor_b32_e32 v24, 0x80000000, v55
	v_pk_fma_f32 v[0:1], v[54:55], v[46:47], v[0:1] op_sel_hi:[1,0,1]
	v_mov_b32_e32 v25, v54
	v_pk_fma_f32 v[14:15], v[26:27], v[46:47], v[14:15] op_sel:[1,1,0] op_sel_hi:[0,1,1] neg_lo:[1,0,0]
	v_pk_fma_f32 v[8:9], v[22:23], v[46:47], v[8:9] op_sel:[0,1,0]
	v_pk_fma_f32 v[0:1], v[24:25], v[46:47], v[0:1] op_sel:[0,1,0]
	s_andn2_b64 exec, exec, s[2:3]
	s_cbranch_execnz .LBB88_11
; %bb.12:
	s_or_b64 exec, exec, s[2:3]
.LBB88_13:
	s_or_b64 exec, exec, s[4:5]
.LBB88_14:
	v_mov_b32_dpp v16, v12 row_shr:1 row_mask:0xf bank_mask:0xf
	v_add_f32_e32 v12, v12, v16
	v_mov_b32_dpp v10, v14 row_shr:1 row_mask:0xf bank_mask:0xf
	v_add_f32_e32 v10, v14, v10
	;; [unrolled: 2-line block ×5, first 2 shown]
	v_mov_b32_dpp v11, v10 row_shr:2 row_mask:0xf bank_mask:0xf
	v_mov_b32_dpp v15, v14 row_shr:2 row_mask:0xf bank_mask:0xf
	;; [unrolled: 1-line block ×3, first 2 shown]
	v_add_f32_e32 v12, v12, v16
	v_add_f32_e32 v10, v10, v11
	v_add_f32_e32 v14, v14, v15
	v_mov_b32_dpp v16, v12 row_bcast:15 row_mask:0xa bank_mask:0xf
	v_add_f32_e32 v16, v12, v16
	v_mov_b32_dpp v12, v13 row_shr:1 row_mask:0xf bank_mask:0xf
	v_add_f32_e32 v12, v13, v12
	v_mov_b32_dpp v11, v10 row_shr:4 row_mask:0xf bank_mask:0xe
	v_mov_b32_dpp v15, v14 row_shr:4 row_mask:0xf bank_mask:0xe
	;; [unrolled: 1-line block ×3, first 2 shown]
	v_add_f32_e32 v12, v12, v13
	v_add_f32_e32 v10, v10, v11
	;; [unrolled: 1-line block ×3, first 2 shown]
	v_mov_b32_dpp v13, v12 row_shr:4 row_mask:0xf bank_mask:0xe
	v_add_f32_e32 v12, v12, v13
	v_mov_b32_dpp v11, v10 row_shr:8 row_mask:0xf bank_mask:0xc
	v_mov_b32_dpp v15, v14 row_shr:8 row_mask:0xf bank_mask:0xc
	;; [unrolled: 1-line block ×3, first 2 shown]
	v_add_f32_e32 v12, v12, v13
	v_add_f32_e32 v10, v10, v11
	;; [unrolled: 1-line block ×3, first 2 shown]
	v_mov_b32_dpp v13, v12 row_bcast:15 row_mask:0xa bank_mask:0xf
	v_add_f32_e32 v13, v12, v13
	v_mov_b32_dpp v12, v8 row_shr:1 row_mask:0xf bank_mask:0xf
	v_add_f32_e32 v8, v8, v12
	v_mov_b32_dpp v11, v10 row_bcast:15 row_mask:0xa bank_mask:0xf
	v_mov_b32_dpp v15, v14 row_bcast:15 row_mask:0xa bank_mask:0xf
	v_mov_b32_dpp v12, v8 row_shr:2 row_mask:0xf bank_mask:0xf
	v_add_f32_e32 v8, v8, v12
	v_add_f32_e32 v10, v10, v11
	;; [unrolled: 1-line block ×3, first 2 shown]
	v_mov_b32_dpp v12, v8 row_shr:4 row_mask:0xf bank_mask:0xe
	v_add_f32_e32 v8, v8, v12
	v_mov_b32_dpp v11, v10 row_bcast:31 row_mask:0xc bank_mask:0xf
	v_mov_b32_dpp v15, v14 row_bcast:31 row_mask:0xc bank_mask:0xf
	v_mov_b32_dpp v12, v8 row_shr:8 row_mask:0xf bank_mask:0xc
	v_add_f32_e32 v8, v8, v12
	v_mov_b32_dpp v17, v16 row_bcast:31 row_mask:0xc bank_mask:0xf
	v_mov_b32_dpp v18, v13 row_bcast:31 row_mask:0xc bank_mask:0xf
	v_mov_b32_dpp v12, v8 row_bcast:15 row_mask:0xa bank_mask:0xf
	v_add_f32_e32 v8, v8, v12
	v_cmp_eq_u32_e32 vcc, 63, v7
	v_mov_b32_dpp v12, v9 row_shr:1 row_mask:0xf bank_mask:0xf
	v_add_f32_e32 v9, v9, v12
	v_mov_b32_dpp v19, v8 row_bcast:31 row_mask:0xc bank_mask:0xf
	s_nop 0
	v_mov_b32_dpp v12, v9 row_shr:2 row_mask:0xf bank_mask:0xf
	v_add_f32_e32 v9, v9, v12
	s_nop 1
	v_mov_b32_dpp v12, v9 row_shr:4 row_mask:0xf bank_mask:0xe
	v_add_f32_e32 v9, v9, v12
	s_nop 1
	v_mov_b32_dpp v12, v9 row_shr:8 row_mask:0xf bank_mask:0xc
	v_add_f32_e32 v9, v9, v12
	s_nop 1
	v_mov_b32_dpp v12, v9 row_bcast:15 row_mask:0xa bank_mask:0xf
	v_add_f32_e32 v9, v9, v12
	s_nop 0
	v_mov_b32_dpp v12, v0 row_shr:1 row_mask:0xf bank_mask:0xf
	v_add_f32_e32 v0, v0, v12
	v_mov_b32_dpp v21, v9 row_bcast:31 row_mask:0xc bank_mask:0xf
	s_nop 0
	v_mov_b32_dpp v12, v0 row_shr:2 row_mask:0xf bank_mask:0xf
	v_add_f32_e32 v0, v0, v12
	s_nop 1
	v_mov_b32_dpp v12, v0 row_shr:4 row_mask:0xf bank_mask:0xe
	v_add_f32_e32 v0, v0, v12
	s_nop 1
	v_mov_b32_dpp v12, v0 row_shr:8 row_mask:0xf bank_mask:0xc
	v_add_f32_e32 v0, v0, v12
	s_nop 1
	v_mov_b32_dpp v12, v0 row_bcast:15 row_mask:0xa bank_mask:0xf
	v_add_f32_e32 v0, v0, v12
	s_nop 0
	;; [unrolled: 16-line block ×3, first 2 shown]
	v_mov_b32_dpp v23, v1 row_bcast:31 row_mask:0xc bank_mask:0xf
	s_and_b64 exec, exec, vcc
	s_cbranch_execz .LBB88_19
; %bb.15:
	s_load_dwordx2 s[2:3], s[0:1], 0x38
	v_cmp_eq_f32_e32 vcc, 0, v4
	v_cmp_eq_f32_e64 s[0:1], 0, v5
	v_add_f32_e32 v12, v10, v11
	v_add_f32_e32 v20, v14, v15
	;; [unrolled: 1-line block ×8, first 2 shown]
	s_and_b64 s[0:1], vcc, s[0:1]
	s_and_saveexec_b64 s[4:5], s[0:1]
	s_xor_b64 s[0:1], exec, s[4:5]
	s_cbranch_execz .LBB88_17
; %bb.16:
	v_lshlrev_b32_e32 v4, 2, v6
	v_xor_b32_e32 v22, 0x80000000, v3
	v_ashrrev_i32_e32 v5, 31, v4
	v_mov_b32_e32 v23, v2
	s_waitcnt lgkmcnt(0)
	v_lshl_add_u64 v[24:25], v[4:5], 3, s[2:3]
	v_pk_mul_f32 v[4:5], v[20:21], v[22:23] op_sel_hi:[0,1]
	v_pk_mul_f32 v[6:7], v[18:19], v[22:23] op_sel_hi:[0,1]
	v_pk_fma_f32 v[4:5], v[2:3], v[12:13], v[4:5] op_sel_hi:[1,0,1]
	v_pk_fma_f32 v[6:7], v[2:3], v[10:11], v[6:7] op_sel_hi:[1,0,1]
	global_store_dwordx4 v[24:25], v[4:7], off
                                        ; implicit-def: $vgpr12
                                        ; implicit-def: $vgpr20
                                        ; implicit-def: $vgpr10
                                        ; implicit-def: $vgpr18
	s_nop 1
	v_pk_mul_f32 v[4:5], v[16:17], v[22:23] op_sel_hi:[0,1]
	v_pk_mul_f32 v[6:7], v[14:15], v[22:23] op_sel_hi:[0,1]
	v_pk_fma_f32 v[4:5], v[2:3], v[8:9], v[4:5] op_sel_hi:[1,0,1]
	v_pk_fma_f32 v[6:7], v[2:3], v[0:1], v[6:7] op_sel_hi:[1,0,1]
	global_store_dwordx4 v[24:25], v[4:7], off offset:16
                                        ; implicit-def: $vgpr6
                                        ; implicit-def: $vgpr8
                                        ; implicit-def: $vgpr16
                                        ; implicit-def: $vgpr0
                                        ; implicit-def: $vgpr14
                                        ; implicit-def: $vgpr2_vgpr3
                                        ; implicit-def: $vgpr4_vgpr5
.LBB88_17:
	s_andn2_saveexec_b64 s[0:1], s[0:1]
	s_cbranch_execz .LBB88_19
; %bb.18:
	v_lshlrev_b32_e32 v6, 2, v6
	v_ashrrev_i32_e32 v7, 31, v6
	s_waitcnt lgkmcnt(0)
	v_lshl_add_u64 v[30:31], v[6:7], 3, s[2:3]
	global_load_dwordx4 v[22:25], v[30:31], off
	global_load_dwordx4 v[26:29], v[30:31], off offset:16
	v_xor_b32_e32 v6, 0x80000000, v3
	v_mov_b32_e32 v7, v2
	v_pk_mul_f32 v[20:21], v[20:21], v[6:7] op_sel_hi:[0,1]
	v_pk_mul_f32 v[18:19], v[18:19], v[6:7] op_sel_hi:[0,1]
	;; [unrolled: 1-line block ×4, first 2 shown]
	v_pk_fma_f32 v[12:13], v[2:3], v[12:13], v[20:21] op_sel_hi:[1,0,1]
	v_pk_fma_f32 v[10:11], v[2:3], v[10:11], v[18:19] op_sel_hi:[1,0,1]
	v_xor_b32_e32 v32, 0x80000000, v5
	v_mov_b32_e32 v33, v4
	v_pk_fma_f32 v[8:9], v[2:3], v[8:9], v[16:17] op_sel_hi:[1,0,1]
	v_pk_fma_f32 v[0:1], v[2:3], v[0:1], v[6:7] op_sel_hi:[1,0,1]
	s_waitcnt vmcnt(1)
	v_pk_fma_f32 v[2:3], v[4:5], v[22:23], v[12:13] op_sel_hi:[1,0,1]
	v_pk_fma_f32 v[6:7], v[4:5], v[24:25], v[10:11] op_sel_hi:[1,0,1]
	v_mov_b32_e32 v10, v25
	s_waitcnt vmcnt(0)
	v_pk_fma_f32 v[8:9], v[4:5], v[26:27], v[8:9] op_sel_hi:[1,0,1]
	v_pk_fma_f32 v[12:13], v[4:5], v[28:29], v[0:1] op_sel_hi:[1,0,1]
	v_mov_b32_e32 v14, v29
	v_pk_fma_f32 v[0:1], v[32:33], v[22:23], v[2:3] op_sel:[0,1,0]
	v_pk_fma_f32 v[2:3], v[32:33], v[10:11], v[6:7] op_sel_hi:[1,0,1]
	v_pk_fma_f32 v[4:5], v[32:33], v[26:27], v[8:9] op_sel:[0,1,0]
	v_pk_fma_f32 v[6:7], v[32:33], v[14:15], v[12:13] op_sel_hi:[1,0,1]
	global_store_dwordx4 v[30:31], v[0:3], off
	global_store_dwordx4 v[30:31], v[4:7], off offset:16
.LBB88_19:
	s_endpgm
	.section	.rodata,"a",@progbits
	.p2align	6, 0x0
	.amdhsa_kernel _ZN9rocsparseL19gebsrmvn_4xn_kernelILj128ELj3ELj64E21rocsparse_complex_numIfEEEvi20rocsparse_direction_NS_24const_host_device_scalarIT2_EEPKiS8_PKS5_SA_S6_PS5_21rocsparse_index_base_b
		.amdhsa_group_segment_fixed_size 0
		.amdhsa_private_segment_fixed_size 0
		.amdhsa_kernarg_size 72
		.amdhsa_user_sgpr_count 2
		.amdhsa_user_sgpr_dispatch_ptr 0
		.amdhsa_user_sgpr_queue_ptr 0
		.amdhsa_user_sgpr_kernarg_segment_ptr 1
		.amdhsa_user_sgpr_dispatch_id 0
		.amdhsa_user_sgpr_kernarg_preload_length 0
		.amdhsa_user_sgpr_kernarg_preload_offset 0
		.amdhsa_user_sgpr_private_segment_size 0
		.amdhsa_uses_dynamic_stack 0
		.amdhsa_enable_private_segment 0
		.amdhsa_system_sgpr_workgroup_id_x 1
		.amdhsa_system_sgpr_workgroup_id_y 0
		.amdhsa_system_sgpr_workgroup_id_z 0
		.amdhsa_system_sgpr_workgroup_info 0
		.amdhsa_system_vgpr_workitem_id 0
		.amdhsa_next_free_vgpr 64
		.amdhsa_next_free_sgpr 16
		.amdhsa_accum_offset 64
		.amdhsa_reserve_vcc 1
		.amdhsa_float_round_mode_32 0
		.amdhsa_float_round_mode_16_64 0
		.amdhsa_float_denorm_mode_32 3
		.amdhsa_float_denorm_mode_16_64 3
		.amdhsa_dx10_clamp 1
		.amdhsa_ieee_mode 1
		.amdhsa_fp16_overflow 0
		.amdhsa_tg_split 0
		.amdhsa_exception_fp_ieee_invalid_op 0
		.amdhsa_exception_fp_denorm_src 0
		.amdhsa_exception_fp_ieee_div_zero 0
		.amdhsa_exception_fp_ieee_overflow 0
		.amdhsa_exception_fp_ieee_underflow 0
		.amdhsa_exception_fp_ieee_inexact 0
		.amdhsa_exception_int_div_zero 0
	.end_amdhsa_kernel
	.section	.text._ZN9rocsparseL19gebsrmvn_4xn_kernelILj128ELj3ELj64E21rocsparse_complex_numIfEEEvi20rocsparse_direction_NS_24const_host_device_scalarIT2_EEPKiS8_PKS5_SA_S6_PS5_21rocsparse_index_base_b,"axG",@progbits,_ZN9rocsparseL19gebsrmvn_4xn_kernelILj128ELj3ELj64E21rocsparse_complex_numIfEEEvi20rocsparse_direction_NS_24const_host_device_scalarIT2_EEPKiS8_PKS5_SA_S6_PS5_21rocsparse_index_base_b,comdat
.Lfunc_end88:
	.size	_ZN9rocsparseL19gebsrmvn_4xn_kernelILj128ELj3ELj64E21rocsparse_complex_numIfEEEvi20rocsparse_direction_NS_24const_host_device_scalarIT2_EEPKiS8_PKS5_SA_S6_PS5_21rocsparse_index_base_b, .Lfunc_end88-_ZN9rocsparseL19gebsrmvn_4xn_kernelILj128ELj3ELj64E21rocsparse_complex_numIfEEEvi20rocsparse_direction_NS_24const_host_device_scalarIT2_EEPKiS8_PKS5_SA_S6_PS5_21rocsparse_index_base_b
                                        ; -- End function
	.set _ZN9rocsparseL19gebsrmvn_4xn_kernelILj128ELj3ELj64E21rocsparse_complex_numIfEEEvi20rocsparse_direction_NS_24const_host_device_scalarIT2_EEPKiS8_PKS5_SA_S6_PS5_21rocsparse_index_base_b.num_vgpr, 64
	.set _ZN9rocsparseL19gebsrmvn_4xn_kernelILj128ELj3ELj64E21rocsparse_complex_numIfEEEvi20rocsparse_direction_NS_24const_host_device_scalarIT2_EEPKiS8_PKS5_SA_S6_PS5_21rocsparse_index_base_b.num_agpr, 0
	.set _ZN9rocsparseL19gebsrmvn_4xn_kernelILj128ELj3ELj64E21rocsparse_complex_numIfEEEvi20rocsparse_direction_NS_24const_host_device_scalarIT2_EEPKiS8_PKS5_SA_S6_PS5_21rocsparse_index_base_b.numbered_sgpr, 16
	.set _ZN9rocsparseL19gebsrmvn_4xn_kernelILj128ELj3ELj64E21rocsparse_complex_numIfEEEvi20rocsparse_direction_NS_24const_host_device_scalarIT2_EEPKiS8_PKS5_SA_S6_PS5_21rocsparse_index_base_b.num_named_barrier, 0
	.set _ZN9rocsparseL19gebsrmvn_4xn_kernelILj128ELj3ELj64E21rocsparse_complex_numIfEEEvi20rocsparse_direction_NS_24const_host_device_scalarIT2_EEPKiS8_PKS5_SA_S6_PS5_21rocsparse_index_base_b.private_seg_size, 0
	.set _ZN9rocsparseL19gebsrmvn_4xn_kernelILj128ELj3ELj64E21rocsparse_complex_numIfEEEvi20rocsparse_direction_NS_24const_host_device_scalarIT2_EEPKiS8_PKS5_SA_S6_PS5_21rocsparse_index_base_b.uses_vcc, 1
	.set _ZN9rocsparseL19gebsrmvn_4xn_kernelILj128ELj3ELj64E21rocsparse_complex_numIfEEEvi20rocsparse_direction_NS_24const_host_device_scalarIT2_EEPKiS8_PKS5_SA_S6_PS5_21rocsparse_index_base_b.uses_flat_scratch, 0
	.set _ZN9rocsparseL19gebsrmvn_4xn_kernelILj128ELj3ELj64E21rocsparse_complex_numIfEEEvi20rocsparse_direction_NS_24const_host_device_scalarIT2_EEPKiS8_PKS5_SA_S6_PS5_21rocsparse_index_base_b.has_dyn_sized_stack, 0
	.set _ZN9rocsparseL19gebsrmvn_4xn_kernelILj128ELj3ELj64E21rocsparse_complex_numIfEEEvi20rocsparse_direction_NS_24const_host_device_scalarIT2_EEPKiS8_PKS5_SA_S6_PS5_21rocsparse_index_base_b.has_recursion, 0
	.set _ZN9rocsparseL19gebsrmvn_4xn_kernelILj128ELj3ELj64E21rocsparse_complex_numIfEEEvi20rocsparse_direction_NS_24const_host_device_scalarIT2_EEPKiS8_PKS5_SA_S6_PS5_21rocsparse_index_base_b.has_indirect_call, 0
	.section	.AMDGPU.csdata,"",@progbits
; Kernel info:
; codeLenInByte = 2676
; TotalNumSgprs: 22
; NumVgprs: 64
; NumAgprs: 0
; TotalNumVgprs: 64
; ScratchSize: 0
; MemoryBound: 0
; FloatMode: 240
; IeeeMode: 1
; LDSByteSize: 0 bytes/workgroup (compile time only)
; SGPRBlocks: 2
; VGPRBlocks: 7
; NumSGPRsForWavesPerEU: 22
; NumVGPRsForWavesPerEU: 64
; AccumOffset: 64
; Occupancy: 8
; WaveLimiterHint : 1
; COMPUTE_PGM_RSRC2:SCRATCH_EN: 0
; COMPUTE_PGM_RSRC2:USER_SGPR: 2
; COMPUTE_PGM_RSRC2:TRAP_HANDLER: 0
; COMPUTE_PGM_RSRC2:TGID_X_EN: 1
; COMPUTE_PGM_RSRC2:TGID_Y_EN: 0
; COMPUTE_PGM_RSRC2:TGID_Z_EN: 0
; COMPUTE_PGM_RSRC2:TIDIG_COMP_CNT: 0
; COMPUTE_PGM_RSRC3_GFX90A:ACCUM_OFFSET: 15
; COMPUTE_PGM_RSRC3_GFX90A:TG_SPLIT: 0
	.section	.text._ZN9rocsparseL19gebsrmvn_4xn_kernelILj128ELj5ELj4E21rocsparse_complex_numIfEEEvi20rocsparse_direction_NS_24const_host_device_scalarIT2_EEPKiS8_PKS5_SA_S6_PS5_21rocsparse_index_base_b,"axG",@progbits,_ZN9rocsparseL19gebsrmvn_4xn_kernelILj128ELj5ELj4E21rocsparse_complex_numIfEEEvi20rocsparse_direction_NS_24const_host_device_scalarIT2_EEPKiS8_PKS5_SA_S6_PS5_21rocsparse_index_base_b,comdat
	.globl	_ZN9rocsparseL19gebsrmvn_4xn_kernelILj128ELj5ELj4E21rocsparse_complex_numIfEEEvi20rocsparse_direction_NS_24const_host_device_scalarIT2_EEPKiS8_PKS5_SA_S6_PS5_21rocsparse_index_base_b ; -- Begin function _ZN9rocsparseL19gebsrmvn_4xn_kernelILj128ELj5ELj4E21rocsparse_complex_numIfEEEvi20rocsparse_direction_NS_24const_host_device_scalarIT2_EEPKiS8_PKS5_SA_S6_PS5_21rocsparse_index_base_b
	.p2align	8
	.type	_ZN9rocsparseL19gebsrmvn_4xn_kernelILj128ELj5ELj4E21rocsparse_complex_numIfEEEvi20rocsparse_direction_NS_24const_host_device_scalarIT2_EEPKiS8_PKS5_SA_S6_PS5_21rocsparse_index_base_b,@function
_ZN9rocsparseL19gebsrmvn_4xn_kernelILj128ELj5ELj4E21rocsparse_complex_numIfEEEvi20rocsparse_direction_NS_24const_host_device_scalarIT2_EEPKiS8_PKS5_SA_S6_PS5_21rocsparse_index_base_b: ; @_ZN9rocsparseL19gebsrmvn_4xn_kernelILj128ELj5ELj4E21rocsparse_complex_numIfEEEvi20rocsparse_direction_NS_24const_host_device_scalarIT2_EEPKiS8_PKS5_SA_S6_PS5_21rocsparse_index_base_b
; %bb.0:
	s_load_dwordx2 s[4:5], s[0:1], 0x8
	s_load_dwordx2 s[6:7], s[0:1], 0x30
	;; [unrolled: 1-line block ×3, first 2 shown]
	s_add_u32 s3, s0, 8
	s_addc_u32 s8, s1, 0
	s_add_u32 s9, s0, 48
	s_addc_u32 s10, s1, 0
	s_waitcnt lgkmcnt(0)
	s_bitcmp1_b32 s13, 0
	s_cselect_b32 s3, s3, s4
	s_cselect_b32 s5, s8, s5
	v_mov_b32_e32 v2, s3
	s_cselect_b32 s3, s10, s7
	s_cselect_b32 s4, s9, s6
	v_mov_b32_e32 v3, s5
	v_mov_b32_e32 v4, s4
	;; [unrolled: 1-line block ×3, first 2 shown]
	flat_load_dwordx2 v[2:3], v[2:3]
	s_waitcnt vmcnt(0) lgkmcnt(0)
	v_cmp_eq_f32_e32 vcc, 0, v2
	flat_load_dwordx2 v[4:5], v[4:5]
	v_cmp_eq_f32_e64 s[4:5], 0, v3
	s_and_b64 s[4:5], vcc, s[4:5]
	s_waitcnt vmcnt(0) lgkmcnt(0)
	v_cmp_eq_f32_e64 s[6:7], 1.0, v4
	v_cmp_eq_f32_e64 s[8:9], 0, v5
	s_and_b64 s[6:7], s[6:7], s[8:9]
	s_and_b64 s[4:5], s[4:5], s[6:7]
	s_xor_b64 s[4:5], s[4:5], -1
	s_and_saveexec_b64 s[6:7], s[4:5]
	s_cbranch_execz .LBB89_19
; %bb.1:
	s_load_dwordx2 s[14:15], s[0:1], 0x0
	v_lshrrev_b32_e32 v1, 2, v0
	v_lshl_or_b32 v6, s2, 5, v1
	s_waitcnt lgkmcnt(0)
	v_cmp_gt_i32_e32 vcc, s14, v6
	s_and_b64 exec, exec, vcc
	s_cbranch_execz .LBB89_19
; %bb.2:
	s_load_dwordx8 s[4:11], s[0:1], 0x10
	v_ashrrev_i32_e32 v7, 31, v6
	s_cmp_lg_u32 s15, 0
	s_waitcnt lgkmcnt(0)
	v_lshl_add_u64 v[8:9], v[6:7], 2, s[4:5]
	global_load_dwordx2 v[8:9], v[8:9], off
	v_and_b32_e32 v7, 3, v0
	s_waitcnt vmcnt(0)
	v_subrev_u32_e32 v0, s12, v8
	v_subrev_u32_e32 v22, s12, v9
	v_add_u32_e32 v0, v0, v7
	v_cmp_lt_i32_e64 s[2:3], v0, v22
	s_cbranch_scc0 .LBB89_8
; %bb.3:
	v_mov_b32_e32 v11, 0
	v_mov_b32_e32 v10, v11
	v_mov_b32_e32 v9, v11
	v_mov_b32_e32 v8, v11
	v_mov_b32_e32 v13, v11
	v_mov_b32_e32 v12, v11
	v_mov_b32_e32 v15, v11
	v_mov_b32_e32 v14, v11
	s_and_saveexec_b64 s[4:5], s[2:3]
	s_cbranch_execz .LBB89_7
; %bb.4:
	v_mad_u64_u32 v[16:17], s[14:15], v0, 20, 16
	v_mov_b32_e32 v19, 0
	s_mov_b64 s[14:15], 0
	v_mov_b32_e32 v20, v0
	v_mov_b32_e32 v14, v19
	;; [unrolled: 1-line block ×9, first 2 shown]
.LBB89_5:                               ; =>This Inner Loop Header: Depth=1
	v_ashrrev_i32_e32 v21, 31, v20
	v_lshl_add_u64 v[24:25], v[20:21], 2, s[6:7]
	global_load_dword v1, v[24:25], off
	v_add_u32_e32 v18, -16, v16
	v_mov_b32_e32 v17, v19
	v_mov_b32_e32 v65, v19
	v_lshl_add_u64 v[32:33], v[18:19], 3, s[8:9]
	v_add_u32_e32 v18, -12, v16
	v_lshl_add_u64 v[48:49], v[16:17], 3, s[8:9]
	global_load_dwordx4 v[24:27], v[32:33], off
	global_load_dwordx4 v[28:31], v[32:33], off offset:16
	v_lshl_add_u64 v[50:51], v[18:19], 3, s[8:9]
	global_load_dwordx4 v[32:35], v[48:49], off offset:16
	global_load_dwordx4 v[36:39], v[48:49], off
	global_load_dwordx4 v[40:43], v[50:51], off offset:16
	global_load_dwordx4 v[44:47], v[50:51], off
	v_add_u32_e32 v20, 4, v20
	v_cmp_ge_i32_e32 vcc, v20, v22
	s_or_b64 s[14:15], vcc, s[14:15]
	s_waitcnt vmcnt(6)
	v_subrev_u32_e32 v1, s12, v1
	v_lshl_add_u32 v64, v1, 2, v1
	v_lshl_add_u64 v[48:49], v[64:65], 3, s[10:11]
	global_load_dwordx2 v[66:67], v[48:49], off
	v_add_u32_e32 v18, 1, v64
	v_lshl_add_u64 v[48:49], v[18:19], 3, s[10:11]
	v_add_u32_e32 v18, -8, v16
	global_load_dwordx2 v[68:69], v[48:49], off
	v_lshl_add_u64 v[56:57], v[18:19], 3, s[8:9]
	v_add_u32_e32 v18, 2, v64
	global_load_dwordx4 v[48:51], v[56:57], off
	global_load_dwordx4 v[52:55], v[56:57], off offset:16
	v_lshl_add_u64 v[56:57], v[18:19], 3, s[10:11]
	v_add_u32_e32 v18, -4, v16
	global_load_dwordx2 v[70:71], v[56:57], off
	v_lshl_add_u64 v[72:73], v[18:19], 3, s[8:9]
	v_add_u32_e32 v18, 3, v64
	global_load_dwordx4 v[56:59], v[72:73], off
	global_load_dwordx4 v[60:63], v[72:73], off offset:16
	v_lshl_add_u64 v[72:73], v[18:19], 3, s[10:11]
	v_add_u32_e32 v18, 4, v64
	global_load_dwordx2 v[64:65], v[72:73], off
	v_lshl_add_u64 v[72:73], v[18:19], 3, s[10:11]
	global_load_dwordx2 v[72:73], v[72:73], off
	s_waitcnt vmcnt(14)
	v_xor_b32_e32 v74, 0x80000000, v27
	v_mov_b32_e32 v75, v26
	v_add_u32_e32 v16, 0x50, v16
	s_waitcnt vmcnt(8)
	v_pk_fma_f32 v[10:11], v[24:25], v[66:67], v[10:11] op_sel_hi:[1,0,1]
	v_pk_fma_f32 v[14:15], v[26:27], v[66:67], v[14:15] op_sel_hi:[1,0,1]
	v_pk_fma_f32 v[10:11], v[24:25], v[66:67], v[10:11] op_sel:[1,1,0] op_sel_hi:[0,1,1] neg_lo:[1,0,0]
	v_xor_b32_e32 v24, 0x80000000, v31
	v_mov_b32_e32 v25, v30
	v_pk_fma_f32 v[12:13], v[28:29], v[66:67], v[12:13] op_sel_hi:[1,0,1]
	v_pk_fma_f32 v[8:9], v[30:31], v[66:67], v[8:9] op_sel_hi:[1,0,1]
	v_pk_fma_f32 v[12:13], v[28:29], v[66:67], v[12:13] op_sel:[1,1,0] op_sel_hi:[0,1,1] neg_lo:[1,0,0]
	v_pk_fma_f32 v[14:15], v[74:75], v[66:67], v[14:15] op_sel:[0,1,0]
	v_pk_fma_f32 v[8:9], v[24:25], v[66:67], v[8:9] op_sel:[0,1,0]
	v_xor_b32_e32 v30, 0x80000000, v47
	v_mov_b32_e32 v31, v46
	v_xor_b32_e32 v74, 0x80000000, v43
	v_mov_b32_e32 v75, v42
	s_waitcnt vmcnt(7)
	v_pk_fma_f32 v[10:11], v[44:45], v[68:69], v[10:11] op_sel_hi:[1,0,1]
	v_pk_fma_f32 v[14:15], v[46:47], v[68:69], v[14:15] op_sel_hi:[1,0,1]
	;; [unrolled: 1-line block ×4, first 2 shown]
	v_pk_fma_f32 v[10:11], v[44:45], v[68:69], v[10:11] op_sel:[1,1,0] op_sel_hi:[0,1,1] neg_lo:[1,0,0]
	v_pk_fma_f32 v[14:15], v[30:31], v[68:69], v[14:15] op_sel:[0,1,0]
	v_pk_fma_f32 v[12:13], v[40:41], v[68:69], v[12:13] op_sel:[1,1,0] op_sel_hi:[0,1,1] neg_lo:[1,0,0]
	v_pk_fma_f32 v[8:9], v[74:75], v[68:69], v[8:9] op_sel:[0,1,0]
	s_waitcnt vmcnt(6)
	v_xor_b32_e32 v24, 0x80000000, v51
	v_mov_b32_e32 v25, v50
	s_waitcnt vmcnt(5)
	v_xor_b32_e32 v42, 0x80000000, v55
	v_mov_b32_e32 v43, v54
	s_waitcnt vmcnt(4)
	v_pk_fma_f32 v[10:11], v[48:49], v[70:71], v[10:11] op_sel_hi:[1,0,1]
	v_pk_fma_f32 v[14:15], v[50:51], v[70:71], v[14:15] op_sel_hi:[1,0,1]
	;; [unrolled: 1-line block ×4, first 2 shown]
	v_pk_fma_f32 v[10:11], v[48:49], v[70:71], v[10:11] op_sel:[1,1,0] op_sel_hi:[0,1,1] neg_lo:[1,0,0]
	v_pk_fma_f32 v[14:15], v[24:25], v[70:71], v[14:15] op_sel:[0,1,0]
	v_pk_fma_f32 v[12:13], v[52:53], v[70:71], v[12:13] op_sel:[1,1,0] op_sel_hi:[0,1,1] neg_lo:[1,0,0]
	v_pk_fma_f32 v[8:9], v[42:43], v[70:71], v[8:9] op_sel:[0,1,0]
	s_waitcnt vmcnt(3)
	v_xor_b32_e32 v30, 0x80000000, v59
	v_mov_b32_e32 v31, v58
	s_waitcnt vmcnt(2)
	v_xor_b32_e32 v40, 0x80000000, v63
	v_mov_b32_e32 v41, v62
	s_waitcnt vmcnt(1)
	v_pk_fma_f32 v[10:11], v[56:57], v[64:65], v[10:11] op_sel_hi:[1,0,1]
	v_pk_fma_f32 v[14:15], v[58:59], v[64:65], v[14:15] op_sel_hi:[1,0,1]
	;; [unrolled: 1-line block ×4, first 2 shown]
	v_pk_fma_f32 v[10:11], v[56:57], v[64:65], v[10:11] op_sel:[1,1,0] op_sel_hi:[0,1,1] neg_lo:[1,0,0]
	v_pk_fma_f32 v[14:15], v[30:31], v[64:65], v[14:15] op_sel:[0,1,0]
	v_pk_fma_f32 v[12:13], v[60:61], v[64:65], v[12:13] op_sel:[1,1,0] op_sel_hi:[0,1,1] neg_lo:[1,0,0]
	v_pk_fma_f32 v[8:9], v[40:41], v[64:65], v[8:9] op_sel:[0,1,0]
	v_xor_b32_e32 v26, 0x80000000, v39
	v_mov_b32_e32 v27, v38
	v_xor_b32_e32 v28, 0x80000000, v35
	v_mov_b32_e32 v29, v34
	s_waitcnt vmcnt(0)
	v_pk_fma_f32 v[10:11], v[36:37], v[72:73], v[10:11] op_sel_hi:[1,0,1]
	v_pk_fma_f32 v[14:15], v[38:39], v[72:73], v[14:15] op_sel_hi:[1,0,1]
	v_pk_fma_f32 v[12:13], v[32:33], v[72:73], v[12:13] op_sel_hi:[1,0,1]
	v_pk_fma_f32 v[8:9], v[34:35], v[72:73], v[8:9] op_sel_hi:[1,0,1]
	v_pk_fma_f32 v[10:11], v[36:37], v[72:73], v[10:11] op_sel:[1,1,0] op_sel_hi:[0,1,1] neg_lo:[1,0,0]
	v_pk_fma_f32 v[14:15], v[26:27], v[72:73], v[14:15] op_sel:[0,1,0]
	v_pk_fma_f32 v[12:13], v[32:33], v[72:73], v[12:13] op_sel:[1,1,0] op_sel_hi:[0,1,1] neg_lo:[1,0,0]
	v_pk_fma_f32 v[8:9], v[28:29], v[72:73], v[8:9] op_sel:[0,1,0]
	s_andn2_b64 exec, exec, s[14:15]
	s_cbranch_execnz .LBB89_5
; %bb.6:
	s_or_b64 exec, exec, s[14:15]
.LBB89_7:
	s_or_b64 exec, exec, s[4:5]
	s_cbranch_execz .LBB89_9
	s_branch .LBB89_14
.LBB89_8:
                                        ; implicit-def: $vgpr11
                                        ; implicit-def: $vgpr9
                                        ; implicit-def: $vgpr13
                                        ; implicit-def: $vgpr15
.LBB89_9:
	v_mov_b32_e32 v11, 0
	v_mov_b32_e32 v10, v11
	;; [unrolled: 1-line block ×8, first 2 shown]
	s_and_saveexec_b64 s[4:5], s[2:3]
	s_cbranch_execz .LBB89_13
; %bb.10:
	v_mad_u64_u32 v[16:17], s[2:3], v0, 20, 19
	v_mov_b32_e32 v19, 0
	s_mov_b64 s[2:3], 0
	v_mov_b32_e32 v14, v19
	v_mov_b32_e32 v15, v19
	;; [unrolled: 1-line block ×8, first 2 shown]
.LBB89_11:                              ; =>This Inner Loop Header: Depth=1
	v_ashrrev_i32_e32 v1, 31, v0
	v_lshl_add_u64 v[20:21], v[0:1], 2, s[6:7]
	global_load_dword v1, v[20:21], off
	v_subrev_u32_e32 v18, 19, v16
	v_add_u32_e32 v20, -14, v16
	v_mov_b32_e32 v21, v19
	v_add_u32_e32 v24, -9, v16
	v_add_u32_e32 v26, -4, v16
	v_mov_b32_e32 v25, v19
	v_mov_b32_e32 v27, v19
	v_lshl_add_u64 v[34:35], v[18:19], 3, s[8:9]
	v_lshl_add_u64 v[20:21], v[20:21], 3, s[8:9]
	v_mov_b32_e32 v33, v19
	v_lshl_add_u64 v[36:37], v[24:25], 3, s[8:9]
	v_lshl_add_u64 v[38:39], v[26:27], 3, s[8:9]
	global_load_dwordx2 v[42:43], v[20:21], off
	global_load_dwordx2 v[44:45], v[36:37], off
	;; [unrolled: 1-line block ×3, first 2 shown]
	global_load_dwordx4 v[24:27], v[34:35], off
	global_load_dwordx4 v[28:31], v[34:35], off offset:16
	v_mov_b32_e32 v17, v19
	v_lshl_add_u64 v[40:41], v[16:17], 3, s[8:9]
	v_add_u32_e32 v0, 4, v0
	v_cmp_ge_i32_e32 vcc, v0, v22
	s_or_b64 s[2:3], vcc, s[2:3]
	s_waitcnt vmcnt(5)
	v_subrev_u32_e32 v1, s12, v1
	v_lshl_add_u32 v32, v1, 2, v1
	v_add_u32_e32 v18, 1, v32
	v_lshl_add_u64 v[34:35], v[18:19], 3, s[10:11]
	v_add_u32_e32 v18, -13, v16
	v_lshl_add_u64 v[20:21], v[32:33], 3, s[10:11]
	v_lshl_add_u64 v[36:37], v[18:19], 3, s[8:9]
	v_add_u32_e32 v18, -8, v16
	global_load_dwordx2 v[20:21], v[20:21], off
	s_nop 0
	global_load_dwordx2 v[38:39], v[34:35], off
	global_load_dwordx2 v[48:49], v[36:37], off
	v_lshl_add_u64 v[34:35], v[18:19], 3, s[8:9]
	v_add_u32_e32 v18, -3, v16
	v_lshl_add_u64 v[36:37], v[18:19], 3, s[8:9]
	v_add_u32_e32 v18, 2, v32
	v_lshl_add_u64 v[50:51], v[18:19], 3, s[10:11]
	v_add_u32_e32 v18, -12, v16
	v_lshl_add_u64 v[52:53], v[18:19], 3, s[8:9]
	v_add_u32_e32 v18, -7, v16
	;; [unrolled: 2-line block ×3, first 2 shown]
	global_load_dwordx2 v[34:35], v[34:35], off
	v_lshl_add_u64 v[56:57], v[18:19], 3, s[8:9]
	v_add_u32_e32 v18, 3, v32
	global_load_dwordx2 v[36:37], v[36:37], off
	v_lshl_add_u64 v[58:59], v[18:19], 3, s[10:11]
	v_add_u32_e32 v18, -11, v16
	global_load_dwordx2 v[50:51], v[50:51], off
	v_lshl_add_u64 v[60:61], v[18:19], 3, s[8:9]
	global_load_dwordx2 v[52:53], v[52:53], off
	v_add_u32_e32 v18, -6, v16
	global_load_dwordx2 v[54:55], v[54:55], off
	v_lshl_add_u64 v[62:63], v[18:19], 3, s[8:9]
	v_add_u32_e32 v18, -1, v16
	global_load_dwordx2 v[56:57], v[56:57], off
	v_lshl_add_u64 v[64:65], v[18:19], 3, s[8:9]
	;; [unrolled: 3-line block ×3, first 2 shown]
	global_load_dwordx2 v[60:61], v[60:61], off
	v_add_u32_e32 v18, 4, v32
	global_load_dwordx2 v[62:63], v[62:63], off
	s_nop 0
	global_load_dwordx2 v[32:33], v[66:67], off
	global_load_dwordx2 v[68:69], v[64:65], off
	v_lshl_add_u64 v[64:65], v[18:19], 3, s[10:11]
	v_add_u32_e32 v18, -10, v16
	global_load_dwordx2 v[64:65], v[64:65], off
	v_lshl_add_u64 v[66:67], v[18:19], 3, s[8:9]
	v_add_u32_e32 v18, -5, v16
	global_load_dwordx2 v[66:67], v[66:67], off
	v_lshl_add_u64 v[70:71], v[18:19], 3, s[8:9]
	global_load_dwordx2 v[72:73], v[70:71], off
	global_load_dwordx2 v[74:75], v[40:41], off
	s_waitcnt vmcnt(22)
	v_xor_b32_e32 v40, 0x80000000, v43
	v_mov_b32_e32 v41, v42
	v_add_u32_e32 v16, 0x50, v16
	s_waitcnt vmcnt(17)
	v_pk_fma_f32 v[14:15], v[42:43], v[20:21], v[14:15] op_sel_hi:[1,0,1]
	v_xor_b32_e32 v42, 0x80000000, v45
	v_mov_b32_e32 v43, v44
	v_pk_fma_f32 v[12:13], v[44:45], v[20:21], v[12:13] op_sel_hi:[1,0,1]
	v_xor_b32_e32 v44, 0x80000000, v47
	v_mov_b32_e32 v45, v46
	v_pk_fma_f32 v[8:9], v[46:47], v[20:21], v[8:9] op_sel_hi:[1,0,1]
	v_pk_fma_f32 v[14:15], v[40:41], v[20:21], v[14:15] op_sel:[0,1,0]
	v_pk_fma_f32 v[10:11], v[24:25], v[20:21], v[10:11] op_sel_hi:[1,0,1]
	v_pk_fma_f32 v[12:13], v[42:43], v[20:21], v[12:13] op_sel:[0,1,0]
	v_pk_fma_f32 v[8:9], v[44:45], v[20:21], v[8:9] op_sel:[0,1,0]
	v_pk_fma_f32 v[10:11], v[24:25], v[20:21], v[10:11] op_sel:[1,1,0] op_sel_hi:[0,1,1] neg_lo:[1,0,0]
	s_waitcnt vmcnt(15)
	v_xor_b32_e32 v20, 0x80000000, v49
	v_pk_fma_f32 v[14:15], v[48:49], v[38:39], v[14:15] op_sel_hi:[1,0,1]
	v_mov_b32_e32 v21, v48
	v_pk_fma_f32 v[14:15], v[20:21], v[38:39], v[14:15] op_sel:[0,1,0]
	s_waitcnt vmcnt(14)
	v_xor_b32_e32 v20, 0x80000000, v35
	v_pk_fma_f32 v[12:13], v[34:35], v[38:39], v[12:13] op_sel_hi:[1,0,1]
	v_mov_b32_e32 v21, v34
	v_xor_b32_e32 v46, 0x80000000, v27
	v_mov_b32_e32 v47, v26
	v_pk_fma_f32 v[10:11], v[26:27], v[38:39], v[10:11] op_sel_hi:[1,0,1]
	v_pk_fma_f32 v[12:13], v[20:21], v[38:39], v[12:13] op_sel:[0,1,0]
	s_waitcnt vmcnt(13)
	v_xor_b32_e32 v20, 0x80000000, v37
	v_pk_fma_f32 v[8:9], v[36:37], v[38:39], v[8:9] op_sel_hi:[1,0,1]
	v_mov_b32_e32 v21, v36
	v_pk_fma_f32 v[10:11], v[46:47], v[38:39], v[10:11] op_sel:[0,1,0]
	v_pk_fma_f32 v[8:9], v[20:21], v[38:39], v[8:9] op_sel:[0,1,0]
	s_waitcnt vmcnt(11)
	v_xor_b32_e32 v20, 0x80000000, v53
	v_pk_fma_f32 v[14:15], v[52:53], v[50:51], v[14:15] op_sel_hi:[1,0,1]
	v_mov_b32_e32 v21, v52
	v_pk_fma_f32 v[10:11], v[28:29], v[50:51], v[10:11] op_sel_hi:[1,0,1]
	v_pk_fma_f32 v[14:15], v[20:21], v[50:51], v[14:15] op_sel:[0,1,0]
	s_waitcnt vmcnt(10)
	v_xor_b32_e32 v20, 0x80000000, v55
	v_pk_fma_f32 v[12:13], v[54:55], v[50:51], v[12:13] op_sel_hi:[1,0,1]
	v_mov_b32_e32 v21, v54
	v_pk_fma_f32 v[10:11], v[28:29], v[50:51], v[10:11] op_sel:[1,1,0] op_sel_hi:[0,1,1] neg_lo:[1,0,0]
	v_pk_fma_f32 v[12:13], v[20:21], v[50:51], v[12:13] op_sel:[0,1,0]
	s_waitcnt vmcnt(9)
	v_xor_b32_e32 v20, 0x80000000, v57
	v_pk_fma_f32 v[8:9], v[56:57], v[50:51], v[8:9] op_sel_hi:[1,0,1]
	v_mov_b32_e32 v21, v56
	v_xor_b32_e32 v40, 0x80000000, v31
	v_mov_b32_e32 v41, v30
	s_waitcnt vmcnt(8)
	v_pk_fma_f32 v[10:11], v[30:31], v[58:59], v[10:11] op_sel_hi:[1,0,1]
	v_pk_fma_f32 v[8:9], v[20:21], v[50:51], v[8:9] op_sel:[0,1,0]
	s_waitcnt vmcnt(7)
	v_xor_b32_e32 v20, 0x80000000, v61
	v_pk_fma_f32 v[14:15], v[60:61], v[58:59], v[14:15] op_sel_hi:[1,0,1]
	v_mov_b32_e32 v21, v60
	v_pk_fma_f32 v[10:11], v[40:41], v[58:59], v[10:11] op_sel:[0,1,0]
	v_pk_fma_f32 v[14:15], v[20:21], v[58:59], v[14:15] op_sel:[0,1,0]
	s_waitcnt vmcnt(6)
	v_xor_b32_e32 v20, 0x80000000, v63
	v_pk_fma_f32 v[12:13], v[62:63], v[58:59], v[12:13] op_sel_hi:[1,0,1]
	v_mov_b32_e32 v21, v62
	v_pk_fma_f32 v[12:13], v[20:21], v[58:59], v[12:13] op_sel:[0,1,0]
	s_waitcnt vmcnt(5)
	v_xor_b32_e32 v20, 0x80000000, v33
	v_mov_b32_e32 v21, v32
	s_waitcnt vmcnt(4)
	v_xor_b32_e32 v24, 0x80000000, v69
	v_pk_fma_f32 v[8:9], v[68:69], v[58:59], v[8:9] op_sel_hi:[1,0,1]
	v_mov_b32_e32 v25, v68
	s_waitcnt vmcnt(3)
	v_pk_fma_f32 v[10:11], v[32:33], v[64:65], v[10:11] op_sel_hi:[1,0,1]
	v_pk_fma_f32 v[8:9], v[24:25], v[58:59], v[8:9] op_sel:[0,1,0]
	v_pk_fma_f32 v[10:11], v[20:21], v[64:65], v[10:11] op_sel:[0,1,0]
	s_waitcnt vmcnt(2)
	v_xor_b32_e32 v20, 0x80000000, v67
	v_pk_fma_f32 v[14:15], v[66:67], v[64:65], v[14:15] op_sel_hi:[1,0,1]
	v_mov_b32_e32 v21, v66
	v_pk_fma_f32 v[14:15], v[20:21], v[64:65], v[14:15] op_sel:[0,1,0]
	s_waitcnt vmcnt(1)
	v_xor_b32_e32 v20, 0x80000000, v73
	v_pk_fma_f32 v[12:13], v[72:73], v[64:65], v[12:13] op_sel_hi:[1,0,1]
	v_mov_b32_e32 v21, v72
	s_waitcnt vmcnt(0)
	v_xor_b32_e32 v24, 0x80000000, v75
	v_pk_fma_f32 v[8:9], v[74:75], v[64:65], v[8:9] op_sel_hi:[1,0,1]
	v_mov_b32_e32 v25, v74
	v_pk_fma_f32 v[12:13], v[20:21], v[64:65], v[12:13] op_sel:[0,1,0]
	v_pk_fma_f32 v[8:9], v[24:25], v[64:65], v[8:9] op_sel:[0,1,0]
	s_andn2_b64 exec, exec, s[2:3]
	s_cbranch_execnz .LBB89_11
; %bb.12:
	s_or_b64 exec, exec, s[2:3]
.LBB89_13:
	s_or_b64 exec, exec, s[4:5]
.LBB89_14:
	v_mov_b32_dpp v18, v12 row_shr:1 row_mask:0xf bank_mask:0xf
	v_add_f32_e32 v19, v12, v18
	v_mov_b32_dpp v12, v13 row_shr:1 row_mask:0xf bank_mask:0xf
	v_mov_b32_dpp v0, v10 row_shr:1 row_mask:0xf bank_mask:0xf
	v_add_f32_e32 v13, v13, v12
	v_mov_b32_dpp v12, v8 row_shr:1 row_mask:0xf bank_mask:0xf
	v_add_f32_e32 v0, v10, v0
	v_mov_b32_dpp v10, v11 row_shr:1 row_mask:0xf bank_mask:0xf
	v_mov_b32_dpp v16, v14 row_shr:1 row_mask:0xf bank_mask:0xf
	;; [unrolled: 1-line block ×3, first 2 shown]
	v_add_f32_e32 v23, v8, v12
	v_mov_b32_dpp v8, v9 row_shr:1 row_mask:0xf bank_mask:0xf
	v_add_f32_e32 v10, v11, v10
	v_add_f32_e32 v14, v14, v16
	;; [unrolled: 1-line block ×4, first 2 shown]
	v_mov_b32_dpp v1, v0 row_shr:2 row_mask:0xf bank_mask:0xf
	v_mov_b32_dpp v11, v10 row_shr:2 row_mask:0xf bank_mask:0xf
	;; [unrolled: 1-line block ×8, first 2 shown]
	v_cmp_eq_u32_e32 vcc, 3, v7
	s_and_b64 exec, exec, vcc
	s_cbranch_execz .LBB89_19
; %bb.15:
	s_load_dwordx2 s[2:3], s[0:1], 0x38
	v_cmp_eq_f32_e32 vcc, 0, v4
	v_cmp_eq_f32_e64 s[0:1], 0, v5
	v_add_f32_e32 v12, v0, v1
	v_add_f32_e32 v20, v10, v11
	;; [unrolled: 1-line block ×8, first 2 shown]
	s_and_b64 s[0:1], vcc, s[0:1]
	s_and_saveexec_b64 s[4:5], s[0:1]
	s_xor_b64 s[0:1], exec, s[4:5]
	s_cbranch_execz .LBB89_17
; %bb.16:
	v_lshlrev_b32_e32 v4, 2, v6
	v_xor_b32_e32 v22, 0x80000000, v3
	v_ashrrev_i32_e32 v5, 31, v4
	v_mov_b32_e32 v23, v2
	s_waitcnt lgkmcnt(0)
	v_lshl_add_u64 v[24:25], v[4:5], 3, s[2:3]
	v_pk_mul_f32 v[4:5], v[20:21], v[22:23] op_sel_hi:[0,1]
	v_pk_mul_f32 v[6:7], v[18:19], v[22:23] op_sel_hi:[0,1]
	v_pk_fma_f32 v[4:5], v[2:3], v[12:13], v[4:5] op_sel_hi:[1,0,1]
	v_pk_fma_f32 v[6:7], v[2:3], v[10:11], v[6:7] op_sel_hi:[1,0,1]
	global_store_dwordx4 v[24:25], v[4:7], off
                                        ; implicit-def: $vgpr12
                                        ; implicit-def: $vgpr20
                                        ; implicit-def: $vgpr10
                                        ; implicit-def: $vgpr18
	s_nop 1
	v_pk_mul_f32 v[4:5], v[16:17], v[22:23] op_sel_hi:[0,1]
	v_pk_mul_f32 v[6:7], v[14:15], v[22:23] op_sel_hi:[0,1]
	v_pk_fma_f32 v[4:5], v[2:3], v[8:9], v[4:5] op_sel_hi:[1,0,1]
	v_pk_fma_f32 v[6:7], v[2:3], v[0:1], v[6:7] op_sel_hi:[1,0,1]
	global_store_dwordx4 v[24:25], v[4:7], off offset:16
                                        ; implicit-def: $vgpr6
                                        ; implicit-def: $vgpr8
                                        ; implicit-def: $vgpr16
                                        ; implicit-def: $vgpr0
                                        ; implicit-def: $vgpr14
                                        ; implicit-def: $vgpr2_vgpr3
                                        ; implicit-def: $vgpr4_vgpr5
.LBB89_17:
	s_andn2_saveexec_b64 s[0:1], s[0:1]
	s_cbranch_execz .LBB89_19
; %bb.18:
	v_lshlrev_b32_e32 v6, 2, v6
	v_ashrrev_i32_e32 v7, 31, v6
	s_waitcnt lgkmcnt(0)
	v_lshl_add_u64 v[30:31], v[6:7], 3, s[2:3]
	global_load_dwordx4 v[22:25], v[30:31], off
	global_load_dwordx4 v[26:29], v[30:31], off offset:16
	v_xor_b32_e32 v6, 0x80000000, v3
	v_mov_b32_e32 v7, v2
	v_pk_mul_f32 v[20:21], v[20:21], v[6:7] op_sel_hi:[0,1]
	v_pk_mul_f32 v[18:19], v[18:19], v[6:7] op_sel_hi:[0,1]
	;; [unrolled: 1-line block ×4, first 2 shown]
	v_pk_fma_f32 v[12:13], v[2:3], v[12:13], v[20:21] op_sel_hi:[1,0,1]
	v_pk_fma_f32 v[10:11], v[2:3], v[10:11], v[18:19] op_sel_hi:[1,0,1]
	v_xor_b32_e32 v32, 0x80000000, v5
	v_mov_b32_e32 v33, v4
	v_pk_fma_f32 v[8:9], v[2:3], v[8:9], v[16:17] op_sel_hi:[1,0,1]
	v_pk_fma_f32 v[0:1], v[2:3], v[0:1], v[6:7] op_sel_hi:[1,0,1]
	s_waitcnt vmcnt(1)
	v_pk_fma_f32 v[2:3], v[4:5], v[22:23], v[12:13] op_sel_hi:[1,0,1]
	v_pk_fma_f32 v[6:7], v[4:5], v[24:25], v[10:11] op_sel_hi:[1,0,1]
	v_mov_b32_e32 v10, v25
	s_waitcnt vmcnt(0)
	v_pk_fma_f32 v[8:9], v[4:5], v[26:27], v[8:9] op_sel_hi:[1,0,1]
	v_pk_fma_f32 v[12:13], v[4:5], v[28:29], v[0:1] op_sel_hi:[1,0,1]
	v_mov_b32_e32 v14, v29
	v_pk_fma_f32 v[0:1], v[32:33], v[22:23], v[2:3] op_sel:[0,1,0]
	v_pk_fma_f32 v[2:3], v[32:33], v[10:11], v[6:7] op_sel_hi:[1,0,1]
	v_pk_fma_f32 v[4:5], v[32:33], v[26:27], v[8:9] op_sel:[0,1,0]
	v_pk_fma_f32 v[6:7], v[32:33], v[14:15], v[12:13] op_sel_hi:[1,0,1]
	global_store_dwordx4 v[30:31], v[0:3], off
	global_store_dwordx4 v[30:31], v[4:7], off offset:16
.LBB89_19:
	s_endpgm
	.section	.rodata,"a",@progbits
	.p2align	6, 0x0
	.amdhsa_kernel _ZN9rocsparseL19gebsrmvn_4xn_kernelILj128ELj5ELj4E21rocsparse_complex_numIfEEEvi20rocsparse_direction_NS_24const_host_device_scalarIT2_EEPKiS8_PKS5_SA_S6_PS5_21rocsparse_index_base_b
		.amdhsa_group_segment_fixed_size 0
		.amdhsa_private_segment_fixed_size 0
		.amdhsa_kernarg_size 72
		.amdhsa_user_sgpr_count 2
		.amdhsa_user_sgpr_dispatch_ptr 0
		.amdhsa_user_sgpr_queue_ptr 0
		.amdhsa_user_sgpr_kernarg_segment_ptr 1
		.amdhsa_user_sgpr_dispatch_id 0
		.amdhsa_user_sgpr_kernarg_preload_length 0
		.amdhsa_user_sgpr_kernarg_preload_offset 0
		.amdhsa_user_sgpr_private_segment_size 0
		.amdhsa_uses_dynamic_stack 0
		.amdhsa_enable_private_segment 0
		.amdhsa_system_sgpr_workgroup_id_x 1
		.amdhsa_system_sgpr_workgroup_id_y 0
		.amdhsa_system_sgpr_workgroup_id_z 0
		.amdhsa_system_sgpr_workgroup_info 0
		.amdhsa_system_vgpr_workitem_id 0
		.amdhsa_next_free_vgpr 76
		.amdhsa_next_free_sgpr 16
		.amdhsa_accum_offset 76
		.amdhsa_reserve_vcc 1
		.amdhsa_float_round_mode_32 0
		.amdhsa_float_round_mode_16_64 0
		.amdhsa_float_denorm_mode_32 3
		.amdhsa_float_denorm_mode_16_64 3
		.amdhsa_dx10_clamp 1
		.amdhsa_ieee_mode 1
		.amdhsa_fp16_overflow 0
		.amdhsa_tg_split 0
		.amdhsa_exception_fp_ieee_invalid_op 0
		.amdhsa_exception_fp_denorm_src 0
		.amdhsa_exception_fp_ieee_div_zero 0
		.amdhsa_exception_fp_ieee_overflow 0
		.amdhsa_exception_fp_ieee_underflow 0
		.amdhsa_exception_fp_ieee_inexact 0
		.amdhsa_exception_int_div_zero 0
	.end_amdhsa_kernel
	.section	.text._ZN9rocsparseL19gebsrmvn_4xn_kernelILj128ELj5ELj4E21rocsparse_complex_numIfEEEvi20rocsparse_direction_NS_24const_host_device_scalarIT2_EEPKiS8_PKS5_SA_S6_PS5_21rocsparse_index_base_b,"axG",@progbits,_ZN9rocsparseL19gebsrmvn_4xn_kernelILj128ELj5ELj4E21rocsparse_complex_numIfEEEvi20rocsparse_direction_NS_24const_host_device_scalarIT2_EEPKiS8_PKS5_SA_S6_PS5_21rocsparse_index_base_b,comdat
.Lfunc_end89:
	.size	_ZN9rocsparseL19gebsrmvn_4xn_kernelILj128ELj5ELj4E21rocsparse_complex_numIfEEEvi20rocsparse_direction_NS_24const_host_device_scalarIT2_EEPKiS8_PKS5_SA_S6_PS5_21rocsparse_index_base_b, .Lfunc_end89-_ZN9rocsparseL19gebsrmvn_4xn_kernelILj128ELj5ELj4E21rocsparse_complex_numIfEEEvi20rocsparse_direction_NS_24const_host_device_scalarIT2_EEPKiS8_PKS5_SA_S6_PS5_21rocsparse_index_base_b
                                        ; -- End function
	.set _ZN9rocsparseL19gebsrmvn_4xn_kernelILj128ELj5ELj4E21rocsparse_complex_numIfEEEvi20rocsparse_direction_NS_24const_host_device_scalarIT2_EEPKiS8_PKS5_SA_S6_PS5_21rocsparse_index_base_b.num_vgpr, 76
	.set _ZN9rocsparseL19gebsrmvn_4xn_kernelILj128ELj5ELj4E21rocsparse_complex_numIfEEEvi20rocsparse_direction_NS_24const_host_device_scalarIT2_EEPKiS8_PKS5_SA_S6_PS5_21rocsparse_index_base_b.num_agpr, 0
	.set _ZN9rocsparseL19gebsrmvn_4xn_kernelILj128ELj5ELj4E21rocsparse_complex_numIfEEEvi20rocsparse_direction_NS_24const_host_device_scalarIT2_EEPKiS8_PKS5_SA_S6_PS5_21rocsparse_index_base_b.numbered_sgpr, 16
	.set _ZN9rocsparseL19gebsrmvn_4xn_kernelILj128ELj5ELj4E21rocsparse_complex_numIfEEEvi20rocsparse_direction_NS_24const_host_device_scalarIT2_EEPKiS8_PKS5_SA_S6_PS5_21rocsparse_index_base_b.num_named_barrier, 0
	.set _ZN9rocsparseL19gebsrmvn_4xn_kernelILj128ELj5ELj4E21rocsparse_complex_numIfEEEvi20rocsparse_direction_NS_24const_host_device_scalarIT2_EEPKiS8_PKS5_SA_S6_PS5_21rocsparse_index_base_b.private_seg_size, 0
	.set _ZN9rocsparseL19gebsrmvn_4xn_kernelILj128ELj5ELj4E21rocsparse_complex_numIfEEEvi20rocsparse_direction_NS_24const_host_device_scalarIT2_EEPKiS8_PKS5_SA_S6_PS5_21rocsparse_index_base_b.uses_vcc, 1
	.set _ZN9rocsparseL19gebsrmvn_4xn_kernelILj128ELj5ELj4E21rocsparse_complex_numIfEEEvi20rocsparse_direction_NS_24const_host_device_scalarIT2_EEPKiS8_PKS5_SA_S6_PS5_21rocsparse_index_base_b.uses_flat_scratch, 0
	.set _ZN9rocsparseL19gebsrmvn_4xn_kernelILj128ELj5ELj4E21rocsparse_complex_numIfEEEvi20rocsparse_direction_NS_24const_host_device_scalarIT2_EEPKiS8_PKS5_SA_S6_PS5_21rocsparse_index_base_b.has_dyn_sized_stack, 0
	.set _ZN9rocsparseL19gebsrmvn_4xn_kernelILj128ELj5ELj4E21rocsparse_complex_numIfEEEvi20rocsparse_direction_NS_24const_host_device_scalarIT2_EEPKiS8_PKS5_SA_S6_PS5_21rocsparse_index_base_b.has_recursion, 0
	.set _ZN9rocsparseL19gebsrmvn_4xn_kernelILj128ELj5ELj4E21rocsparse_complex_numIfEEEvi20rocsparse_direction_NS_24const_host_device_scalarIT2_EEPKiS8_PKS5_SA_S6_PS5_21rocsparse_index_base_b.has_indirect_call, 0
	.section	.AMDGPU.csdata,"",@progbits
; Kernel info:
; codeLenInByte = 2972
; TotalNumSgprs: 22
; NumVgprs: 76
; NumAgprs: 0
; TotalNumVgprs: 76
; ScratchSize: 0
; MemoryBound: 0
; FloatMode: 240
; IeeeMode: 1
; LDSByteSize: 0 bytes/workgroup (compile time only)
; SGPRBlocks: 2
; VGPRBlocks: 9
; NumSGPRsForWavesPerEU: 22
; NumVGPRsForWavesPerEU: 76
; AccumOffset: 76
; Occupancy: 6
; WaveLimiterHint : 1
; COMPUTE_PGM_RSRC2:SCRATCH_EN: 0
; COMPUTE_PGM_RSRC2:USER_SGPR: 2
; COMPUTE_PGM_RSRC2:TRAP_HANDLER: 0
; COMPUTE_PGM_RSRC2:TGID_X_EN: 1
; COMPUTE_PGM_RSRC2:TGID_Y_EN: 0
; COMPUTE_PGM_RSRC2:TGID_Z_EN: 0
; COMPUTE_PGM_RSRC2:TIDIG_COMP_CNT: 0
; COMPUTE_PGM_RSRC3_GFX90A:ACCUM_OFFSET: 18
; COMPUTE_PGM_RSRC3_GFX90A:TG_SPLIT: 0
	.section	.text._ZN9rocsparseL19gebsrmvn_4xn_kernelILj128ELj5ELj8E21rocsparse_complex_numIfEEEvi20rocsparse_direction_NS_24const_host_device_scalarIT2_EEPKiS8_PKS5_SA_S6_PS5_21rocsparse_index_base_b,"axG",@progbits,_ZN9rocsparseL19gebsrmvn_4xn_kernelILj128ELj5ELj8E21rocsparse_complex_numIfEEEvi20rocsparse_direction_NS_24const_host_device_scalarIT2_EEPKiS8_PKS5_SA_S6_PS5_21rocsparse_index_base_b,comdat
	.globl	_ZN9rocsparseL19gebsrmvn_4xn_kernelILj128ELj5ELj8E21rocsparse_complex_numIfEEEvi20rocsparse_direction_NS_24const_host_device_scalarIT2_EEPKiS8_PKS5_SA_S6_PS5_21rocsparse_index_base_b ; -- Begin function _ZN9rocsparseL19gebsrmvn_4xn_kernelILj128ELj5ELj8E21rocsparse_complex_numIfEEEvi20rocsparse_direction_NS_24const_host_device_scalarIT2_EEPKiS8_PKS5_SA_S6_PS5_21rocsparse_index_base_b
	.p2align	8
	.type	_ZN9rocsparseL19gebsrmvn_4xn_kernelILj128ELj5ELj8E21rocsparse_complex_numIfEEEvi20rocsparse_direction_NS_24const_host_device_scalarIT2_EEPKiS8_PKS5_SA_S6_PS5_21rocsparse_index_base_b,@function
_ZN9rocsparseL19gebsrmvn_4xn_kernelILj128ELj5ELj8E21rocsparse_complex_numIfEEEvi20rocsparse_direction_NS_24const_host_device_scalarIT2_EEPKiS8_PKS5_SA_S6_PS5_21rocsparse_index_base_b: ; @_ZN9rocsparseL19gebsrmvn_4xn_kernelILj128ELj5ELj8E21rocsparse_complex_numIfEEEvi20rocsparse_direction_NS_24const_host_device_scalarIT2_EEPKiS8_PKS5_SA_S6_PS5_21rocsparse_index_base_b
; %bb.0:
	s_load_dwordx2 s[4:5], s[0:1], 0x8
	s_load_dwordx2 s[6:7], s[0:1], 0x30
	;; [unrolled: 1-line block ×3, first 2 shown]
	s_add_u32 s3, s0, 8
	s_addc_u32 s8, s1, 0
	s_add_u32 s9, s0, 48
	s_addc_u32 s10, s1, 0
	s_waitcnt lgkmcnt(0)
	s_bitcmp1_b32 s13, 0
	s_cselect_b32 s3, s3, s4
	s_cselect_b32 s5, s8, s5
	v_mov_b32_e32 v2, s3
	s_cselect_b32 s3, s10, s7
	s_cselect_b32 s4, s9, s6
	v_mov_b32_e32 v3, s5
	v_mov_b32_e32 v4, s4
	;; [unrolled: 1-line block ×3, first 2 shown]
	flat_load_dwordx2 v[2:3], v[2:3]
	s_waitcnt vmcnt(0) lgkmcnt(0)
	v_cmp_eq_f32_e32 vcc, 0, v2
	flat_load_dwordx2 v[4:5], v[4:5]
	v_cmp_eq_f32_e64 s[4:5], 0, v3
	s_and_b64 s[4:5], vcc, s[4:5]
	s_waitcnt vmcnt(0) lgkmcnt(0)
	v_cmp_eq_f32_e64 s[6:7], 1.0, v4
	v_cmp_eq_f32_e64 s[8:9], 0, v5
	s_and_b64 s[6:7], s[6:7], s[8:9]
	s_and_b64 s[4:5], s[4:5], s[6:7]
	s_xor_b64 s[4:5], s[4:5], -1
	s_and_saveexec_b64 s[6:7], s[4:5]
	s_cbranch_execz .LBB90_19
; %bb.1:
	s_load_dwordx2 s[14:15], s[0:1], 0x0
	v_lshrrev_b32_e32 v1, 3, v0
	v_lshl_or_b32 v6, s2, 4, v1
	s_waitcnt lgkmcnt(0)
	v_cmp_gt_i32_e32 vcc, s14, v6
	s_and_b64 exec, exec, vcc
	s_cbranch_execz .LBB90_19
; %bb.2:
	s_load_dwordx8 s[4:11], s[0:1], 0x10
	v_ashrrev_i32_e32 v7, 31, v6
	s_cmp_lg_u32 s15, 0
	s_waitcnt lgkmcnt(0)
	v_lshl_add_u64 v[8:9], v[6:7], 2, s[4:5]
	global_load_dwordx2 v[8:9], v[8:9], off
	v_and_b32_e32 v7, 7, v0
	s_waitcnt vmcnt(0)
	v_subrev_u32_e32 v0, s12, v8
	v_subrev_u32_e32 v22, s12, v9
	v_add_u32_e32 v0, v0, v7
	v_cmp_lt_i32_e64 s[2:3], v0, v22
	s_cbranch_scc0 .LBB90_8
; %bb.3:
	v_mov_b32_e32 v13, 0
	v_mov_b32_e32 v12, v13
	;; [unrolled: 1-line block ×8, first 2 shown]
	s_and_saveexec_b64 s[4:5], s[2:3]
	s_cbranch_execz .LBB90_7
; %bb.4:
	v_mad_u64_u32 v[16:17], s[14:15], v0, 20, 16
	v_mov_b32_e32 v19, 0
	s_mov_b64 s[14:15], 0
	v_mov_b32_e32 v20, v0
	v_mov_b32_e32 v14, v19
	;; [unrolled: 1-line block ×9, first 2 shown]
.LBB90_5:                               ; =>This Inner Loop Header: Depth=1
	v_ashrrev_i32_e32 v21, 31, v20
	v_lshl_add_u64 v[24:25], v[20:21], 2, s[6:7]
	global_load_dword v1, v[24:25], off
	v_add_u32_e32 v18, -16, v16
	v_mov_b32_e32 v17, v19
	v_mov_b32_e32 v65, v19
	v_lshl_add_u64 v[32:33], v[18:19], 3, s[8:9]
	v_add_u32_e32 v18, -12, v16
	v_lshl_add_u64 v[48:49], v[16:17], 3, s[8:9]
	global_load_dwordx4 v[24:27], v[32:33], off
	global_load_dwordx4 v[28:31], v[32:33], off offset:16
	v_lshl_add_u64 v[50:51], v[18:19], 3, s[8:9]
	global_load_dwordx4 v[32:35], v[48:49], off offset:16
	global_load_dwordx4 v[36:39], v[48:49], off
	global_load_dwordx4 v[40:43], v[50:51], off offset:16
	global_load_dwordx4 v[44:47], v[50:51], off
	v_add_u32_e32 v20, 8, v20
	v_cmp_ge_i32_e32 vcc, v20, v22
	s_or_b64 s[14:15], vcc, s[14:15]
	s_waitcnt vmcnt(6)
	v_subrev_u32_e32 v1, s12, v1
	v_lshl_add_u32 v64, v1, 2, v1
	v_lshl_add_u64 v[48:49], v[64:65], 3, s[10:11]
	global_load_dwordx2 v[66:67], v[48:49], off
	v_add_u32_e32 v18, 1, v64
	v_lshl_add_u64 v[48:49], v[18:19], 3, s[10:11]
	v_add_u32_e32 v18, -8, v16
	global_load_dwordx2 v[68:69], v[48:49], off
	v_lshl_add_u64 v[56:57], v[18:19], 3, s[8:9]
	v_add_u32_e32 v18, 2, v64
	global_load_dwordx4 v[48:51], v[56:57], off
	global_load_dwordx4 v[52:55], v[56:57], off offset:16
	v_lshl_add_u64 v[56:57], v[18:19], 3, s[10:11]
	v_add_u32_e32 v18, -4, v16
	global_load_dwordx2 v[70:71], v[56:57], off
	v_lshl_add_u64 v[72:73], v[18:19], 3, s[8:9]
	v_add_u32_e32 v18, 3, v64
	global_load_dwordx4 v[56:59], v[72:73], off
	global_load_dwordx4 v[60:63], v[72:73], off offset:16
	v_lshl_add_u64 v[72:73], v[18:19], 3, s[10:11]
	v_add_u32_e32 v18, 4, v64
	global_load_dwordx2 v[64:65], v[72:73], off
	v_lshl_add_u64 v[72:73], v[18:19], 3, s[10:11]
	global_load_dwordx2 v[72:73], v[72:73], off
	s_waitcnt vmcnt(14)
	v_xor_b32_e32 v74, 0x80000000, v27
	v_mov_b32_e32 v75, v26
	v_add_u32_e32 v16, 0xa0, v16
	s_waitcnt vmcnt(8)
	v_pk_fma_f32 v[12:13], v[24:25], v[66:67], v[12:13] op_sel_hi:[1,0,1]
	v_pk_fma_f32 v[14:15], v[26:27], v[66:67], v[14:15] op_sel_hi:[1,0,1]
	v_pk_fma_f32 v[12:13], v[24:25], v[66:67], v[12:13] op_sel:[1,1,0] op_sel_hi:[0,1,1] neg_lo:[1,0,0]
	v_xor_b32_e32 v24, 0x80000000, v31
	v_mov_b32_e32 v25, v30
	v_pk_fma_f32 v[10:11], v[28:29], v[66:67], v[10:11] op_sel_hi:[1,0,1]
	v_pk_fma_f32 v[8:9], v[30:31], v[66:67], v[8:9] op_sel_hi:[1,0,1]
	v_pk_fma_f32 v[10:11], v[28:29], v[66:67], v[10:11] op_sel:[1,1,0] op_sel_hi:[0,1,1] neg_lo:[1,0,0]
	v_pk_fma_f32 v[14:15], v[74:75], v[66:67], v[14:15] op_sel:[0,1,0]
	v_pk_fma_f32 v[8:9], v[24:25], v[66:67], v[8:9] op_sel:[0,1,0]
	v_xor_b32_e32 v30, 0x80000000, v47
	v_mov_b32_e32 v31, v46
	v_xor_b32_e32 v74, 0x80000000, v43
	v_mov_b32_e32 v75, v42
	s_waitcnt vmcnt(7)
	v_pk_fma_f32 v[12:13], v[44:45], v[68:69], v[12:13] op_sel_hi:[1,0,1]
	v_pk_fma_f32 v[14:15], v[46:47], v[68:69], v[14:15] op_sel_hi:[1,0,1]
	;; [unrolled: 1-line block ×4, first 2 shown]
	v_pk_fma_f32 v[12:13], v[44:45], v[68:69], v[12:13] op_sel:[1,1,0] op_sel_hi:[0,1,1] neg_lo:[1,0,0]
	v_pk_fma_f32 v[14:15], v[30:31], v[68:69], v[14:15] op_sel:[0,1,0]
	v_pk_fma_f32 v[10:11], v[40:41], v[68:69], v[10:11] op_sel:[1,1,0] op_sel_hi:[0,1,1] neg_lo:[1,0,0]
	v_pk_fma_f32 v[8:9], v[74:75], v[68:69], v[8:9] op_sel:[0,1,0]
	s_waitcnt vmcnt(6)
	v_xor_b32_e32 v24, 0x80000000, v51
	v_mov_b32_e32 v25, v50
	s_waitcnt vmcnt(5)
	v_xor_b32_e32 v42, 0x80000000, v55
	v_mov_b32_e32 v43, v54
	s_waitcnt vmcnt(4)
	v_pk_fma_f32 v[12:13], v[48:49], v[70:71], v[12:13] op_sel_hi:[1,0,1]
	v_pk_fma_f32 v[14:15], v[50:51], v[70:71], v[14:15] op_sel_hi:[1,0,1]
	v_pk_fma_f32 v[10:11], v[52:53], v[70:71], v[10:11] op_sel_hi:[1,0,1]
	v_pk_fma_f32 v[8:9], v[54:55], v[70:71], v[8:9] op_sel_hi:[1,0,1]
	v_pk_fma_f32 v[12:13], v[48:49], v[70:71], v[12:13] op_sel:[1,1,0] op_sel_hi:[0,1,1] neg_lo:[1,0,0]
	v_pk_fma_f32 v[14:15], v[24:25], v[70:71], v[14:15] op_sel:[0,1,0]
	v_pk_fma_f32 v[10:11], v[52:53], v[70:71], v[10:11] op_sel:[1,1,0] op_sel_hi:[0,1,1] neg_lo:[1,0,0]
	v_pk_fma_f32 v[8:9], v[42:43], v[70:71], v[8:9] op_sel:[0,1,0]
	s_waitcnt vmcnt(3)
	v_xor_b32_e32 v30, 0x80000000, v59
	v_mov_b32_e32 v31, v58
	s_waitcnt vmcnt(2)
	v_xor_b32_e32 v40, 0x80000000, v63
	v_mov_b32_e32 v41, v62
	s_waitcnt vmcnt(1)
	v_pk_fma_f32 v[12:13], v[56:57], v[64:65], v[12:13] op_sel_hi:[1,0,1]
	v_pk_fma_f32 v[14:15], v[58:59], v[64:65], v[14:15] op_sel_hi:[1,0,1]
	;; [unrolled: 1-line block ×4, first 2 shown]
	v_pk_fma_f32 v[12:13], v[56:57], v[64:65], v[12:13] op_sel:[1,1,0] op_sel_hi:[0,1,1] neg_lo:[1,0,0]
	v_pk_fma_f32 v[14:15], v[30:31], v[64:65], v[14:15] op_sel:[0,1,0]
	v_pk_fma_f32 v[10:11], v[60:61], v[64:65], v[10:11] op_sel:[1,1,0] op_sel_hi:[0,1,1] neg_lo:[1,0,0]
	v_pk_fma_f32 v[8:9], v[40:41], v[64:65], v[8:9] op_sel:[0,1,0]
	v_xor_b32_e32 v26, 0x80000000, v39
	v_mov_b32_e32 v27, v38
	v_xor_b32_e32 v28, 0x80000000, v35
	v_mov_b32_e32 v29, v34
	s_waitcnt vmcnt(0)
	v_pk_fma_f32 v[12:13], v[36:37], v[72:73], v[12:13] op_sel_hi:[1,0,1]
	v_pk_fma_f32 v[14:15], v[38:39], v[72:73], v[14:15] op_sel_hi:[1,0,1]
	;; [unrolled: 1-line block ×4, first 2 shown]
	v_pk_fma_f32 v[12:13], v[36:37], v[72:73], v[12:13] op_sel:[1,1,0] op_sel_hi:[0,1,1] neg_lo:[1,0,0]
	v_pk_fma_f32 v[14:15], v[26:27], v[72:73], v[14:15] op_sel:[0,1,0]
	v_pk_fma_f32 v[10:11], v[32:33], v[72:73], v[10:11] op_sel:[1,1,0] op_sel_hi:[0,1,1] neg_lo:[1,0,0]
	v_pk_fma_f32 v[8:9], v[28:29], v[72:73], v[8:9] op_sel:[0,1,0]
	s_andn2_b64 exec, exec, s[14:15]
	s_cbranch_execnz .LBB90_5
; %bb.6:
	s_or_b64 exec, exec, s[14:15]
.LBB90_7:
	s_or_b64 exec, exec, s[4:5]
	s_cbranch_execz .LBB90_9
	s_branch .LBB90_14
.LBB90_8:
                                        ; implicit-def: $vgpr13
                                        ; implicit-def: $vgpr9
                                        ; implicit-def: $vgpr11
                                        ; implicit-def: $vgpr15
.LBB90_9:
	v_mov_b32_e32 v13, 0
	v_mov_b32_e32 v12, v13
	;; [unrolled: 1-line block ×8, first 2 shown]
	s_and_saveexec_b64 s[4:5], s[2:3]
	s_cbranch_execz .LBB90_13
; %bb.10:
	v_mad_u64_u32 v[16:17], s[2:3], v0, 20, 19
	v_mov_b32_e32 v19, 0
	s_mov_b64 s[2:3], 0
	v_mov_b32_e32 v14, v19
	v_mov_b32_e32 v15, v19
	;; [unrolled: 1-line block ×8, first 2 shown]
.LBB90_11:                              ; =>This Inner Loop Header: Depth=1
	v_ashrrev_i32_e32 v1, 31, v0
	v_lshl_add_u64 v[20:21], v[0:1], 2, s[6:7]
	global_load_dword v1, v[20:21], off
	v_subrev_u32_e32 v18, 19, v16
	v_add_u32_e32 v20, -14, v16
	v_mov_b32_e32 v21, v19
	v_add_u32_e32 v24, -9, v16
	v_add_u32_e32 v26, -4, v16
	v_mov_b32_e32 v25, v19
	v_mov_b32_e32 v27, v19
	v_lshl_add_u64 v[34:35], v[18:19], 3, s[8:9]
	v_lshl_add_u64 v[20:21], v[20:21], 3, s[8:9]
	v_mov_b32_e32 v33, v19
	v_lshl_add_u64 v[36:37], v[24:25], 3, s[8:9]
	v_lshl_add_u64 v[38:39], v[26:27], 3, s[8:9]
	global_load_dwordx2 v[42:43], v[20:21], off
	global_load_dwordx2 v[44:45], v[36:37], off
	;; [unrolled: 1-line block ×3, first 2 shown]
	global_load_dwordx4 v[24:27], v[34:35], off
	global_load_dwordx4 v[28:31], v[34:35], off offset:16
	v_mov_b32_e32 v17, v19
	v_lshl_add_u64 v[40:41], v[16:17], 3, s[8:9]
	v_add_u32_e32 v0, 8, v0
	v_cmp_ge_i32_e32 vcc, v0, v22
	s_or_b64 s[2:3], vcc, s[2:3]
	s_waitcnt vmcnt(5)
	v_subrev_u32_e32 v1, s12, v1
	v_lshl_add_u32 v32, v1, 2, v1
	v_add_u32_e32 v18, 1, v32
	v_lshl_add_u64 v[34:35], v[18:19], 3, s[10:11]
	v_add_u32_e32 v18, -13, v16
	v_lshl_add_u64 v[20:21], v[32:33], 3, s[10:11]
	v_lshl_add_u64 v[36:37], v[18:19], 3, s[8:9]
	v_add_u32_e32 v18, -8, v16
	global_load_dwordx2 v[20:21], v[20:21], off
	s_nop 0
	global_load_dwordx2 v[38:39], v[34:35], off
	global_load_dwordx2 v[48:49], v[36:37], off
	v_lshl_add_u64 v[34:35], v[18:19], 3, s[8:9]
	v_add_u32_e32 v18, -3, v16
	v_lshl_add_u64 v[36:37], v[18:19], 3, s[8:9]
	v_add_u32_e32 v18, 2, v32
	v_lshl_add_u64 v[50:51], v[18:19], 3, s[10:11]
	v_add_u32_e32 v18, -12, v16
	v_lshl_add_u64 v[52:53], v[18:19], 3, s[8:9]
	v_add_u32_e32 v18, -7, v16
	;; [unrolled: 2-line block ×3, first 2 shown]
	global_load_dwordx2 v[34:35], v[34:35], off
	v_lshl_add_u64 v[56:57], v[18:19], 3, s[8:9]
	v_add_u32_e32 v18, 3, v32
	global_load_dwordx2 v[36:37], v[36:37], off
	v_lshl_add_u64 v[58:59], v[18:19], 3, s[10:11]
	v_add_u32_e32 v18, -11, v16
	global_load_dwordx2 v[50:51], v[50:51], off
	v_lshl_add_u64 v[60:61], v[18:19], 3, s[8:9]
	global_load_dwordx2 v[52:53], v[52:53], off
	v_add_u32_e32 v18, -6, v16
	global_load_dwordx2 v[54:55], v[54:55], off
	v_lshl_add_u64 v[62:63], v[18:19], 3, s[8:9]
	v_add_u32_e32 v18, -1, v16
	global_load_dwordx2 v[56:57], v[56:57], off
	v_lshl_add_u64 v[64:65], v[18:19], 3, s[8:9]
	;; [unrolled: 3-line block ×3, first 2 shown]
	global_load_dwordx2 v[60:61], v[60:61], off
	v_add_u32_e32 v18, 4, v32
	global_load_dwordx2 v[62:63], v[62:63], off
	s_nop 0
	global_load_dwordx2 v[32:33], v[66:67], off
	global_load_dwordx2 v[68:69], v[64:65], off
	v_lshl_add_u64 v[64:65], v[18:19], 3, s[10:11]
	v_add_u32_e32 v18, -10, v16
	global_load_dwordx2 v[64:65], v[64:65], off
	v_lshl_add_u64 v[66:67], v[18:19], 3, s[8:9]
	v_add_u32_e32 v18, -5, v16
	global_load_dwordx2 v[66:67], v[66:67], off
	v_lshl_add_u64 v[70:71], v[18:19], 3, s[8:9]
	global_load_dwordx2 v[72:73], v[70:71], off
	global_load_dwordx2 v[74:75], v[40:41], off
	s_waitcnt vmcnt(22)
	v_xor_b32_e32 v40, 0x80000000, v43
	v_mov_b32_e32 v41, v42
	v_add_u32_e32 v16, 0xa0, v16
	s_waitcnt vmcnt(17)
	v_pk_fma_f32 v[14:15], v[42:43], v[20:21], v[14:15] op_sel_hi:[1,0,1]
	v_xor_b32_e32 v42, 0x80000000, v45
	v_mov_b32_e32 v43, v44
	v_pk_fma_f32 v[10:11], v[44:45], v[20:21], v[10:11] op_sel_hi:[1,0,1]
	v_xor_b32_e32 v44, 0x80000000, v47
	v_mov_b32_e32 v45, v46
	v_pk_fma_f32 v[8:9], v[46:47], v[20:21], v[8:9] op_sel_hi:[1,0,1]
	v_pk_fma_f32 v[14:15], v[40:41], v[20:21], v[14:15] op_sel:[0,1,0]
	v_pk_fma_f32 v[12:13], v[24:25], v[20:21], v[12:13] op_sel_hi:[1,0,1]
	v_pk_fma_f32 v[10:11], v[42:43], v[20:21], v[10:11] op_sel:[0,1,0]
	v_pk_fma_f32 v[8:9], v[44:45], v[20:21], v[8:9] op_sel:[0,1,0]
	v_pk_fma_f32 v[12:13], v[24:25], v[20:21], v[12:13] op_sel:[1,1,0] op_sel_hi:[0,1,1] neg_lo:[1,0,0]
	s_waitcnt vmcnt(15)
	v_xor_b32_e32 v20, 0x80000000, v49
	v_pk_fma_f32 v[14:15], v[48:49], v[38:39], v[14:15] op_sel_hi:[1,0,1]
	v_mov_b32_e32 v21, v48
	v_pk_fma_f32 v[14:15], v[20:21], v[38:39], v[14:15] op_sel:[0,1,0]
	s_waitcnt vmcnt(14)
	v_xor_b32_e32 v20, 0x80000000, v35
	v_pk_fma_f32 v[10:11], v[34:35], v[38:39], v[10:11] op_sel_hi:[1,0,1]
	v_mov_b32_e32 v21, v34
	v_xor_b32_e32 v46, 0x80000000, v27
	v_mov_b32_e32 v47, v26
	v_pk_fma_f32 v[12:13], v[26:27], v[38:39], v[12:13] op_sel_hi:[1,0,1]
	v_pk_fma_f32 v[10:11], v[20:21], v[38:39], v[10:11] op_sel:[0,1,0]
	s_waitcnt vmcnt(13)
	v_xor_b32_e32 v20, 0x80000000, v37
	v_pk_fma_f32 v[8:9], v[36:37], v[38:39], v[8:9] op_sel_hi:[1,0,1]
	v_mov_b32_e32 v21, v36
	v_pk_fma_f32 v[12:13], v[46:47], v[38:39], v[12:13] op_sel:[0,1,0]
	v_pk_fma_f32 v[8:9], v[20:21], v[38:39], v[8:9] op_sel:[0,1,0]
	s_waitcnt vmcnt(11)
	v_xor_b32_e32 v20, 0x80000000, v53
	v_pk_fma_f32 v[14:15], v[52:53], v[50:51], v[14:15] op_sel_hi:[1,0,1]
	v_mov_b32_e32 v21, v52
	v_pk_fma_f32 v[12:13], v[28:29], v[50:51], v[12:13] op_sel_hi:[1,0,1]
	v_pk_fma_f32 v[14:15], v[20:21], v[50:51], v[14:15] op_sel:[0,1,0]
	s_waitcnt vmcnt(10)
	v_xor_b32_e32 v20, 0x80000000, v55
	v_pk_fma_f32 v[10:11], v[54:55], v[50:51], v[10:11] op_sel_hi:[1,0,1]
	v_mov_b32_e32 v21, v54
	v_pk_fma_f32 v[12:13], v[28:29], v[50:51], v[12:13] op_sel:[1,1,0] op_sel_hi:[0,1,1] neg_lo:[1,0,0]
	v_pk_fma_f32 v[10:11], v[20:21], v[50:51], v[10:11] op_sel:[0,1,0]
	s_waitcnt vmcnt(9)
	v_xor_b32_e32 v20, 0x80000000, v57
	v_pk_fma_f32 v[8:9], v[56:57], v[50:51], v[8:9] op_sel_hi:[1,0,1]
	v_mov_b32_e32 v21, v56
	v_xor_b32_e32 v40, 0x80000000, v31
	v_mov_b32_e32 v41, v30
	s_waitcnt vmcnt(8)
	v_pk_fma_f32 v[12:13], v[30:31], v[58:59], v[12:13] op_sel_hi:[1,0,1]
	v_pk_fma_f32 v[8:9], v[20:21], v[50:51], v[8:9] op_sel:[0,1,0]
	s_waitcnt vmcnt(7)
	v_xor_b32_e32 v20, 0x80000000, v61
	v_pk_fma_f32 v[14:15], v[60:61], v[58:59], v[14:15] op_sel_hi:[1,0,1]
	v_mov_b32_e32 v21, v60
	v_pk_fma_f32 v[12:13], v[40:41], v[58:59], v[12:13] op_sel:[0,1,0]
	v_pk_fma_f32 v[14:15], v[20:21], v[58:59], v[14:15] op_sel:[0,1,0]
	s_waitcnt vmcnt(6)
	v_xor_b32_e32 v20, 0x80000000, v63
	v_pk_fma_f32 v[10:11], v[62:63], v[58:59], v[10:11] op_sel_hi:[1,0,1]
	v_mov_b32_e32 v21, v62
	v_pk_fma_f32 v[10:11], v[20:21], v[58:59], v[10:11] op_sel:[0,1,0]
	s_waitcnt vmcnt(5)
	v_xor_b32_e32 v20, 0x80000000, v33
	v_mov_b32_e32 v21, v32
	s_waitcnt vmcnt(4)
	v_xor_b32_e32 v24, 0x80000000, v69
	v_pk_fma_f32 v[8:9], v[68:69], v[58:59], v[8:9] op_sel_hi:[1,0,1]
	v_mov_b32_e32 v25, v68
	s_waitcnt vmcnt(3)
	v_pk_fma_f32 v[12:13], v[32:33], v[64:65], v[12:13] op_sel_hi:[1,0,1]
	v_pk_fma_f32 v[8:9], v[24:25], v[58:59], v[8:9] op_sel:[0,1,0]
	v_pk_fma_f32 v[12:13], v[20:21], v[64:65], v[12:13] op_sel:[0,1,0]
	s_waitcnt vmcnt(2)
	v_xor_b32_e32 v20, 0x80000000, v67
	v_pk_fma_f32 v[14:15], v[66:67], v[64:65], v[14:15] op_sel_hi:[1,0,1]
	v_mov_b32_e32 v21, v66
	v_pk_fma_f32 v[14:15], v[20:21], v[64:65], v[14:15] op_sel:[0,1,0]
	s_waitcnt vmcnt(1)
	v_xor_b32_e32 v20, 0x80000000, v73
	v_pk_fma_f32 v[10:11], v[72:73], v[64:65], v[10:11] op_sel_hi:[1,0,1]
	v_mov_b32_e32 v21, v72
	s_waitcnt vmcnt(0)
	v_xor_b32_e32 v24, 0x80000000, v75
	v_pk_fma_f32 v[8:9], v[74:75], v[64:65], v[8:9] op_sel_hi:[1,0,1]
	v_mov_b32_e32 v25, v74
	v_pk_fma_f32 v[10:11], v[20:21], v[64:65], v[10:11] op_sel:[0,1,0]
	v_pk_fma_f32 v[8:9], v[24:25], v[64:65], v[8:9] op_sel:[0,1,0]
	s_andn2_b64 exec, exec, s[2:3]
	s_cbranch_execnz .LBB90_11
; %bb.12:
	s_or_b64 exec, exec, s[2:3]
.LBB90_13:
	s_or_b64 exec, exec, s[4:5]
.LBB90_14:
	v_mov_b32_dpp v0, v12 row_shr:1 row_mask:0xf bank_mask:0xf
	v_add_f32_e32 v0, v12, v0
	v_mov_b32_dpp v12, v13 row_shr:1 row_mask:0xf bank_mask:0xf
	v_add_f32_e32 v12, v13, v12
	;; [unrolled: 2-line block ×5, first 2 shown]
	v_mov_b32_dpp v1, v0 row_shr:4 row_mask:0xf bank_mask:0xe
	v_mov_b32_dpp v16, v13 row_shr:4 row_mask:0xf bank_mask:0xe
	;; [unrolled: 1-line block ×3, first 2 shown]
	v_add_f32_e32 v14, v12, v14
	v_mov_b32_dpp v12, v15 row_shr:1 row_mask:0xf bank_mask:0xf
	v_add_f32_e32 v12, v15, v12
	v_mov_b32_dpp v17, v14 row_shr:4 row_mask:0xf bank_mask:0xe
	v_cmp_eq_u32_e32 vcc, 7, v7
	v_mov_b32_dpp v15, v12 row_shr:2 row_mask:0xf bank_mask:0xf
	v_add_f32_e32 v15, v12, v15
	v_mov_b32_dpp v12, v10 row_shr:1 row_mask:0xf bank_mask:0xf
	v_add_f32_e32 v10, v10, v12
	v_mov_b32_dpp v18, v15 row_shr:4 row_mask:0xf bank_mask:0xe
	s_nop 0
	v_mov_b32_dpp v12, v10 row_shr:2 row_mask:0xf bank_mask:0xf
	v_add_f32_e32 v19, v10, v12
	v_mov_b32_dpp v10, v11 row_shr:1 row_mask:0xf bank_mask:0xf
	v_add_f32_e32 v10, v11, v10
	v_mov_b32_dpp v21, v19 row_shr:4 row_mask:0xf bank_mask:0xe
	s_nop 0
	;; [unrolled: 6-line block ×4, first 2 shown]
	v_mov_b32_dpp v9, v8 row_shr:2 row_mask:0xf bank_mask:0xf
	v_add_f32_e32 v9, v8, v9
	s_nop 1
	v_mov_b32_dpp v25, v9 row_shr:4 row_mask:0xf bank_mask:0xe
	s_and_b64 exec, exec, vcc
	s_cbranch_execz .LBB90_19
; %bb.15:
	s_load_dwordx2 s[2:3], s[0:1], 0x38
	v_cmp_eq_f32_e32 vcc, 0, v4
	v_cmp_eq_f32_e64 s[0:1], 0, v5
	v_add_f32_e32 v12, v0, v1
	v_add_f32_e32 v20, v13, v16
	;; [unrolled: 1-line block ×8, first 2 shown]
	s_and_b64 s[0:1], vcc, s[0:1]
	s_and_saveexec_b64 s[4:5], s[0:1]
	s_xor_b64 s[0:1], exec, s[4:5]
	s_cbranch_execz .LBB90_17
; %bb.16:
	v_lshlrev_b32_e32 v4, 2, v6
	v_xor_b32_e32 v22, 0x80000000, v3
	v_ashrrev_i32_e32 v5, 31, v4
	v_mov_b32_e32 v23, v2
	s_waitcnt lgkmcnt(0)
	v_lshl_add_u64 v[24:25], v[4:5], 3, s[2:3]
	v_pk_mul_f32 v[4:5], v[20:21], v[22:23] op_sel_hi:[0,1]
	v_pk_mul_f32 v[6:7], v[18:19], v[22:23] op_sel_hi:[0,1]
	v_pk_fma_f32 v[4:5], v[2:3], v[12:13], v[4:5] op_sel_hi:[1,0,1]
	v_pk_fma_f32 v[6:7], v[2:3], v[10:11], v[6:7] op_sel_hi:[1,0,1]
	global_store_dwordx4 v[24:25], v[4:7], off
                                        ; implicit-def: $vgpr12
                                        ; implicit-def: $vgpr20
                                        ; implicit-def: $vgpr10
                                        ; implicit-def: $vgpr18
	s_nop 1
	v_pk_mul_f32 v[4:5], v[16:17], v[22:23] op_sel_hi:[0,1]
	v_pk_mul_f32 v[6:7], v[14:15], v[22:23] op_sel_hi:[0,1]
	v_pk_fma_f32 v[4:5], v[2:3], v[8:9], v[4:5] op_sel_hi:[1,0,1]
	v_pk_fma_f32 v[6:7], v[2:3], v[0:1], v[6:7] op_sel_hi:[1,0,1]
	global_store_dwordx4 v[24:25], v[4:7], off offset:16
                                        ; implicit-def: $vgpr6
                                        ; implicit-def: $vgpr8
                                        ; implicit-def: $vgpr16
                                        ; implicit-def: $vgpr0
                                        ; implicit-def: $vgpr14
                                        ; implicit-def: $vgpr2_vgpr3
                                        ; implicit-def: $vgpr4_vgpr5
.LBB90_17:
	s_andn2_saveexec_b64 s[0:1], s[0:1]
	s_cbranch_execz .LBB90_19
; %bb.18:
	v_lshlrev_b32_e32 v6, 2, v6
	v_ashrrev_i32_e32 v7, 31, v6
	s_waitcnt lgkmcnt(0)
	v_lshl_add_u64 v[30:31], v[6:7], 3, s[2:3]
	global_load_dwordx4 v[22:25], v[30:31], off
	global_load_dwordx4 v[26:29], v[30:31], off offset:16
	v_xor_b32_e32 v6, 0x80000000, v3
	v_mov_b32_e32 v7, v2
	v_pk_mul_f32 v[20:21], v[20:21], v[6:7] op_sel_hi:[0,1]
	v_pk_mul_f32 v[18:19], v[18:19], v[6:7] op_sel_hi:[0,1]
	;; [unrolled: 1-line block ×4, first 2 shown]
	v_pk_fma_f32 v[12:13], v[2:3], v[12:13], v[20:21] op_sel_hi:[1,0,1]
	v_pk_fma_f32 v[10:11], v[2:3], v[10:11], v[18:19] op_sel_hi:[1,0,1]
	v_xor_b32_e32 v32, 0x80000000, v5
	v_mov_b32_e32 v33, v4
	v_pk_fma_f32 v[8:9], v[2:3], v[8:9], v[16:17] op_sel_hi:[1,0,1]
	v_pk_fma_f32 v[0:1], v[2:3], v[0:1], v[6:7] op_sel_hi:[1,0,1]
	s_waitcnt vmcnt(1)
	v_pk_fma_f32 v[2:3], v[4:5], v[22:23], v[12:13] op_sel_hi:[1,0,1]
	v_pk_fma_f32 v[6:7], v[4:5], v[24:25], v[10:11] op_sel_hi:[1,0,1]
	v_mov_b32_e32 v10, v25
	s_waitcnt vmcnt(0)
	v_pk_fma_f32 v[8:9], v[4:5], v[26:27], v[8:9] op_sel_hi:[1,0,1]
	v_pk_fma_f32 v[12:13], v[4:5], v[28:29], v[0:1] op_sel_hi:[1,0,1]
	v_mov_b32_e32 v14, v29
	v_pk_fma_f32 v[0:1], v[32:33], v[22:23], v[2:3] op_sel:[0,1,0]
	v_pk_fma_f32 v[2:3], v[32:33], v[10:11], v[6:7] op_sel_hi:[1,0,1]
	v_pk_fma_f32 v[4:5], v[32:33], v[26:27], v[8:9] op_sel:[0,1,0]
	v_pk_fma_f32 v[6:7], v[32:33], v[14:15], v[12:13] op_sel_hi:[1,0,1]
	global_store_dwordx4 v[30:31], v[0:3], off
	global_store_dwordx4 v[30:31], v[4:7], off offset:16
.LBB90_19:
	s_endpgm
	.section	.rodata,"a",@progbits
	.p2align	6, 0x0
	.amdhsa_kernel _ZN9rocsparseL19gebsrmvn_4xn_kernelILj128ELj5ELj8E21rocsparse_complex_numIfEEEvi20rocsparse_direction_NS_24const_host_device_scalarIT2_EEPKiS8_PKS5_SA_S6_PS5_21rocsparse_index_base_b
		.amdhsa_group_segment_fixed_size 0
		.amdhsa_private_segment_fixed_size 0
		.amdhsa_kernarg_size 72
		.amdhsa_user_sgpr_count 2
		.amdhsa_user_sgpr_dispatch_ptr 0
		.amdhsa_user_sgpr_queue_ptr 0
		.amdhsa_user_sgpr_kernarg_segment_ptr 1
		.amdhsa_user_sgpr_dispatch_id 0
		.amdhsa_user_sgpr_kernarg_preload_length 0
		.amdhsa_user_sgpr_kernarg_preload_offset 0
		.amdhsa_user_sgpr_private_segment_size 0
		.amdhsa_uses_dynamic_stack 0
		.amdhsa_enable_private_segment 0
		.amdhsa_system_sgpr_workgroup_id_x 1
		.amdhsa_system_sgpr_workgroup_id_y 0
		.amdhsa_system_sgpr_workgroup_id_z 0
		.amdhsa_system_sgpr_workgroup_info 0
		.amdhsa_system_vgpr_workitem_id 0
		.amdhsa_next_free_vgpr 76
		.amdhsa_next_free_sgpr 16
		.amdhsa_accum_offset 76
		.amdhsa_reserve_vcc 1
		.amdhsa_float_round_mode_32 0
		.amdhsa_float_round_mode_16_64 0
		.amdhsa_float_denorm_mode_32 3
		.amdhsa_float_denorm_mode_16_64 3
		.amdhsa_dx10_clamp 1
		.amdhsa_ieee_mode 1
		.amdhsa_fp16_overflow 0
		.amdhsa_tg_split 0
		.amdhsa_exception_fp_ieee_invalid_op 0
		.amdhsa_exception_fp_denorm_src 0
		.amdhsa_exception_fp_ieee_div_zero 0
		.amdhsa_exception_fp_ieee_overflow 0
		.amdhsa_exception_fp_ieee_underflow 0
		.amdhsa_exception_fp_ieee_inexact 0
		.amdhsa_exception_int_div_zero 0
	.end_amdhsa_kernel
	.section	.text._ZN9rocsparseL19gebsrmvn_4xn_kernelILj128ELj5ELj8E21rocsparse_complex_numIfEEEvi20rocsparse_direction_NS_24const_host_device_scalarIT2_EEPKiS8_PKS5_SA_S6_PS5_21rocsparse_index_base_b,"axG",@progbits,_ZN9rocsparseL19gebsrmvn_4xn_kernelILj128ELj5ELj8E21rocsparse_complex_numIfEEEvi20rocsparse_direction_NS_24const_host_device_scalarIT2_EEPKiS8_PKS5_SA_S6_PS5_21rocsparse_index_base_b,comdat
.Lfunc_end90:
	.size	_ZN9rocsparseL19gebsrmvn_4xn_kernelILj128ELj5ELj8E21rocsparse_complex_numIfEEEvi20rocsparse_direction_NS_24const_host_device_scalarIT2_EEPKiS8_PKS5_SA_S6_PS5_21rocsparse_index_base_b, .Lfunc_end90-_ZN9rocsparseL19gebsrmvn_4xn_kernelILj128ELj5ELj8E21rocsparse_complex_numIfEEEvi20rocsparse_direction_NS_24const_host_device_scalarIT2_EEPKiS8_PKS5_SA_S6_PS5_21rocsparse_index_base_b
                                        ; -- End function
	.set _ZN9rocsparseL19gebsrmvn_4xn_kernelILj128ELj5ELj8E21rocsparse_complex_numIfEEEvi20rocsparse_direction_NS_24const_host_device_scalarIT2_EEPKiS8_PKS5_SA_S6_PS5_21rocsparse_index_base_b.num_vgpr, 76
	.set _ZN9rocsparseL19gebsrmvn_4xn_kernelILj128ELj5ELj8E21rocsparse_complex_numIfEEEvi20rocsparse_direction_NS_24const_host_device_scalarIT2_EEPKiS8_PKS5_SA_S6_PS5_21rocsparse_index_base_b.num_agpr, 0
	.set _ZN9rocsparseL19gebsrmvn_4xn_kernelILj128ELj5ELj8E21rocsparse_complex_numIfEEEvi20rocsparse_direction_NS_24const_host_device_scalarIT2_EEPKiS8_PKS5_SA_S6_PS5_21rocsparse_index_base_b.numbered_sgpr, 16
	.set _ZN9rocsparseL19gebsrmvn_4xn_kernelILj128ELj5ELj8E21rocsparse_complex_numIfEEEvi20rocsparse_direction_NS_24const_host_device_scalarIT2_EEPKiS8_PKS5_SA_S6_PS5_21rocsparse_index_base_b.num_named_barrier, 0
	.set _ZN9rocsparseL19gebsrmvn_4xn_kernelILj128ELj5ELj8E21rocsparse_complex_numIfEEEvi20rocsparse_direction_NS_24const_host_device_scalarIT2_EEPKiS8_PKS5_SA_S6_PS5_21rocsparse_index_base_b.private_seg_size, 0
	.set _ZN9rocsparseL19gebsrmvn_4xn_kernelILj128ELj5ELj8E21rocsparse_complex_numIfEEEvi20rocsparse_direction_NS_24const_host_device_scalarIT2_EEPKiS8_PKS5_SA_S6_PS5_21rocsparse_index_base_b.uses_vcc, 1
	.set _ZN9rocsparseL19gebsrmvn_4xn_kernelILj128ELj5ELj8E21rocsparse_complex_numIfEEEvi20rocsparse_direction_NS_24const_host_device_scalarIT2_EEPKiS8_PKS5_SA_S6_PS5_21rocsparse_index_base_b.uses_flat_scratch, 0
	.set _ZN9rocsparseL19gebsrmvn_4xn_kernelILj128ELj5ELj8E21rocsparse_complex_numIfEEEvi20rocsparse_direction_NS_24const_host_device_scalarIT2_EEPKiS8_PKS5_SA_S6_PS5_21rocsparse_index_base_b.has_dyn_sized_stack, 0
	.set _ZN9rocsparseL19gebsrmvn_4xn_kernelILj128ELj5ELj8E21rocsparse_complex_numIfEEEvi20rocsparse_direction_NS_24const_host_device_scalarIT2_EEPKiS8_PKS5_SA_S6_PS5_21rocsparse_index_base_b.has_recursion, 0
	.set _ZN9rocsparseL19gebsrmvn_4xn_kernelILj128ELj5ELj8E21rocsparse_complex_numIfEEEvi20rocsparse_direction_NS_24const_host_device_scalarIT2_EEPKiS8_PKS5_SA_S6_PS5_21rocsparse_index_base_b.has_indirect_call, 0
	.section	.AMDGPU.csdata,"",@progbits
; Kernel info:
; codeLenInByte = 3088
; TotalNumSgprs: 22
; NumVgprs: 76
; NumAgprs: 0
; TotalNumVgprs: 76
; ScratchSize: 0
; MemoryBound: 0
; FloatMode: 240
; IeeeMode: 1
; LDSByteSize: 0 bytes/workgroup (compile time only)
; SGPRBlocks: 2
; VGPRBlocks: 9
; NumSGPRsForWavesPerEU: 22
; NumVGPRsForWavesPerEU: 76
; AccumOffset: 76
; Occupancy: 6
; WaveLimiterHint : 1
; COMPUTE_PGM_RSRC2:SCRATCH_EN: 0
; COMPUTE_PGM_RSRC2:USER_SGPR: 2
; COMPUTE_PGM_RSRC2:TRAP_HANDLER: 0
; COMPUTE_PGM_RSRC2:TGID_X_EN: 1
; COMPUTE_PGM_RSRC2:TGID_Y_EN: 0
; COMPUTE_PGM_RSRC2:TGID_Z_EN: 0
; COMPUTE_PGM_RSRC2:TIDIG_COMP_CNT: 0
; COMPUTE_PGM_RSRC3_GFX90A:ACCUM_OFFSET: 18
; COMPUTE_PGM_RSRC3_GFX90A:TG_SPLIT: 0
	.section	.text._ZN9rocsparseL19gebsrmvn_4xn_kernelILj128ELj5ELj16E21rocsparse_complex_numIfEEEvi20rocsparse_direction_NS_24const_host_device_scalarIT2_EEPKiS8_PKS5_SA_S6_PS5_21rocsparse_index_base_b,"axG",@progbits,_ZN9rocsparseL19gebsrmvn_4xn_kernelILj128ELj5ELj16E21rocsparse_complex_numIfEEEvi20rocsparse_direction_NS_24const_host_device_scalarIT2_EEPKiS8_PKS5_SA_S6_PS5_21rocsparse_index_base_b,comdat
	.globl	_ZN9rocsparseL19gebsrmvn_4xn_kernelILj128ELj5ELj16E21rocsparse_complex_numIfEEEvi20rocsparse_direction_NS_24const_host_device_scalarIT2_EEPKiS8_PKS5_SA_S6_PS5_21rocsparse_index_base_b ; -- Begin function _ZN9rocsparseL19gebsrmvn_4xn_kernelILj128ELj5ELj16E21rocsparse_complex_numIfEEEvi20rocsparse_direction_NS_24const_host_device_scalarIT2_EEPKiS8_PKS5_SA_S6_PS5_21rocsparse_index_base_b
	.p2align	8
	.type	_ZN9rocsparseL19gebsrmvn_4xn_kernelILj128ELj5ELj16E21rocsparse_complex_numIfEEEvi20rocsparse_direction_NS_24const_host_device_scalarIT2_EEPKiS8_PKS5_SA_S6_PS5_21rocsparse_index_base_b,@function
_ZN9rocsparseL19gebsrmvn_4xn_kernelILj128ELj5ELj16E21rocsparse_complex_numIfEEEvi20rocsparse_direction_NS_24const_host_device_scalarIT2_EEPKiS8_PKS5_SA_S6_PS5_21rocsparse_index_base_b: ; @_ZN9rocsparseL19gebsrmvn_4xn_kernelILj128ELj5ELj16E21rocsparse_complex_numIfEEEvi20rocsparse_direction_NS_24const_host_device_scalarIT2_EEPKiS8_PKS5_SA_S6_PS5_21rocsparse_index_base_b
; %bb.0:
	s_load_dwordx2 s[4:5], s[0:1], 0x8
	s_load_dwordx2 s[6:7], s[0:1], 0x30
	;; [unrolled: 1-line block ×3, first 2 shown]
	s_add_u32 s3, s0, 8
	s_addc_u32 s8, s1, 0
	s_add_u32 s9, s0, 48
	s_addc_u32 s10, s1, 0
	s_waitcnt lgkmcnt(0)
	s_bitcmp1_b32 s13, 0
	s_cselect_b32 s3, s3, s4
	s_cselect_b32 s5, s8, s5
	v_mov_b32_e32 v2, s3
	s_cselect_b32 s3, s10, s7
	s_cselect_b32 s4, s9, s6
	v_mov_b32_e32 v3, s5
	v_mov_b32_e32 v4, s4
	;; [unrolled: 1-line block ×3, first 2 shown]
	flat_load_dwordx2 v[2:3], v[2:3]
	s_waitcnt vmcnt(0) lgkmcnt(0)
	v_cmp_eq_f32_e32 vcc, 0, v2
	flat_load_dwordx2 v[4:5], v[4:5]
	v_cmp_eq_f32_e64 s[4:5], 0, v3
	s_and_b64 s[4:5], vcc, s[4:5]
	s_waitcnt vmcnt(0) lgkmcnt(0)
	v_cmp_eq_f32_e64 s[6:7], 1.0, v4
	v_cmp_eq_f32_e64 s[8:9], 0, v5
	s_and_b64 s[6:7], s[6:7], s[8:9]
	s_and_b64 s[4:5], s[4:5], s[6:7]
	s_xor_b64 s[4:5], s[4:5], -1
	s_and_saveexec_b64 s[6:7], s[4:5]
	s_cbranch_execz .LBB91_19
; %bb.1:
	s_load_dwordx2 s[14:15], s[0:1], 0x0
	v_lshrrev_b32_e32 v1, 4, v0
	v_lshl_or_b32 v6, s2, 3, v1
	s_waitcnt lgkmcnt(0)
	v_cmp_gt_i32_e32 vcc, s14, v6
	s_and_b64 exec, exec, vcc
	s_cbranch_execz .LBB91_19
; %bb.2:
	s_load_dwordx8 s[4:11], s[0:1], 0x10
	v_ashrrev_i32_e32 v7, 31, v6
	s_cmp_lg_u32 s15, 0
	s_waitcnt lgkmcnt(0)
	v_lshl_add_u64 v[8:9], v[6:7], 2, s[4:5]
	global_load_dwordx2 v[8:9], v[8:9], off
	v_and_b32_e32 v7, 15, v0
	s_waitcnt vmcnt(0)
	v_subrev_u32_e32 v0, s12, v8
	v_subrev_u32_e32 v22, s12, v9
	v_add_u32_e32 v0, v0, v7
	v_cmp_lt_i32_e64 s[2:3], v0, v22
	s_cbranch_scc0 .LBB91_8
; %bb.3:
	v_mov_b32_e32 v13, 0
	v_mov_b32_e32 v12, v13
	;; [unrolled: 1-line block ×8, first 2 shown]
	s_and_saveexec_b64 s[4:5], s[2:3]
	s_cbranch_execz .LBB91_7
; %bb.4:
	v_mad_u64_u32 v[16:17], s[14:15], v0, 20, 16
	v_mov_b32_e32 v19, 0
	s_mov_b64 s[14:15], 0
	v_mov_b32_e32 v20, v0
	v_mov_b32_e32 v14, v19
	;; [unrolled: 1-line block ×9, first 2 shown]
.LBB91_5:                               ; =>This Inner Loop Header: Depth=1
	v_ashrrev_i32_e32 v21, 31, v20
	v_lshl_add_u64 v[24:25], v[20:21], 2, s[6:7]
	global_load_dword v1, v[24:25], off
	v_add_u32_e32 v18, -16, v16
	v_mov_b32_e32 v17, v19
	v_mov_b32_e32 v65, v19
	v_lshl_add_u64 v[32:33], v[18:19], 3, s[8:9]
	v_add_u32_e32 v18, -12, v16
	v_lshl_add_u64 v[48:49], v[16:17], 3, s[8:9]
	global_load_dwordx4 v[24:27], v[32:33], off
	global_load_dwordx4 v[28:31], v[32:33], off offset:16
	v_lshl_add_u64 v[50:51], v[18:19], 3, s[8:9]
	global_load_dwordx4 v[32:35], v[48:49], off offset:16
	global_load_dwordx4 v[36:39], v[48:49], off
	global_load_dwordx4 v[40:43], v[50:51], off offset:16
	global_load_dwordx4 v[44:47], v[50:51], off
	v_add_u32_e32 v20, 16, v20
	v_cmp_ge_i32_e32 vcc, v20, v22
	s_or_b64 s[14:15], vcc, s[14:15]
	s_waitcnt vmcnt(6)
	v_subrev_u32_e32 v1, s12, v1
	v_lshl_add_u32 v64, v1, 2, v1
	v_lshl_add_u64 v[48:49], v[64:65], 3, s[10:11]
	global_load_dwordx2 v[66:67], v[48:49], off
	v_add_u32_e32 v18, 1, v64
	v_lshl_add_u64 v[48:49], v[18:19], 3, s[10:11]
	v_add_u32_e32 v18, -8, v16
	global_load_dwordx2 v[68:69], v[48:49], off
	v_lshl_add_u64 v[56:57], v[18:19], 3, s[8:9]
	v_add_u32_e32 v18, 2, v64
	global_load_dwordx4 v[48:51], v[56:57], off
	global_load_dwordx4 v[52:55], v[56:57], off offset:16
	v_lshl_add_u64 v[56:57], v[18:19], 3, s[10:11]
	v_add_u32_e32 v18, -4, v16
	global_load_dwordx2 v[70:71], v[56:57], off
	v_lshl_add_u64 v[72:73], v[18:19], 3, s[8:9]
	v_add_u32_e32 v18, 3, v64
	global_load_dwordx4 v[56:59], v[72:73], off
	global_load_dwordx4 v[60:63], v[72:73], off offset:16
	v_lshl_add_u64 v[72:73], v[18:19], 3, s[10:11]
	v_add_u32_e32 v18, 4, v64
	global_load_dwordx2 v[64:65], v[72:73], off
	v_lshl_add_u64 v[72:73], v[18:19], 3, s[10:11]
	global_load_dwordx2 v[72:73], v[72:73], off
	s_waitcnt vmcnt(14)
	v_xor_b32_e32 v74, 0x80000000, v27
	v_mov_b32_e32 v75, v26
	v_add_u32_e32 v16, 0x140, v16
	s_waitcnt vmcnt(8)
	v_pk_fma_f32 v[12:13], v[24:25], v[66:67], v[12:13] op_sel_hi:[1,0,1]
	v_pk_fma_f32 v[14:15], v[26:27], v[66:67], v[14:15] op_sel_hi:[1,0,1]
	v_pk_fma_f32 v[12:13], v[24:25], v[66:67], v[12:13] op_sel:[1,1,0] op_sel_hi:[0,1,1] neg_lo:[1,0,0]
	v_xor_b32_e32 v24, 0x80000000, v31
	v_mov_b32_e32 v25, v30
	v_pk_fma_f32 v[10:11], v[28:29], v[66:67], v[10:11] op_sel_hi:[1,0,1]
	v_pk_fma_f32 v[8:9], v[30:31], v[66:67], v[8:9] op_sel_hi:[1,0,1]
	v_pk_fma_f32 v[10:11], v[28:29], v[66:67], v[10:11] op_sel:[1,1,0] op_sel_hi:[0,1,1] neg_lo:[1,0,0]
	v_pk_fma_f32 v[14:15], v[74:75], v[66:67], v[14:15] op_sel:[0,1,0]
	v_pk_fma_f32 v[8:9], v[24:25], v[66:67], v[8:9] op_sel:[0,1,0]
	v_xor_b32_e32 v30, 0x80000000, v47
	v_mov_b32_e32 v31, v46
	v_xor_b32_e32 v74, 0x80000000, v43
	v_mov_b32_e32 v75, v42
	s_waitcnt vmcnt(7)
	v_pk_fma_f32 v[12:13], v[44:45], v[68:69], v[12:13] op_sel_hi:[1,0,1]
	v_pk_fma_f32 v[14:15], v[46:47], v[68:69], v[14:15] op_sel_hi:[1,0,1]
	;; [unrolled: 1-line block ×4, first 2 shown]
	v_pk_fma_f32 v[12:13], v[44:45], v[68:69], v[12:13] op_sel:[1,1,0] op_sel_hi:[0,1,1] neg_lo:[1,0,0]
	v_pk_fma_f32 v[14:15], v[30:31], v[68:69], v[14:15] op_sel:[0,1,0]
	v_pk_fma_f32 v[10:11], v[40:41], v[68:69], v[10:11] op_sel:[1,1,0] op_sel_hi:[0,1,1] neg_lo:[1,0,0]
	v_pk_fma_f32 v[8:9], v[74:75], v[68:69], v[8:9] op_sel:[0,1,0]
	s_waitcnt vmcnt(6)
	v_xor_b32_e32 v24, 0x80000000, v51
	v_mov_b32_e32 v25, v50
	s_waitcnt vmcnt(5)
	v_xor_b32_e32 v42, 0x80000000, v55
	v_mov_b32_e32 v43, v54
	s_waitcnt vmcnt(4)
	v_pk_fma_f32 v[12:13], v[48:49], v[70:71], v[12:13] op_sel_hi:[1,0,1]
	v_pk_fma_f32 v[14:15], v[50:51], v[70:71], v[14:15] op_sel_hi:[1,0,1]
	v_pk_fma_f32 v[10:11], v[52:53], v[70:71], v[10:11] op_sel_hi:[1,0,1]
	v_pk_fma_f32 v[8:9], v[54:55], v[70:71], v[8:9] op_sel_hi:[1,0,1]
	v_pk_fma_f32 v[12:13], v[48:49], v[70:71], v[12:13] op_sel:[1,1,0] op_sel_hi:[0,1,1] neg_lo:[1,0,0]
	v_pk_fma_f32 v[14:15], v[24:25], v[70:71], v[14:15] op_sel:[0,1,0]
	v_pk_fma_f32 v[10:11], v[52:53], v[70:71], v[10:11] op_sel:[1,1,0] op_sel_hi:[0,1,1] neg_lo:[1,0,0]
	v_pk_fma_f32 v[8:9], v[42:43], v[70:71], v[8:9] op_sel:[0,1,0]
	s_waitcnt vmcnt(3)
	v_xor_b32_e32 v30, 0x80000000, v59
	v_mov_b32_e32 v31, v58
	s_waitcnt vmcnt(2)
	v_xor_b32_e32 v40, 0x80000000, v63
	v_mov_b32_e32 v41, v62
	s_waitcnt vmcnt(1)
	v_pk_fma_f32 v[12:13], v[56:57], v[64:65], v[12:13] op_sel_hi:[1,0,1]
	v_pk_fma_f32 v[14:15], v[58:59], v[64:65], v[14:15] op_sel_hi:[1,0,1]
	v_pk_fma_f32 v[10:11], v[60:61], v[64:65], v[10:11] op_sel_hi:[1,0,1]
	v_pk_fma_f32 v[8:9], v[62:63], v[64:65], v[8:9] op_sel_hi:[1,0,1]
	v_pk_fma_f32 v[12:13], v[56:57], v[64:65], v[12:13] op_sel:[1,1,0] op_sel_hi:[0,1,1] neg_lo:[1,0,0]
	v_pk_fma_f32 v[14:15], v[30:31], v[64:65], v[14:15] op_sel:[0,1,0]
	v_pk_fma_f32 v[10:11], v[60:61], v[64:65], v[10:11] op_sel:[1,1,0] op_sel_hi:[0,1,1] neg_lo:[1,0,0]
	v_pk_fma_f32 v[8:9], v[40:41], v[64:65], v[8:9] op_sel:[0,1,0]
	v_xor_b32_e32 v26, 0x80000000, v39
	v_mov_b32_e32 v27, v38
	v_xor_b32_e32 v28, 0x80000000, v35
	v_mov_b32_e32 v29, v34
	s_waitcnt vmcnt(0)
	v_pk_fma_f32 v[12:13], v[36:37], v[72:73], v[12:13] op_sel_hi:[1,0,1]
	v_pk_fma_f32 v[14:15], v[38:39], v[72:73], v[14:15] op_sel_hi:[1,0,1]
	;; [unrolled: 1-line block ×4, first 2 shown]
	v_pk_fma_f32 v[12:13], v[36:37], v[72:73], v[12:13] op_sel:[1,1,0] op_sel_hi:[0,1,1] neg_lo:[1,0,0]
	v_pk_fma_f32 v[14:15], v[26:27], v[72:73], v[14:15] op_sel:[0,1,0]
	v_pk_fma_f32 v[10:11], v[32:33], v[72:73], v[10:11] op_sel:[1,1,0] op_sel_hi:[0,1,1] neg_lo:[1,0,0]
	v_pk_fma_f32 v[8:9], v[28:29], v[72:73], v[8:9] op_sel:[0,1,0]
	s_andn2_b64 exec, exec, s[14:15]
	s_cbranch_execnz .LBB91_5
; %bb.6:
	s_or_b64 exec, exec, s[14:15]
.LBB91_7:
	s_or_b64 exec, exec, s[4:5]
	s_cbranch_execz .LBB91_9
	s_branch .LBB91_14
.LBB91_8:
                                        ; implicit-def: $vgpr13
                                        ; implicit-def: $vgpr9
                                        ; implicit-def: $vgpr11
                                        ; implicit-def: $vgpr15
.LBB91_9:
	v_mov_b32_e32 v13, 0
	v_mov_b32_e32 v12, v13
	;; [unrolled: 1-line block ×8, first 2 shown]
	s_and_saveexec_b64 s[4:5], s[2:3]
	s_cbranch_execz .LBB91_13
; %bb.10:
	v_mad_u64_u32 v[16:17], s[2:3], v0, 20, 19
	v_mov_b32_e32 v19, 0
	s_mov_b64 s[2:3], 0
	v_mov_b32_e32 v14, v19
	v_mov_b32_e32 v15, v19
	;; [unrolled: 1-line block ×8, first 2 shown]
.LBB91_11:                              ; =>This Inner Loop Header: Depth=1
	v_ashrrev_i32_e32 v1, 31, v0
	v_lshl_add_u64 v[20:21], v[0:1], 2, s[6:7]
	global_load_dword v1, v[20:21], off
	v_subrev_u32_e32 v18, 19, v16
	v_add_u32_e32 v20, -14, v16
	v_mov_b32_e32 v21, v19
	v_add_u32_e32 v24, -9, v16
	v_add_u32_e32 v26, -4, v16
	v_mov_b32_e32 v25, v19
	v_mov_b32_e32 v27, v19
	v_lshl_add_u64 v[34:35], v[18:19], 3, s[8:9]
	v_lshl_add_u64 v[20:21], v[20:21], 3, s[8:9]
	v_mov_b32_e32 v33, v19
	v_lshl_add_u64 v[36:37], v[24:25], 3, s[8:9]
	v_lshl_add_u64 v[38:39], v[26:27], 3, s[8:9]
	global_load_dwordx2 v[42:43], v[20:21], off
	global_load_dwordx2 v[44:45], v[36:37], off
	;; [unrolled: 1-line block ×3, first 2 shown]
	global_load_dwordx4 v[24:27], v[34:35], off
	global_load_dwordx4 v[28:31], v[34:35], off offset:16
	v_mov_b32_e32 v17, v19
	v_lshl_add_u64 v[40:41], v[16:17], 3, s[8:9]
	v_add_u32_e32 v0, 16, v0
	v_cmp_ge_i32_e32 vcc, v0, v22
	s_or_b64 s[2:3], vcc, s[2:3]
	s_waitcnt vmcnt(5)
	v_subrev_u32_e32 v1, s12, v1
	v_lshl_add_u32 v32, v1, 2, v1
	v_add_u32_e32 v18, 1, v32
	v_lshl_add_u64 v[34:35], v[18:19], 3, s[10:11]
	v_add_u32_e32 v18, -13, v16
	v_lshl_add_u64 v[20:21], v[32:33], 3, s[10:11]
	v_lshl_add_u64 v[36:37], v[18:19], 3, s[8:9]
	v_add_u32_e32 v18, -8, v16
	global_load_dwordx2 v[20:21], v[20:21], off
	s_nop 0
	global_load_dwordx2 v[38:39], v[34:35], off
	global_load_dwordx2 v[48:49], v[36:37], off
	v_lshl_add_u64 v[34:35], v[18:19], 3, s[8:9]
	v_add_u32_e32 v18, -3, v16
	v_lshl_add_u64 v[36:37], v[18:19], 3, s[8:9]
	v_add_u32_e32 v18, 2, v32
	v_lshl_add_u64 v[50:51], v[18:19], 3, s[10:11]
	v_add_u32_e32 v18, -12, v16
	v_lshl_add_u64 v[52:53], v[18:19], 3, s[8:9]
	v_add_u32_e32 v18, -7, v16
	;; [unrolled: 2-line block ×3, first 2 shown]
	global_load_dwordx2 v[34:35], v[34:35], off
	v_lshl_add_u64 v[56:57], v[18:19], 3, s[8:9]
	v_add_u32_e32 v18, 3, v32
	global_load_dwordx2 v[36:37], v[36:37], off
	v_lshl_add_u64 v[58:59], v[18:19], 3, s[10:11]
	v_add_u32_e32 v18, -11, v16
	global_load_dwordx2 v[50:51], v[50:51], off
	v_lshl_add_u64 v[60:61], v[18:19], 3, s[8:9]
	global_load_dwordx2 v[52:53], v[52:53], off
	v_add_u32_e32 v18, -6, v16
	global_load_dwordx2 v[54:55], v[54:55], off
	v_lshl_add_u64 v[62:63], v[18:19], 3, s[8:9]
	v_add_u32_e32 v18, -1, v16
	global_load_dwordx2 v[56:57], v[56:57], off
	v_lshl_add_u64 v[64:65], v[18:19], 3, s[8:9]
	;; [unrolled: 3-line block ×3, first 2 shown]
	global_load_dwordx2 v[60:61], v[60:61], off
	v_add_u32_e32 v18, 4, v32
	global_load_dwordx2 v[62:63], v[62:63], off
	s_nop 0
	global_load_dwordx2 v[32:33], v[66:67], off
	global_load_dwordx2 v[68:69], v[64:65], off
	v_lshl_add_u64 v[64:65], v[18:19], 3, s[10:11]
	v_add_u32_e32 v18, -10, v16
	global_load_dwordx2 v[64:65], v[64:65], off
	v_lshl_add_u64 v[66:67], v[18:19], 3, s[8:9]
	v_add_u32_e32 v18, -5, v16
	global_load_dwordx2 v[66:67], v[66:67], off
	v_lshl_add_u64 v[70:71], v[18:19], 3, s[8:9]
	global_load_dwordx2 v[72:73], v[70:71], off
	global_load_dwordx2 v[74:75], v[40:41], off
	s_waitcnt vmcnt(22)
	v_xor_b32_e32 v40, 0x80000000, v43
	v_mov_b32_e32 v41, v42
	v_add_u32_e32 v16, 0x140, v16
	s_waitcnt vmcnt(17)
	v_pk_fma_f32 v[14:15], v[42:43], v[20:21], v[14:15] op_sel_hi:[1,0,1]
	v_xor_b32_e32 v42, 0x80000000, v45
	v_mov_b32_e32 v43, v44
	v_pk_fma_f32 v[10:11], v[44:45], v[20:21], v[10:11] op_sel_hi:[1,0,1]
	v_xor_b32_e32 v44, 0x80000000, v47
	v_mov_b32_e32 v45, v46
	v_pk_fma_f32 v[8:9], v[46:47], v[20:21], v[8:9] op_sel_hi:[1,0,1]
	v_pk_fma_f32 v[14:15], v[40:41], v[20:21], v[14:15] op_sel:[0,1,0]
	v_pk_fma_f32 v[12:13], v[24:25], v[20:21], v[12:13] op_sel_hi:[1,0,1]
	v_pk_fma_f32 v[10:11], v[42:43], v[20:21], v[10:11] op_sel:[0,1,0]
	v_pk_fma_f32 v[8:9], v[44:45], v[20:21], v[8:9] op_sel:[0,1,0]
	v_pk_fma_f32 v[12:13], v[24:25], v[20:21], v[12:13] op_sel:[1,1,0] op_sel_hi:[0,1,1] neg_lo:[1,0,0]
	s_waitcnt vmcnt(15)
	v_xor_b32_e32 v20, 0x80000000, v49
	v_pk_fma_f32 v[14:15], v[48:49], v[38:39], v[14:15] op_sel_hi:[1,0,1]
	v_mov_b32_e32 v21, v48
	v_pk_fma_f32 v[14:15], v[20:21], v[38:39], v[14:15] op_sel:[0,1,0]
	s_waitcnt vmcnt(14)
	v_xor_b32_e32 v20, 0x80000000, v35
	v_pk_fma_f32 v[10:11], v[34:35], v[38:39], v[10:11] op_sel_hi:[1,0,1]
	v_mov_b32_e32 v21, v34
	v_xor_b32_e32 v46, 0x80000000, v27
	v_mov_b32_e32 v47, v26
	v_pk_fma_f32 v[12:13], v[26:27], v[38:39], v[12:13] op_sel_hi:[1,0,1]
	v_pk_fma_f32 v[10:11], v[20:21], v[38:39], v[10:11] op_sel:[0,1,0]
	s_waitcnt vmcnt(13)
	v_xor_b32_e32 v20, 0x80000000, v37
	v_pk_fma_f32 v[8:9], v[36:37], v[38:39], v[8:9] op_sel_hi:[1,0,1]
	v_mov_b32_e32 v21, v36
	v_pk_fma_f32 v[12:13], v[46:47], v[38:39], v[12:13] op_sel:[0,1,0]
	v_pk_fma_f32 v[8:9], v[20:21], v[38:39], v[8:9] op_sel:[0,1,0]
	s_waitcnt vmcnt(11)
	v_xor_b32_e32 v20, 0x80000000, v53
	v_pk_fma_f32 v[14:15], v[52:53], v[50:51], v[14:15] op_sel_hi:[1,0,1]
	v_mov_b32_e32 v21, v52
	v_pk_fma_f32 v[12:13], v[28:29], v[50:51], v[12:13] op_sel_hi:[1,0,1]
	v_pk_fma_f32 v[14:15], v[20:21], v[50:51], v[14:15] op_sel:[0,1,0]
	s_waitcnt vmcnt(10)
	v_xor_b32_e32 v20, 0x80000000, v55
	v_pk_fma_f32 v[10:11], v[54:55], v[50:51], v[10:11] op_sel_hi:[1,0,1]
	v_mov_b32_e32 v21, v54
	v_pk_fma_f32 v[12:13], v[28:29], v[50:51], v[12:13] op_sel:[1,1,0] op_sel_hi:[0,1,1] neg_lo:[1,0,0]
	v_pk_fma_f32 v[10:11], v[20:21], v[50:51], v[10:11] op_sel:[0,1,0]
	s_waitcnt vmcnt(9)
	v_xor_b32_e32 v20, 0x80000000, v57
	v_pk_fma_f32 v[8:9], v[56:57], v[50:51], v[8:9] op_sel_hi:[1,0,1]
	v_mov_b32_e32 v21, v56
	v_xor_b32_e32 v40, 0x80000000, v31
	v_mov_b32_e32 v41, v30
	s_waitcnt vmcnt(8)
	v_pk_fma_f32 v[12:13], v[30:31], v[58:59], v[12:13] op_sel_hi:[1,0,1]
	v_pk_fma_f32 v[8:9], v[20:21], v[50:51], v[8:9] op_sel:[0,1,0]
	s_waitcnt vmcnt(7)
	v_xor_b32_e32 v20, 0x80000000, v61
	v_pk_fma_f32 v[14:15], v[60:61], v[58:59], v[14:15] op_sel_hi:[1,0,1]
	v_mov_b32_e32 v21, v60
	v_pk_fma_f32 v[12:13], v[40:41], v[58:59], v[12:13] op_sel:[0,1,0]
	v_pk_fma_f32 v[14:15], v[20:21], v[58:59], v[14:15] op_sel:[0,1,0]
	s_waitcnt vmcnt(6)
	v_xor_b32_e32 v20, 0x80000000, v63
	v_pk_fma_f32 v[10:11], v[62:63], v[58:59], v[10:11] op_sel_hi:[1,0,1]
	v_mov_b32_e32 v21, v62
	v_pk_fma_f32 v[10:11], v[20:21], v[58:59], v[10:11] op_sel:[0,1,0]
	s_waitcnt vmcnt(5)
	v_xor_b32_e32 v20, 0x80000000, v33
	v_mov_b32_e32 v21, v32
	s_waitcnt vmcnt(4)
	v_xor_b32_e32 v24, 0x80000000, v69
	v_pk_fma_f32 v[8:9], v[68:69], v[58:59], v[8:9] op_sel_hi:[1,0,1]
	v_mov_b32_e32 v25, v68
	s_waitcnt vmcnt(3)
	v_pk_fma_f32 v[12:13], v[32:33], v[64:65], v[12:13] op_sel_hi:[1,0,1]
	v_pk_fma_f32 v[8:9], v[24:25], v[58:59], v[8:9] op_sel:[0,1,0]
	v_pk_fma_f32 v[12:13], v[20:21], v[64:65], v[12:13] op_sel:[0,1,0]
	s_waitcnt vmcnt(2)
	v_xor_b32_e32 v20, 0x80000000, v67
	v_pk_fma_f32 v[14:15], v[66:67], v[64:65], v[14:15] op_sel_hi:[1,0,1]
	v_mov_b32_e32 v21, v66
	v_pk_fma_f32 v[14:15], v[20:21], v[64:65], v[14:15] op_sel:[0,1,0]
	s_waitcnt vmcnt(1)
	v_xor_b32_e32 v20, 0x80000000, v73
	v_pk_fma_f32 v[10:11], v[72:73], v[64:65], v[10:11] op_sel_hi:[1,0,1]
	v_mov_b32_e32 v21, v72
	s_waitcnt vmcnt(0)
	v_xor_b32_e32 v24, 0x80000000, v75
	v_pk_fma_f32 v[8:9], v[74:75], v[64:65], v[8:9] op_sel_hi:[1,0,1]
	v_mov_b32_e32 v25, v74
	v_pk_fma_f32 v[10:11], v[20:21], v[64:65], v[10:11] op_sel:[0,1,0]
	v_pk_fma_f32 v[8:9], v[24:25], v[64:65], v[8:9] op_sel:[0,1,0]
	s_andn2_b64 exec, exec, s[2:3]
	s_cbranch_execnz .LBB91_11
; %bb.12:
	s_or_b64 exec, exec, s[2:3]
.LBB91_13:
	s_or_b64 exec, exec, s[4:5]
.LBB91_14:
	v_mov_b32_dpp v0, v12 row_shr:1 row_mask:0xf bank_mask:0xf
	v_add_f32_e32 v0, v12, v0
	v_mov_b32_dpp v12, v13 row_shr:1 row_mask:0xf bank_mask:0xf
	v_add_f32_e32 v12, v13, v12
	;; [unrolled: 2-line block ×7, first 2 shown]
	v_mov_b32_dpp v1, v0 row_shr:8 row_mask:0xf bank_mask:0xc
	v_mov_b32_dpp v16, v13 row_shr:8 row_mask:0xf bank_mask:0xc
	;; [unrolled: 1-line block ×3, first 2 shown]
	v_add_f32_e32 v12, v12, v14
	v_cmp_eq_u32_e32 vcc, 15, v7
	s_nop 0
	v_mov_b32_dpp v14, v12 row_shr:4 row_mask:0xf bank_mask:0xe
	v_add_f32_e32 v14, v12, v14
	v_mov_b32_dpp v12, v15 row_shr:1 row_mask:0xf bank_mask:0xf
	v_add_f32_e32 v12, v15, v12
	v_mov_b32_dpp v17, v14 row_shr:8 row_mask:0xf bank_mask:0xc
	s_nop 0
	v_mov_b32_dpp v15, v12 row_shr:2 row_mask:0xf bank_mask:0xf
	v_add_f32_e32 v12, v12, v15
	s_nop 1
	v_mov_b32_dpp v15, v12 row_shr:4 row_mask:0xf bank_mask:0xe
	v_add_f32_e32 v15, v12, v15
	v_mov_b32_dpp v12, v10 row_shr:1 row_mask:0xf bank_mask:0xf
	v_add_f32_e32 v10, v10, v12
	v_mov_b32_dpp v18, v15 row_shr:8 row_mask:0xf bank_mask:0xc
	s_nop 0
	v_mov_b32_dpp v12, v10 row_shr:2 row_mask:0xf bank_mask:0xf
	v_add_f32_e32 v10, v10, v12
	;; [unrolled: 9-line block ×5, first 2 shown]
	s_nop 1
	v_mov_b32_dpp v9, v8 row_shr:4 row_mask:0xf bank_mask:0xe
	v_add_f32_e32 v9, v8, v9
	s_nop 1
	v_mov_b32_dpp v25, v9 row_shr:8 row_mask:0xf bank_mask:0xc
	s_and_b64 exec, exec, vcc
	s_cbranch_execz .LBB91_19
; %bb.15:
	s_load_dwordx2 s[2:3], s[0:1], 0x38
	v_cmp_eq_f32_e32 vcc, 0, v4
	v_cmp_eq_f32_e64 s[0:1], 0, v5
	v_add_f32_e32 v12, v0, v1
	v_add_f32_e32 v20, v13, v16
	;; [unrolled: 1-line block ×8, first 2 shown]
	s_and_b64 s[0:1], vcc, s[0:1]
	s_and_saveexec_b64 s[4:5], s[0:1]
	s_xor_b64 s[0:1], exec, s[4:5]
	s_cbranch_execz .LBB91_17
; %bb.16:
	v_lshlrev_b32_e32 v4, 2, v6
	v_xor_b32_e32 v22, 0x80000000, v3
	v_ashrrev_i32_e32 v5, 31, v4
	v_mov_b32_e32 v23, v2
	s_waitcnt lgkmcnt(0)
	v_lshl_add_u64 v[24:25], v[4:5], 3, s[2:3]
	v_pk_mul_f32 v[4:5], v[20:21], v[22:23] op_sel_hi:[0,1]
	v_pk_mul_f32 v[6:7], v[18:19], v[22:23] op_sel_hi:[0,1]
	v_pk_fma_f32 v[4:5], v[2:3], v[12:13], v[4:5] op_sel_hi:[1,0,1]
	v_pk_fma_f32 v[6:7], v[2:3], v[10:11], v[6:7] op_sel_hi:[1,0,1]
	global_store_dwordx4 v[24:25], v[4:7], off
                                        ; implicit-def: $vgpr12
                                        ; implicit-def: $vgpr20
                                        ; implicit-def: $vgpr10
                                        ; implicit-def: $vgpr18
	s_nop 1
	v_pk_mul_f32 v[4:5], v[16:17], v[22:23] op_sel_hi:[0,1]
	v_pk_mul_f32 v[6:7], v[14:15], v[22:23] op_sel_hi:[0,1]
	v_pk_fma_f32 v[4:5], v[2:3], v[8:9], v[4:5] op_sel_hi:[1,0,1]
	v_pk_fma_f32 v[6:7], v[2:3], v[0:1], v[6:7] op_sel_hi:[1,0,1]
	global_store_dwordx4 v[24:25], v[4:7], off offset:16
                                        ; implicit-def: $vgpr6
                                        ; implicit-def: $vgpr8
                                        ; implicit-def: $vgpr16
                                        ; implicit-def: $vgpr0
                                        ; implicit-def: $vgpr14
                                        ; implicit-def: $vgpr2_vgpr3
                                        ; implicit-def: $vgpr4_vgpr5
.LBB91_17:
	s_andn2_saveexec_b64 s[0:1], s[0:1]
	s_cbranch_execz .LBB91_19
; %bb.18:
	v_lshlrev_b32_e32 v6, 2, v6
	v_ashrrev_i32_e32 v7, 31, v6
	s_waitcnt lgkmcnt(0)
	v_lshl_add_u64 v[30:31], v[6:7], 3, s[2:3]
	global_load_dwordx4 v[22:25], v[30:31], off
	global_load_dwordx4 v[26:29], v[30:31], off offset:16
	v_xor_b32_e32 v6, 0x80000000, v3
	v_mov_b32_e32 v7, v2
	v_pk_mul_f32 v[20:21], v[20:21], v[6:7] op_sel_hi:[0,1]
	v_pk_mul_f32 v[18:19], v[18:19], v[6:7] op_sel_hi:[0,1]
	v_pk_mul_f32 v[16:17], v[16:17], v[6:7] op_sel_hi:[0,1]
	v_pk_mul_f32 v[6:7], v[14:15], v[6:7] op_sel_hi:[0,1]
	v_pk_fma_f32 v[12:13], v[2:3], v[12:13], v[20:21] op_sel_hi:[1,0,1]
	v_pk_fma_f32 v[10:11], v[2:3], v[10:11], v[18:19] op_sel_hi:[1,0,1]
	v_xor_b32_e32 v32, 0x80000000, v5
	v_mov_b32_e32 v33, v4
	v_pk_fma_f32 v[8:9], v[2:3], v[8:9], v[16:17] op_sel_hi:[1,0,1]
	v_pk_fma_f32 v[0:1], v[2:3], v[0:1], v[6:7] op_sel_hi:[1,0,1]
	s_waitcnt vmcnt(1)
	v_pk_fma_f32 v[2:3], v[4:5], v[22:23], v[12:13] op_sel_hi:[1,0,1]
	v_pk_fma_f32 v[6:7], v[4:5], v[24:25], v[10:11] op_sel_hi:[1,0,1]
	v_mov_b32_e32 v10, v25
	s_waitcnt vmcnt(0)
	v_pk_fma_f32 v[8:9], v[4:5], v[26:27], v[8:9] op_sel_hi:[1,0,1]
	v_pk_fma_f32 v[12:13], v[4:5], v[28:29], v[0:1] op_sel_hi:[1,0,1]
	v_mov_b32_e32 v14, v29
	v_pk_fma_f32 v[0:1], v[32:33], v[22:23], v[2:3] op_sel:[0,1,0]
	v_pk_fma_f32 v[2:3], v[32:33], v[10:11], v[6:7] op_sel_hi:[1,0,1]
	v_pk_fma_f32 v[4:5], v[32:33], v[26:27], v[8:9] op_sel:[0,1,0]
	v_pk_fma_f32 v[6:7], v[32:33], v[14:15], v[12:13] op_sel_hi:[1,0,1]
	global_store_dwordx4 v[30:31], v[0:3], off
	global_store_dwordx4 v[30:31], v[4:7], off offset:16
.LBB91_19:
	s_endpgm
	.section	.rodata,"a",@progbits
	.p2align	6, 0x0
	.amdhsa_kernel _ZN9rocsparseL19gebsrmvn_4xn_kernelILj128ELj5ELj16E21rocsparse_complex_numIfEEEvi20rocsparse_direction_NS_24const_host_device_scalarIT2_EEPKiS8_PKS5_SA_S6_PS5_21rocsparse_index_base_b
		.amdhsa_group_segment_fixed_size 0
		.amdhsa_private_segment_fixed_size 0
		.amdhsa_kernarg_size 72
		.amdhsa_user_sgpr_count 2
		.amdhsa_user_sgpr_dispatch_ptr 0
		.amdhsa_user_sgpr_queue_ptr 0
		.amdhsa_user_sgpr_kernarg_segment_ptr 1
		.amdhsa_user_sgpr_dispatch_id 0
		.amdhsa_user_sgpr_kernarg_preload_length 0
		.amdhsa_user_sgpr_kernarg_preload_offset 0
		.amdhsa_user_sgpr_private_segment_size 0
		.amdhsa_uses_dynamic_stack 0
		.amdhsa_enable_private_segment 0
		.amdhsa_system_sgpr_workgroup_id_x 1
		.amdhsa_system_sgpr_workgroup_id_y 0
		.amdhsa_system_sgpr_workgroup_id_z 0
		.amdhsa_system_sgpr_workgroup_info 0
		.amdhsa_system_vgpr_workitem_id 0
		.amdhsa_next_free_vgpr 76
		.amdhsa_next_free_sgpr 16
		.amdhsa_accum_offset 76
		.amdhsa_reserve_vcc 1
		.amdhsa_float_round_mode_32 0
		.amdhsa_float_round_mode_16_64 0
		.amdhsa_float_denorm_mode_32 3
		.amdhsa_float_denorm_mode_16_64 3
		.amdhsa_dx10_clamp 1
		.amdhsa_ieee_mode 1
		.amdhsa_fp16_overflow 0
		.amdhsa_tg_split 0
		.amdhsa_exception_fp_ieee_invalid_op 0
		.amdhsa_exception_fp_denorm_src 0
		.amdhsa_exception_fp_ieee_div_zero 0
		.amdhsa_exception_fp_ieee_overflow 0
		.amdhsa_exception_fp_ieee_underflow 0
		.amdhsa_exception_fp_ieee_inexact 0
		.amdhsa_exception_int_div_zero 0
	.end_amdhsa_kernel
	.section	.text._ZN9rocsparseL19gebsrmvn_4xn_kernelILj128ELj5ELj16E21rocsparse_complex_numIfEEEvi20rocsparse_direction_NS_24const_host_device_scalarIT2_EEPKiS8_PKS5_SA_S6_PS5_21rocsparse_index_base_b,"axG",@progbits,_ZN9rocsparseL19gebsrmvn_4xn_kernelILj128ELj5ELj16E21rocsparse_complex_numIfEEEvi20rocsparse_direction_NS_24const_host_device_scalarIT2_EEPKiS8_PKS5_SA_S6_PS5_21rocsparse_index_base_b,comdat
.Lfunc_end91:
	.size	_ZN9rocsparseL19gebsrmvn_4xn_kernelILj128ELj5ELj16E21rocsparse_complex_numIfEEEvi20rocsparse_direction_NS_24const_host_device_scalarIT2_EEPKiS8_PKS5_SA_S6_PS5_21rocsparse_index_base_b, .Lfunc_end91-_ZN9rocsparseL19gebsrmvn_4xn_kernelILj128ELj5ELj16E21rocsparse_complex_numIfEEEvi20rocsparse_direction_NS_24const_host_device_scalarIT2_EEPKiS8_PKS5_SA_S6_PS5_21rocsparse_index_base_b
                                        ; -- End function
	.set _ZN9rocsparseL19gebsrmvn_4xn_kernelILj128ELj5ELj16E21rocsparse_complex_numIfEEEvi20rocsparse_direction_NS_24const_host_device_scalarIT2_EEPKiS8_PKS5_SA_S6_PS5_21rocsparse_index_base_b.num_vgpr, 76
	.set _ZN9rocsparseL19gebsrmvn_4xn_kernelILj128ELj5ELj16E21rocsparse_complex_numIfEEEvi20rocsparse_direction_NS_24const_host_device_scalarIT2_EEPKiS8_PKS5_SA_S6_PS5_21rocsparse_index_base_b.num_agpr, 0
	.set _ZN9rocsparseL19gebsrmvn_4xn_kernelILj128ELj5ELj16E21rocsparse_complex_numIfEEEvi20rocsparse_direction_NS_24const_host_device_scalarIT2_EEPKiS8_PKS5_SA_S6_PS5_21rocsparse_index_base_b.numbered_sgpr, 16
	.set _ZN9rocsparseL19gebsrmvn_4xn_kernelILj128ELj5ELj16E21rocsparse_complex_numIfEEEvi20rocsparse_direction_NS_24const_host_device_scalarIT2_EEPKiS8_PKS5_SA_S6_PS5_21rocsparse_index_base_b.num_named_barrier, 0
	.set _ZN9rocsparseL19gebsrmvn_4xn_kernelILj128ELj5ELj16E21rocsparse_complex_numIfEEEvi20rocsparse_direction_NS_24const_host_device_scalarIT2_EEPKiS8_PKS5_SA_S6_PS5_21rocsparse_index_base_b.private_seg_size, 0
	.set _ZN9rocsparseL19gebsrmvn_4xn_kernelILj128ELj5ELj16E21rocsparse_complex_numIfEEEvi20rocsparse_direction_NS_24const_host_device_scalarIT2_EEPKiS8_PKS5_SA_S6_PS5_21rocsparse_index_base_b.uses_vcc, 1
	.set _ZN9rocsparseL19gebsrmvn_4xn_kernelILj128ELj5ELj16E21rocsparse_complex_numIfEEEvi20rocsparse_direction_NS_24const_host_device_scalarIT2_EEPKiS8_PKS5_SA_S6_PS5_21rocsparse_index_base_b.uses_flat_scratch, 0
	.set _ZN9rocsparseL19gebsrmvn_4xn_kernelILj128ELj5ELj16E21rocsparse_complex_numIfEEEvi20rocsparse_direction_NS_24const_host_device_scalarIT2_EEPKiS8_PKS5_SA_S6_PS5_21rocsparse_index_base_b.has_dyn_sized_stack, 0
	.set _ZN9rocsparseL19gebsrmvn_4xn_kernelILj128ELj5ELj16E21rocsparse_complex_numIfEEEvi20rocsparse_direction_NS_24const_host_device_scalarIT2_EEPKiS8_PKS5_SA_S6_PS5_21rocsparse_index_base_b.has_recursion, 0
	.set _ZN9rocsparseL19gebsrmvn_4xn_kernelILj128ELj5ELj16E21rocsparse_complex_numIfEEEvi20rocsparse_direction_NS_24const_host_device_scalarIT2_EEPKiS8_PKS5_SA_S6_PS5_21rocsparse_index_base_b.has_indirect_call, 0
	.section	.AMDGPU.csdata,"",@progbits
; Kernel info:
; codeLenInByte = 3212
; TotalNumSgprs: 22
; NumVgprs: 76
; NumAgprs: 0
; TotalNumVgprs: 76
; ScratchSize: 0
; MemoryBound: 0
; FloatMode: 240
; IeeeMode: 1
; LDSByteSize: 0 bytes/workgroup (compile time only)
; SGPRBlocks: 2
; VGPRBlocks: 9
; NumSGPRsForWavesPerEU: 22
; NumVGPRsForWavesPerEU: 76
; AccumOffset: 76
; Occupancy: 6
; WaveLimiterHint : 1
; COMPUTE_PGM_RSRC2:SCRATCH_EN: 0
; COMPUTE_PGM_RSRC2:USER_SGPR: 2
; COMPUTE_PGM_RSRC2:TRAP_HANDLER: 0
; COMPUTE_PGM_RSRC2:TGID_X_EN: 1
; COMPUTE_PGM_RSRC2:TGID_Y_EN: 0
; COMPUTE_PGM_RSRC2:TGID_Z_EN: 0
; COMPUTE_PGM_RSRC2:TIDIG_COMP_CNT: 0
; COMPUTE_PGM_RSRC3_GFX90A:ACCUM_OFFSET: 18
; COMPUTE_PGM_RSRC3_GFX90A:TG_SPLIT: 0
	.section	.text._ZN9rocsparseL19gebsrmvn_4xn_kernelILj128ELj5ELj32E21rocsparse_complex_numIfEEEvi20rocsparse_direction_NS_24const_host_device_scalarIT2_EEPKiS8_PKS5_SA_S6_PS5_21rocsparse_index_base_b,"axG",@progbits,_ZN9rocsparseL19gebsrmvn_4xn_kernelILj128ELj5ELj32E21rocsparse_complex_numIfEEEvi20rocsparse_direction_NS_24const_host_device_scalarIT2_EEPKiS8_PKS5_SA_S6_PS5_21rocsparse_index_base_b,comdat
	.globl	_ZN9rocsparseL19gebsrmvn_4xn_kernelILj128ELj5ELj32E21rocsparse_complex_numIfEEEvi20rocsparse_direction_NS_24const_host_device_scalarIT2_EEPKiS8_PKS5_SA_S6_PS5_21rocsparse_index_base_b ; -- Begin function _ZN9rocsparseL19gebsrmvn_4xn_kernelILj128ELj5ELj32E21rocsparse_complex_numIfEEEvi20rocsparse_direction_NS_24const_host_device_scalarIT2_EEPKiS8_PKS5_SA_S6_PS5_21rocsparse_index_base_b
	.p2align	8
	.type	_ZN9rocsparseL19gebsrmvn_4xn_kernelILj128ELj5ELj32E21rocsparse_complex_numIfEEEvi20rocsparse_direction_NS_24const_host_device_scalarIT2_EEPKiS8_PKS5_SA_S6_PS5_21rocsparse_index_base_b,@function
_ZN9rocsparseL19gebsrmvn_4xn_kernelILj128ELj5ELj32E21rocsparse_complex_numIfEEEvi20rocsparse_direction_NS_24const_host_device_scalarIT2_EEPKiS8_PKS5_SA_S6_PS5_21rocsparse_index_base_b: ; @_ZN9rocsparseL19gebsrmvn_4xn_kernelILj128ELj5ELj32E21rocsparse_complex_numIfEEEvi20rocsparse_direction_NS_24const_host_device_scalarIT2_EEPKiS8_PKS5_SA_S6_PS5_21rocsparse_index_base_b
; %bb.0:
	s_load_dwordx2 s[4:5], s[0:1], 0x8
	s_load_dwordx2 s[6:7], s[0:1], 0x30
	;; [unrolled: 1-line block ×3, first 2 shown]
	s_add_u32 s3, s0, 8
	s_addc_u32 s8, s1, 0
	s_add_u32 s9, s0, 48
	s_addc_u32 s10, s1, 0
	s_waitcnt lgkmcnt(0)
	s_bitcmp1_b32 s13, 0
	s_cselect_b32 s3, s3, s4
	s_cselect_b32 s5, s8, s5
	v_mov_b32_e32 v2, s3
	s_cselect_b32 s3, s10, s7
	s_cselect_b32 s4, s9, s6
	v_mov_b32_e32 v3, s5
	v_mov_b32_e32 v4, s4
	;; [unrolled: 1-line block ×3, first 2 shown]
	flat_load_dwordx2 v[2:3], v[2:3]
	s_waitcnt vmcnt(0) lgkmcnt(0)
	v_cmp_eq_f32_e32 vcc, 0, v2
	flat_load_dwordx2 v[4:5], v[4:5]
	v_cmp_eq_f32_e64 s[4:5], 0, v3
	s_and_b64 s[4:5], vcc, s[4:5]
	s_waitcnt vmcnt(0) lgkmcnt(0)
	v_cmp_eq_f32_e64 s[6:7], 1.0, v4
	v_cmp_eq_f32_e64 s[8:9], 0, v5
	s_and_b64 s[6:7], s[6:7], s[8:9]
	s_and_b64 s[4:5], s[4:5], s[6:7]
	s_xor_b64 s[4:5], s[4:5], -1
	s_and_saveexec_b64 s[6:7], s[4:5]
	s_cbranch_execz .LBB92_19
; %bb.1:
	s_load_dwordx2 s[14:15], s[0:1], 0x0
	v_lshrrev_b32_e32 v1, 5, v0
	v_lshl_or_b32 v6, s2, 2, v1
	s_waitcnt lgkmcnt(0)
	v_cmp_gt_i32_e32 vcc, s14, v6
	s_and_b64 exec, exec, vcc
	s_cbranch_execz .LBB92_19
; %bb.2:
	s_load_dwordx8 s[4:11], s[0:1], 0x10
	v_ashrrev_i32_e32 v7, 31, v6
	s_cmp_lg_u32 s15, 0
	s_waitcnt lgkmcnt(0)
	v_lshl_add_u64 v[8:9], v[6:7], 2, s[4:5]
	global_load_dwordx2 v[8:9], v[8:9], off
	v_and_b32_e32 v7, 31, v0
	s_waitcnt vmcnt(0)
	v_subrev_u32_e32 v0, s12, v8
	v_subrev_u32_e32 v22, s12, v9
	v_add_u32_e32 v0, v0, v7
	v_cmp_lt_i32_e64 s[2:3], v0, v22
	s_cbranch_scc0 .LBB92_8
; %bb.3:
	v_mov_b32_e32 v13, 0
	v_mov_b32_e32 v12, v13
	;; [unrolled: 1-line block ×8, first 2 shown]
	s_and_saveexec_b64 s[4:5], s[2:3]
	s_cbranch_execz .LBB92_7
; %bb.4:
	v_mad_u64_u32 v[16:17], s[14:15], v0, 20, 16
	v_mov_b32_e32 v19, 0
	s_mov_b64 s[14:15], 0
	v_mov_b32_e32 v20, v0
	v_mov_b32_e32 v14, v19
	;; [unrolled: 1-line block ×9, first 2 shown]
.LBB92_5:                               ; =>This Inner Loop Header: Depth=1
	v_ashrrev_i32_e32 v21, 31, v20
	v_lshl_add_u64 v[24:25], v[20:21], 2, s[6:7]
	global_load_dword v1, v[24:25], off
	v_add_u32_e32 v18, -16, v16
	v_mov_b32_e32 v17, v19
	v_mov_b32_e32 v65, v19
	v_lshl_add_u64 v[32:33], v[18:19], 3, s[8:9]
	v_add_u32_e32 v18, -12, v16
	v_lshl_add_u64 v[48:49], v[16:17], 3, s[8:9]
	global_load_dwordx4 v[24:27], v[32:33], off
	global_load_dwordx4 v[28:31], v[32:33], off offset:16
	v_lshl_add_u64 v[50:51], v[18:19], 3, s[8:9]
	global_load_dwordx4 v[32:35], v[48:49], off offset:16
	global_load_dwordx4 v[36:39], v[48:49], off
	global_load_dwordx4 v[40:43], v[50:51], off offset:16
	global_load_dwordx4 v[44:47], v[50:51], off
	v_add_u32_e32 v20, 32, v20
	v_cmp_ge_i32_e32 vcc, v20, v22
	s_or_b64 s[14:15], vcc, s[14:15]
	s_waitcnt vmcnt(6)
	v_subrev_u32_e32 v1, s12, v1
	v_lshl_add_u32 v64, v1, 2, v1
	v_lshl_add_u64 v[48:49], v[64:65], 3, s[10:11]
	global_load_dwordx2 v[66:67], v[48:49], off
	v_add_u32_e32 v18, 1, v64
	v_lshl_add_u64 v[48:49], v[18:19], 3, s[10:11]
	v_add_u32_e32 v18, -8, v16
	global_load_dwordx2 v[68:69], v[48:49], off
	v_lshl_add_u64 v[56:57], v[18:19], 3, s[8:9]
	v_add_u32_e32 v18, 2, v64
	global_load_dwordx4 v[48:51], v[56:57], off
	global_load_dwordx4 v[52:55], v[56:57], off offset:16
	v_lshl_add_u64 v[56:57], v[18:19], 3, s[10:11]
	v_add_u32_e32 v18, -4, v16
	global_load_dwordx2 v[70:71], v[56:57], off
	v_lshl_add_u64 v[72:73], v[18:19], 3, s[8:9]
	v_add_u32_e32 v18, 3, v64
	global_load_dwordx4 v[56:59], v[72:73], off
	global_load_dwordx4 v[60:63], v[72:73], off offset:16
	v_lshl_add_u64 v[72:73], v[18:19], 3, s[10:11]
	v_add_u32_e32 v18, 4, v64
	global_load_dwordx2 v[64:65], v[72:73], off
	v_lshl_add_u64 v[72:73], v[18:19], 3, s[10:11]
	global_load_dwordx2 v[72:73], v[72:73], off
	s_waitcnt vmcnt(14)
	v_xor_b32_e32 v74, 0x80000000, v27
	v_mov_b32_e32 v75, v26
	v_add_u32_e32 v16, 0x280, v16
	s_waitcnt vmcnt(8)
	v_pk_fma_f32 v[12:13], v[24:25], v[66:67], v[12:13] op_sel_hi:[1,0,1]
	v_pk_fma_f32 v[14:15], v[26:27], v[66:67], v[14:15] op_sel_hi:[1,0,1]
	v_pk_fma_f32 v[12:13], v[24:25], v[66:67], v[12:13] op_sel:[1,1,0] op_sel_hi:[0,1,1] neg_lo:[1,0,0]
	v_xor_b32_e32 v24, 0x80000000, v31
	v_mov_b32_e32 v25, v30
	v_pk_fma_f32 v[10:11], v[28:29], v[66:67], v[10:11] op_sel_hi:[1,0,1]
	v_pk_fma_f32 v[8:9], v[30:31], v[66:67], v[8:9] op_sel_hi:[1,0,1]
	v_pk_fma_f32 v[10:11], v[28:29], v[66:67], v[10:11] op_sel:[1,1,0] op_sel_hi:[0,1,1] neg_lo:[1,0,0]
	v_pk_fma_f32 v[14:15], v[74:75], v[66:67], v[14:15] op_sel:[0,1,0]
	v_pk_fma_f32 v[8:9], v[24:25], v[66:67], v[8:9] op_sel:[0,1,0]
	v_xor_b32_e32 v30, 0x80000000, v47
	v_mov_b32_e32 v31, v46
	v_xor_b32_e32 v74, 0x80000000, v43
	v_mov_b32_e32 v75, v42
	s_waitcnt vmcnt(7)
	v_pk_fma_f32 v[12:13], v[44:45], v[68:69], v[12:13] op_sel_hi:[1,0,1]
	v_pk_fma_f32 v[14:15], v[46:47], v[68:69], v[14:15] op_sel_hi:[1,0,1]
	;; [unrolled: 1-line block ×4, first 2 shown]
	v_pk_fma_f32 v[12:13], v[44:45], v[68:69], v[12:13] op_sel:[1,1,0] op_sel_hi:[0,1,1] neg_lo:[1,0,0]
	v_pk_fma_f32 v[14:15], v[30:31], v[68:69], v[14:15] op_sel:[0,1,0]
	v_pk_fma_f32 v[10:11], v[40:41], v[68:69], v[10:11] op_sel:[1,1,0] op_sel_hi:[0,1,1] neg_lo:[1,0,0]
	v_pk_fma_f32 v[8:9], v[74:75], v[68:69], v[8:9] op_sel:[0,1,0]
	s_waitcnt vmcnt(6)
	v_xor_b32_e32 v24, 0x80000000, v51
	v_mov_b32_e32 v25, v50
	s_waitcnt vmcnt(5)
	v_xor_b32_e32 v42, 0x80000000, v55
	v_mov_b32_e32 v43, v54
	s_waitcnt vmcnt(4)
	v_pk_fma_f32 v[12:13], v[48:49], v[70:71], v[12:13] op_sel_hi:[1,0,1]
	v_pk_fma_f32 v[14:15], v[50:51], v[70:71], v[14:15] op_sel_hi:[1,0,1]
	;; [unrolled: 1-line block ×4, first 2 shown]
	v_pk_fma_f32 v[12:13], v[48:49], v[70:71], v[12:13] op_sel:[1,1,0] op_sel_hi:[0,1,1] neg_lo:[1,0,0]
	v_pk_fma_f32 v[14:15], v[24:25], v[70:71], v[14:15] op_sel:[0,1,0]
	v_pk_fma_f32 v[10:11], v[52:53], v[70:71], v[10:11] op_sel:[1,1,0] op_sel_hi:[0,1,1] neg_lo:[1,0,0]
	v_pk_fma_f32 v[8:9], v[42:43], v[70:71], v[8:9] op_sel:[0,1,0]
	s_waitcnt vmcnt(3)
	v_xor_b32_e32 v30, 0x80000000, v59
	v_mov_b32_e32 v31, v58
	s_waitcnt vmcnt(2)
	v_xor_b32_e32 v40, 0x80000000, v63
	v_mov_b32_e32 v41, v62
	s_waitcnt vmcnt(1)
	v_pk_fma_f32 v[12:13], v[56:57], v[64:65], v[12:13] op_sel_hi:[1,0,1]
	v_pk_fma_f32 v[14:15], v[58:59], v[64:65], v[14:15] op_sel_hi:[1,0,1]
	;; [unrolled: 1-line block ×4, first 2 shown]
	v_pk_fma_f32 v[12:13], v[56:57], v[64:65], v[12:13] op_sel:[1,1,0] op_sel_hi:[0,1,1] neg_lo:[1,0,0]
	v_pk_fma_f32 v[14:15], v[30:31], v[64:65], v[14:15] op_sel:[0,1,0]
	v_pk_fma_f32 v[10:11], v[60:61], v[64:65], v[10:11] op_sel:[1,1,0] op_sel_hi:[0,1,1] neg_lo:[1,0,0]
	v_pk_fma_f32 v[8:9], v[40:41], v[64:65], v[8:9] op_sel:[0,1,0]
	v_xor_b32_e32 v26, 0x80000000, v39
	v_mov_b32_e32 v27, v38
	v_xor_b32_e32 v28, 0x80000000, v35
	v_mov_b32_e32 v29, v34
	s_waitcnt vmcnt(0)
	v_pk_fma_f32 v[12:13], v[36:37], v[72:73], v[12:13] op_sel_hi:[1,0,1]
	v_pk_fma_f32 v[14:15], v[38:39], v[72:73], v[14:15] op_sel_hi:[1,0,1]
	;; [unrolled: 1-line block ×4, first 2 shown]
	v_pk_fma_f32 v[12:13], v[36:37], v[72:73], v[12:13] op_sel:[1,1,0] op_sel_hi:[0,1,1] neg_lo:[1,0,0]
	v_pk_fma_f32 v[14:15], v[26:27], v[72:73], v[14:15] op_sel:[0,1,0]
	v_pk_fma_f32 v[10:11], v[32:33], v[72:73], v[10:11] op_sel:[1,1,0] op_sel_hi:[0,1,1] neg_lo:[1,0,0]
	v_pk_fma_f32 v[8:9], v[28:29], v[72:73], v[8:9] op_sel:[0,1,0]
	s_andn2_b64 exec, exec, s[14:15]
	s_cbranch_execnz .LBB92_5
; %bb.6:
	s_or_b64 exec, exec, s[14:15]
.LBB92_7:
	s_or_b64 exec, exec, s[4:5]
	s_cbranch_execz .LBB92_9
	s_branch .LBB92_14
.LBB92_8:
                                        ; implicit-def: $vgpr13
                                        ; implicit-def: $vgpr9
                                        ; implicit-def: $vgpr11
                                        ; implicit-def: $vgpr15
.LBB92_9:
	v_mov_b32_e32 v13, 0
	v_mov_b32_e32 v12, v13
	;; [unrolled: 1-line block ×8, first 2 shown]
	s_and_saveexec_b64 s[4:5], s[2:3]
	s_cbranch_execz .LBB92_13
; %bb.10:
	v_mad_u64_u32 v[16:17], s[2:3], v0, 20, 19
	v_mov_b32_e32 v19, 0
	s_mov_b64 s[2:3], 0
	v_mov_b32_e32 v14, v19
	v_mov_b32_e32 v15, v19
	;; [unrolled: 1-line block ×8, first 2 shown]
.LBB92_11:                              ; =>This Inner Loop Header: Depth=1
	v_ashrrev_i32_e32 v1, 31, v0
	v_lshl_add_u64 v[20:21], v[0:1], 2, s[6:7]
	global_load_dword v1, v[20:21], off
	v_subrev_u32_e32 v18, 19, v16
	v_add_u32_e32 v20, -14, v16
	v_mov_b32_e32 v21, v19
	v_add_u32_e32 v24, -9, v16
	v_add_u32_e32 v26, -4, v16
	v_mov_b32_e32 v25, v19
	v_mov_b32_e32 v27, v19
	v_lshl_add_u64 v[34:35], v[18:19], 3, s[8:9]
	v_lshl_add_u64 v[20:21], v[20:21], 3, s[8:9]
	v_mov_b32_e32 v33, v19
	v_lshl_add_u64 v[36:37], v[24:25], 3, s[8:9]
	v_lshl_add_u64 v[38:39], v[26:27], 3, s[8:9]
	global_load_dwordx2 v[42:43], v[20:21], off
	global_load_dwordx2 v[44:45], v[36:37], off
	global_load_dwordx2 v[46:47], v[38:39], off
	global_load_dwordx4 v[24:27], v[34:35], off
	global_load_dwordx4 v[28:31], v[34:35], off offset:16
	v_mov_b32_e32 v17, v19
	v_lshl_add_u64 v[40:41], v[16:17], 3, s[8:9]
	v_add_u32_e32 v0, 32, v0
	v_cmp_ge_i32_e32 vcc, v0, v22
	s_or_b64 s[2:3], vcc, s[2:3]
	s_waitcnt vmcnt(5)
	v_subrev_u32_e32 v1, s12, v1
	v_lshl_add_u32 v32, v1, 2, v1
	v_add_u32_e32 v18, 1, v32
	v_lshl_add_u64 v[34:35], v[18:19], 3, s[10:11]
	v_add_u32_e32 v18, -13, v16
	v_lshl_add_u64 v[20:21], v[32:33], 3, s[10:11]
	v_lshl_add_u64 v[36:37], v[18:19], 3, s[8:9]
	v_add_u32_e32 v18, -8, v16
	global_load_dwordx2 v[20:21], v[20:21], off
	s_nop 0
	global_load_dwordx2 v[38:39], v[34:35], off
	global_load_dwordx2 v[48:49], v[36:37], off
	v_lshl_add_u64 v[34:35], v[18:19], 3, s[8:9]
	v_add_u32_e32 v18, -3, v16
	v_lshl_add_u64 v[36:37], v[18:19], 3, s[8:9]
	v_add_u32_e32 v18, 2, v32
	v_lshl_add_u64 v[50:51], v[18:19], 3, s[10:11]
	v_add_u32_e32 v18, -12, v16
	v_lshl_add_u64 v[52:53], v[18:19], 3, s[8:9]
	v_add_u32_e32 v18, -7, v16
	;; [unrolled: 2-line block ×3, first 2 shown]
	global_load_dwordx2 v[34:35], v[34:35], off
	v_lshl_add_u64 v[56:57], v[18:19], 3, s[8:9]
	v_add_u32_e32 v18, 3, v32
	global_load_dwordx2 v[36:37], v[36:37], off
	v_lshl_add_u64 v[58:59], v[18:19], 3, s[10:11]
	v_add_u32_e32 v18, -11, v16
	global_load_dwordx2 v[50:51], v[50:51], off
	v_lshl_add_u64 v[60:61], v[18:19], 3, s[8:9]
	global_load_dwordx2 v[52:53], v[52:53], off
	v_add_u32_e32 v18, -6, v16
	global_load_dwordx2 v[54:55], v[54:55], off
	v_lshl_add_u64 v[62:63], v[18:19], 3, s[8:9]
	v_add_u32_e32 v18, -1, v16
	global_load_dwordx2 v[56:57], v[56:57], off
	v_lshl_add_u64 v[64:65], v[18:19], 3, s[8:9]
	;; [unrolled: 3-line block ×3, first 2 shown]
	global_load_dwordx2 v[60:61], v[60:61], off
	v_add_u32_e32 v18, 4, v32
	global_load_dwordx2 v[62:63], v[62:63], off
	s_nop 0
	global_load_dwordx2 v[32:33], v[66:67], off
	global_load_dwordx2 v[68:69], v[64:65], off
	v_lshl_add_u64 v[64:65], v[18:19], 3, s[10:11]
	v_add_u32_e32 v18, -10, v16
	global_load_dwordx2 v[64:65], v[64:65], off
	v_lshl_add_u64 v[66:67], v[18:19], 3, s[8:9]
	v_add_u32_e32 v18, -5, v16
	global_load_dwordx2 v[66:67], v[66:67], off
	v_lshl_add_u64 v[70:71], v[18:19], 3, s[8:9]
	global_load_dwordx2 v[72:73], v[70:71], off
	global_load_dwordx2 v[74:75], v[40:41], off
	s_waitcnt vmcnt(22)
	v_xor_b32_e32 v40, 0x80000000, v43
	v_mov_b32_e32 v41, v42
	v_add_u32_e32 v16, 0x280, v16
	s_waitcnt vmcnt(17)
	v_pk_fma_f32 v[14:15], v[42:43], v[20:21], v[14:15] op_sel_hi:[1,0,1]
	v_xor_b32_e32 v42, 0x80000000, v45
	v_mov_b32_e32 v43, v44
	v_pk_fma_f32 v[10:11], v[44:45], v[20:21], v[10:11] op_sel_hi:[1,0,1]
	v_xor_b32_e32 v44, 0x80000000, v47
	v_mov_b32_e32 v45, v46
	v_pk_fma_f32 v[8:9], v[46:47], v[20:21], v[8:9] op_sel_hi:[1,0,1]
	v_pk_fma_f32 v[14:15], v[40:41], v[20:21], v[14:15] op_sel:[0,1,0]
	v_pk_fma_f32 v[12:13], v[24:25], v[20:21], v[12:13] op_sel_hi:[1,0,1]
	v_pk_fma_f32 v[10:11], v[42:43], v[20:21], v[10:11] op_sel:[0,1,0]
	v_pk_fma_f32 v[8:9], v[44:45], v[20:21], v[8:9] op_sel:[0,1,0]
	v_pk_fma_f32 v[12:13], v[24:25], v[20:21], v[12:13] op_sel:[1,1,0] op_sel_hi:[0,1,1] neg_lo:[1,0,0]
	s_waitcnt vmcnt(15)
	v_xor_b32_e32 v20, 0x80000000, v49
	v_pk_fma_f32 v[14:15], v[48:49], v[38:39], v[14:15] op_sel_hi:[1,0,1]
	v_mov_b32_e32 v21, v48
	v_pk_fma_f32 v[14:15], v[20:21], v[38:39], v[14:15] op_sel:[0,1,0]
	s_waitcnt vmcnt(14)
	v_xor_b32_e32 v20, 0x80000000, v35
	v_pk_fma_f32 v[10:11], v[34:35], v[38:39], v[10:11] op_sel_hi:[1,0,1]
	v_mov_b32_e32 v21, v34
	v_xor_b32_e32 v46, 0x80000000, v27
	v_mov_b32_e32 v47, v26
	v_pk_fma_f32 v[12:13], v[26:27], v[38:39], v[12:13] op_sel_hi:[1,0,1]
	v_pk_fma_f32 v[10:11], v[20:21], v[38:39], v[10:11] op_sel:[0,1,0]
	s_waitcnt vmcnt(13)
	v_xor_b32_e32 v20, 0x80000000, v37
	v_pk_fma_f32 v[8:9], v[36:37], v[38:39], v[8:9] op_sel_hi:[1,0,1]
	v_mov_b32_e32 v21, v36
	v_pk_fma_f32 v[12:13], v[46:47], v[38:39], v[12:13] op_sel:[0,1,0]
	v_pk_fma_f32 v[8:9], v[20:21], v[38:39], v[8:9] op_sel:[0,1,0]
	s_waitcnt vmcnt(11)
	v_xor_b32_e32 v20, 0x80000000, v53
	v_pk_fma_f32 v[14:15], v[52:53], v[50:51], v[14:15] op_sel_hi:[1,0,1]
	v_mov_b32_e32 v21, v52
	v_pk_fma_f32 v[12:13], v[28:29], v[50:51], v[12:13] op_sel_hi:[1,0,1]
	v_pk_fma_f32 v[14:15], v[20:21], v[50:51], v[14:15] op_sel:[0,1,0]
	s_waitcnt vmcnt(10)
	v_xor_b32_e32 v20, 0x80000000, v55
	v_pk_fma_f32 v[10:11], v[54:55], v[50:51], v[10:11] op_sel_hi:[1,0,1]
	v_mov_b32_e32 v21, v54
	v_pk_fma_f32 v[12:13], v[28:29], v[50:51], v[12:13] op_sel:[1,1,0] op_sel_hi:[0,1,1] neg_lo:[1,0,0]
	v_pk_fma_f32 v[10:11], v[20:21], v[50:51], v[10:11] op_sel:[0,1,0]
	s_waitcnt vmcnt(9)
	v_xor_b32_e32 v20, 0x80000000, v57
	v_pk_fma_f32 v[8:9], v[56:57], v[50:51], v[8:9] op_sel_hi:[1,0,1]
	v_mov_b32_e32 v21, v56
	v_xor_b32_e32 v40, 0x80000000, v31
	v_mov_b32_e32 v41, v30
	s_waitcnt vmcnt(8)
	v_pk_fma_f32 v[12:13], v[30:31], v[58:59], v[12:13] op_sel_hi:[1,0,1]
	v_pk_fma_f32 v[8:9], v[20:21], v[50:51], v[8:9] op_sel:[0,1,0]
	s_waitcnt vmcnt(7)
	v_xor_b32_e32 v20, 0x80000000, v61
	v_pk_fma_f32 v[14:15], v[60:61], v[58:59], v[14:15] op_sel_hi:[1,0,1]
	v_mov_b32_e32 v21, v60
	v_pk_fma_f32 v[12:13], v[40:41], v[58:59], v[12:13] op_sel:[0,1,0]
	v_pk_fma_f32 v[14:15], v[20:21], v[58:59], v[14:15] op_sel:[0,1,0]
	s_waitcnt vmcnt(6)
	v_xor_b32_e32 v20, 0x80000000, v63
	v_pk_fma_f32 v[10:11], v[62:63], v[58:59], v[10:11] op_sel_hi:[1,0,1]
	v_mov_b32_e32 v21, v62
	v_pk_fma_f32 v[10:11], v[20:21], v[58:59], v[10:11] op_sel:[0,1,0]
	s_waitcnt vmcnt(5)
	v_xor_b32_e32 v20, 0x80000000, v33
	v_mov_b32_e32 v21, v32
	s_waitcnt vmcnt(4)
	v_xor_b32_e32 v24, 0x80000000, v69
	v_pk_fma_f32 v[8:9], v[68:69], v[58:59], v[8:9] op_sel_hi:[1,0,1]
	v_mov_b32_e32 v25, v68
	s_waitcnt vmcnt(3)
	v_pk_fma_f32 v[12:13], v[32:33], v[64:65], v[12:13] op_sel_hi:[1,0,1]
	v_pk_fma_f32 v[8:9], v[24:25], v[58:59], v[8:9] op_sel:[0,1,0]
	v_pk_fma_f32 v[12:13], v[20:21], v[64:65], v[12:13] op_sel:[0,1,0]
	s_waitcnt vmcnt(2)
	v_xor_b32_e32 v20, 0x80000000, v67
	v_pk_fma_f32 v[14:15], v[66:67], v[64:65], v[14:15] op_sel_hi:[1,0,1]
	v_mov_b32_e32 v21, v66
	v_pk_fma_f32 v[14:15], v[20:21], v[64:65], v[14:15] op_sel:[0,1,0]
	s_waitcnt vmcnt(1)
	v_xor_b32_e32 v20, 0x80000000, v73
	v_pk_fma_f32 v[10:11], v[72:73], v[64:65], v[10:11] op_sel_hi:[1,0,1]
	v_mov_b32_e32 v21, v72
	s_waitcnt vmcnt(0)
	v_xor_b32_e32 v24, 0x80000000, v75
	v_pk_fma_f32 v[8:9], v[74:75], v[64:65], v[8:9] op_sel_hi:[1,0,1]
	v_mov_b32_e32 v25, v74
	v_pk_fma_f32 v[10:11], v[20:21], v[64:65], v[10:11] op_sel:[0,1,0]
	v_pk_fma_f32 v[8:9], v[24:25], v[64:65], v[8:9] op_sel:[0,1,0]
	s_andn2_b64 exec, exec, s[2:3]
	s_cbranch_execnz .LBB92_11
; %bb.12:
	s_or_b64 exec, exec, s[2:3]
.LBB92_13:
	s_or_b64 exec, exec, s[4:5]
.LBB92_14:
	v_mov_b32_dpp v0, v12 row_shr:1 row_mask:0xf bank_mask:0xf
	v_add_f32_e32 v0, v12, v0
	v_mov_b32_dpp v12, v13 row_shr:1 row_mask:0xf bank_mask:0xf
	v_add_f32_e32 v12, v13, v12
	;; [unrolled: 2-line block ×9, first 2 shown]
	v_mov_b32_dpp v1, v0 row_bcast:15 row_mask:0xa bank_mask:0xf
	v_mov_b32_dpp v16, v13 row_bcast:15 row_mask:0xa bank_mask:0xf
	v_mov_b32_dpp v14, v12 row_shr:2 row_mask:0xf bank_mask:0xf
	v_add_f32_e32 v12, v12, v14
	v_cmp_eq_u32_e32 vcc, 31, v7
	s_nop 0
	v_mov_b32_dpp v14, v12 row_shr:4 row_mask:0xf bank_mask:0xe
	v_add_f32_e32 v12, v12, v14
	s_nop 1
	v_mov_b32_dpp v14, v12 row_shr:8 row_mask:0xf bank_mask:0xc
	v_add_f32_e32 v14, v12, v14
	v_mov_b32_dpp v12, v15 row_shr:1 row_mask:0xf bank_mask:0xf
	v_add_f32_e32 v12, v15, v12
	v_mov_b32_dpp v17, v14 row_bcast:15 row_mask:0xa bank_mask:0xf
	s_nop 0
	v_mov_b32_dpp v15, v12 row_shr:2 row_mask:0xf bank_mask:0xf
	v_add_f32_e32 v12, v12, v15
	s_nop 1
	v_mov_b32_dpp v15, v12 row_shr:4 row_mask:0xf bank_mask:0xe
	v_add_f32_e32 v12, v12, v15
	s_nop 1
	v_mov_b32_dpp v15, v12 row_shr:8 row_mask:0xf bank_mask:0xc
	v_add_f32_e32 v15, v12, v15
	v_mov_b32_dpp v12, v10 row_shr:1 row_mask:0xf bank_mask:0xf
	v_add_f32_e32 v10, v10, v12
	v_mov_b32_dpp v18, v15 row_bcast:15 row_mask:0xa bank_mask:0xf
	s_nop 0
	v_mov_b32_dpp v12, v10 row_shr:2 row_mask:0xf bank_mask:0xf
	v_add_f32_e32 v10, v10, v12
	;; [unrolled: 12-line block ×5, first 2 shown]
	s_nop 1
	v_mov_b32_dpp v9, v8 row_shr:4 row_mask:0xf bank_mask:0xe
	v_add_f32_e32 v8, v8, v9
	s_nop 1
	v_mov_b32_dpp v9, v8 row_shr:8 row_mask:0xf bank_mask:0xc
	v_add_f32_e32 v9, v8, v9
	s_nop 1
	v_mov_b32_dpp v25, v9 row_bcast:15 row_mask:0xa bank_mask:0xf
	s_and_b64 exec, exec, vcc
	s_cbranch_execz .LBB92_19
; %bb.15:
	s_load_dwordx2 s[2:3], s[0:1], 0x38
	v_cmp_eq_f32_e32 vcc, 0, v4
	v_cmp_eq_f32_e64 s[0:1], 0, v5
	v_add_f32_e32 v12, v0, v1
	v_add_f32_e32 v20, v13, v16
	;; [unrolled: 1-line block ×8, first 2 shown]
	s_and_b64 s[0:1], vcc, s[0:1]
	s_and_saveexec_b64 s[4:5], s[0:1]
	s_xor_b64 s[0:1], exec, s[4:5]
	s_cbranch_execz .LBB92_17
; %bb.16:
	v_lshlrev_b32_e32 v4, 2, v6
	v_xor_b32_e32 v22, 0x80000000, v3
	v_ashrrev_i32_e32 v5, 31, v4
	v_mov_b32_e32 v23, v2
	s_waitcnt lgkmcnt(0)
	v_lshl_add_u64 v[24:25], v[4:5], 3, s[2:3]
	v_pk_mul_f32 v[4:5], v[20:21], v[22:23] op_sel_hi:[0,1]
	v_pk_mul_f32 v[6:7], v[18:19], v[22:23] op_sel_hi:[0,1]
	v_pk_fma_f32 v[4:5], v[2:3], v[12:13], v[4:5] op_sel_hi:[1,0,1]
	v_pk_fma_f32 v[6:7], v[2:3], v[10:11], v[6:7] op_sel_hi:[1,0,1]
	global_store_dwordx4 v[24:25], v[4:7], off
                                        ; implicit-def: $vgpr12
                                        ; implicit-def: $vgpr20
                                        ; implicit-def: $vgpr10
                                        ; implicit-def: $vgpr18
	s_nop 1
	v_pk_mul_f32 v[4:5], v[16:17], v[22:23] op_sel_hi:[0,1]
	v_pk_mul_f32 v[6:7], v[14:15], v[22:23] op_sel_hi:[0,1]
	v_pk_fma_f32 v[4:5], v[2:3], v[8:9], v[4:5] op_sel_hi:[1,0,1]
	v_pk_fma_f32 v[6:7], v[2:3], v[0:1], v[6:7] op_sel_hi:[1,0,1]
	global_store_dwordx4 v[24:25], v[4:7], off offset:16
                                        ; implicit-def: $vgpr6
                                        ; implicit-def: $vgpr8
                                        ; implicit-def: $vgpr16
                                        ; implicit-def: $vgpr0
                                        ; implicit-def: $vgpr14
                                        ; implicit-def: $vgpr2_vgpr3
                                        ; implicit-def: $vgpr4_vgpr5
.LBB92_17:
	s_andn2_saveexec_b64 s[0:1], s[0:1]
	s_cbranch_execz .LBB92_19
; %bb.18:
	v_lshlrev_b32_e32 v6, 2, v6
	v_ashrrev_i32_e32 v7, 31, v6
	s_waitcnt lgkmcnt(0)
	v_lshl_add_u64 v[30:31], v[6:7], 3, s[2:3]
	global_load_dwordx4 v[22:25], v[30:31], off
	global_load_dwordx4 v[26:29], v[30:31], off offset:16
	v_xor_b32_e32 v6, 0x80000000, v3
	v_mov_b32_e32 v7, v2
	v_pk_mul_f32 v[20:21], v[20:21], v[6:7] op_sel_hi:[0,1]
	v_pk_mul_f32 v[18:19], v[18:19], v[6:7] op_sel_hi:[0,1]
	;; [unrolled: 1-line block ×4, first 2 shown]
	v_pk_fma_f32 v[12:13], v[2:3], v[12:13], v[20:21] op_sel_hi:[1,0,1]
	v_pk_fma_f32 v[10:11], v[2:3], v[10:11], v[18:19] op_sel_hi:[1,0,1]
	v_xor_b32_e32 v32, 0x80000000, v5
	v_mov_b32_e32 v33, v4
	v_pk_fma_f32 v[8:9], v[2:3], v[8:9], v[16:17] op_sel_hi:[1,0,1]
	v_pk_fma_f32 v[0:1], v[2:3], v[0:1], v[6:7] op_sel_hi:[1,0,1]
	s_waitcnt vmcnt(1)
	v_pk_fma_f32 v[2:3], v[4:5], v[22:23], v[12:13] op_sel_hi:[1,0,1]
	v_pk_fma_f32 v[6:7], v[4:5], v[24:25], v[10:11] op_sel_hi:[1,0,1]
	v_mov_b32_e32 v10, v25
	s_waitcnt vmcnt(0)
	v_pk_fma_f32 v[8:9], v[4:5], v[26:27], v[8:9] op_sel_hi:[1,0,1]
	v_pk_fma_f32 v[12:13], v[4:5], v[28:29], v[0:1] op_sel_hi:[1,0,1]
	v_mov_b32_e32 v14, v29
	v_pk_fma_f32 v[0:1], v[32:33], v[22:23], v[2:3] op_sel:[0,1,0]
	v_pk_fma_f32 v[2:3], v[32:33], v[10:11], v[6:7] op_sel_hi:[1,0,1]
	v_pk_fma_f32 v[4:5], v[32:33], v[26:27], v[8:9] op_sel:[0,1,0]
	v_pk_fma_f32 v[6:7], v[32:33], v[14:15], v[12:13] op_sel_hi:[1,0,1]
	global_store_dwordx4 v[30:31], v[0:3], off
	global_store_dwordx4 v[30:31], v[4:7], off offset:16
.LBB92_19:
	s_endpgm
	.section	.rodata,"a",@progbits
	.p2align	6, 0x0
	.amdhsa_kernel _ZN9rocsparseL19gebsrmvn_4xn_kernelILj128ELj5ELj32E21rocsparse_complex_numIfEEEvi20rocsparse_direction_NS_24const_host_device_scalarIT2_EEPKiS8_PKS5_SA_S6_PS5_21rocsparse_index_base_b
		.amdhsa_group_segment_fixed_size 0
		.amdhsa_private_segment_fixed_size 0
		.amdhsa_kernarg_size 72
		.amdhsa_user_sgpr_count 2
		.amdhsa_user_sgpr_dispatch_ptr 0
		.amdhsa_user_sgpr_queue_ptr 0
		.amdhsa_user_sgpr_kernarg_segment_ptr 1
		.amdhsa_user_sgpr_dispatch_id 0
		.amdhsa_user_sgpr_kernarg_preload_length 0
		.amdhsa_user_sgpr_kernarg_preload_offset 0
		.amdhsa_user_sgpr_private_segment_size 0
		.amdhsa_uses_dynamic_stack 0
		.amdhsa_enable_private_segment 0
		.amdhsa_system_sgpr_workgroup_id_x 1
		.amdhsa_system_sgpr_workgroup_id_y 0
		.amdhsa_system_sgpr_workgroup_id_z 0
		.amdhsa_system_sgpr_workgroup_info 0
		.amdhsa_system_vgpr_workitem_id 0
		.amdhsa_next_free_vgpr 76
		.amdhsa_next_free_sgpr 16
		.amdhsa_accum_offset 76
		.amdhsa_reserve_vcc 1
		.amdhsa_float_round_mode_32 0
		.amdhsa_float_round_mode_16_64 0
		.amdhsa_float_denorm_mode_32 3
		.amdhsa_float_denorm_mode_16_64 3
		.amdhsa_dx10_clamp 1
		.amdhsa_ieee_mode 1
		.amdhsa_fp16_overflow 0
		.amdhsa_tg_split 0
		.amdhsa_exception_fp_ieee_invalid_op 0
		.amdhsa_exception_fp_denorm_src 0
		.amdhsa_exception_fp_ieee_div_zero 0
		.amdhsa_exception_fp_ieee_overflow 0
		.amdhsa_exception_fp_ieee_underflow 0
		.amdhsa_exception_fp_ieee_inexact 0
		.amdhsa_exception_int_div_zero 0
	.end_amdhsa_kernel
	.section	.text._ZN9rocsparseL19gebsrmvn_4xn_kernelILj128ELj5ELj32E21rocsparse_complex_numIfEEEvi20rocsparse_direction_NS_24const_host_device_scalarIT2_EEPKiS8_PKS5_SA_S6_PS5_21rocsparse_index_base_b,"axG",@progbits,_ZN9rocsparseL19gebsrmvn_4xn_kernelILj128ELj5ELj32E21rocsparse_complex_numIfEEEvi20rocsparse_direction_NS_24const_host_device_scalarIT2_EEPKiS8_PKS5_SA_S6_PS5_21rocsparse_index_base_b,comdat
.Lfunc_end92:
	.size	_ZN9rocsparseL19gebsrmvn_4xn_kernelILj128ELj5ELj32E21rocsparse_complex_numIfEEEvi20rocsparse_direction_NS_24const_host_device_scalarIT2_EEPKiS8_PKS5_SA_S6_PS5_21rocsparse_index_base_b, .Lfunc_end92-_ZN9rocsparseL19gebsrmvn_4xn_kernelILj128ELj5ELj32E21rocsparse_complex_numIfEEEvi20rocsparse_direction_NS_24const_host_device_scalarIT2_EEPKiS8_PKS5_SA_S6_PS5_21rocsparse_index_base_b
                                        ; -- End function
	.set _ZN9rocsparseL19gebsrmvn_4xn_kernelILj128ELj5ELj32E21rocsparse_complex_numIfEEEvi20rocsparse_direction_NS_24const_host_device_scalarIT2_EEPKiS8_PKS5_SA_S6_PS5_21rocsparse_index_base_b.num_vgpr, 76
	.set _ZN9rocsparseL19gebsrmvn_4xn_kernelILj128ELj5ELj32E21rocsparse_complex_numIfEEEvi20rocsparse_direction_NS_24const_host_device_scalarIT2_EEPKiS8_PKS5_SA_S6_PS5_21rocsparse_index_base_b.num_agpr, 0
	.set _ZN9rocsparseL19gebsrmvn_4xn_kernelILj128ELj5ELj32E21rocsparse_complex_numIfEEEvi20rocsparse_direction_NS_24const_host_device_scalarIT2_EEPKiS8_PKS5_SA_S6_PS5_21rocsparse_index_base_b.numbered_sgpr, 16
	.set _ZN9rocsparseL19gebsrmvn_4xn_kernelILj128ELj5ELj32E21rocsparse_complex_numIfEEEvi20rocsparse_direction_NS_24const_host_device_scalarIT2_EEPKiS8_PKS5_SA_S6_PS5_21rocsparse_index_base_b.num_named_barrier, 0
	.set _ZN9rocsparseL19gebsrmvn_4xn_kernelILj128ELj5ELj32E21rocsparse_complex_numIfEEEvi20rocsparse_direction_NS_24const_host_device_scalarIT2_EEPKiS8_PKS5_SA_S6_PS5_21rocsparse_index_base_b.private_seg_size, 0
	.set _ZN9rocsparseL19gebsrmvn_4xn_kernelILj128ELj5ELj32E21rocsparse_complex_numIfEEEvi20rocsparse_direction_NS_24const_host_device_scalarIT2_EEPKiS8_PKS5_SA_S6_PS5_21rocsparse_index_base_b.uses_vcc, 1
	.set _ZN9rocsparseL19gebsrmvn_4xn_kernelILj128ELj5ELj32E21rocsparse_complex_numIfEEEvi20rocsparse_direction_NS_24const_host_device_scalarIT2_EEPKiS8_PKS5_SA_S6_PS5_21rocsparse_index_base_b.uses_flat_scratch, 0
	.set _ZN9rocsparseL19gebsrmvn_4xn_kernelILj128ELj5ELj32E21rocsparse_complex_numIfEEEvi20rocsparse_direction_NS_24const_host_device_scalarIT2_EEPKiS8_PKS5_SA_S6_PS5_21rocsparse_index_base_b.has_dyn_sized_stack, 0
	.set _ZN9rocsparseL19gebsrmvn_4xn_kernelILj128ELj5ELj32E21rocsparse_complex_numIfEEEvi20rocsparse_direction_NS_24const_host_device_scalarIT2_EEPKiS8_PKS5_SA_S6_PS5_21rocsparse_index_base_b.has_recursion, 0
	.set _ZN9rocsparseL19gebsrmvn_4xn_kernelILj128ELj5ELj32E21rocsparse_complex_numIfEEEvi20rocsparse_direction_NS_24const_host_device_scalarIT2_EEPKiS8_PKS5_SA_S6_PS5_21rocsparse_index_base_b.has_indirect_call, 0
	.section	.AMDGPU.csdata,"",@progbits
; Kernel info:
; codeLenInByte = 3332
; TotalNumSgprs: 22
; NumVgprs: 76
; NumAgprs: 0
; TotalNumVgprs: 76
; ScratchSize: 0
; MemoryBound: 0
; FloatMode: 240
; IeeeMode: 1
; LDSByteSize: 0 bytes/workgroup (compile time only)
; SGPRBlocks: 2
; VGPRBlocks: 9
; NumSGPRsForWavesPerEU: 22
; NumVGPRsForWavesPerEU: 76
; AccumOffset: 76
; Occupancy: 6
; WaveLimiterHint : 1
; COMPUTE_PGM_RSRC2:SCRATCH_EN: 0
; COMPUTE_PGM_RSRC2:USER_SGPR: 2
; COMPUTE_PGM_RSRC2:TRAP_HANDLER: 0
; COMPUTE_PGM_RSRC2:TGID_X_EN: 1
; COMPUTE_PGM_RSRC2:TGID_Y_EN: 0
; COMPUTE_PGM_RSRC2:TGID_Z_EN: 0
; COMPUTE_PGM_RSRC2:TIDIG_COMP_CNT: 0
; COMPUTE_PGM_RSRC3_GFX90A:ACCUM_OFFSET: 18
; COMPUTE_PGM_RSRC3_GFX90A:TG_SPLIT: 0
	.section	.text._ZN9rocsparseL19gebsrmvn_4xn_kernelILj128ELj5ELj64E21rocsparse_complex_numIfEEEvi20rocsparse_direction_NS_24const_host_device_scalarIT2_EEPKiS8_PKS5_SA_S6_PS5_21rocsparse_index_base_b,"axG",@progbits,_ZN9rocsparseL19gebsrmvn_4xn_kernelILj128ELj5ELj64E21rocsparse_complex_numIfEEEvi20rocsparse_direction_NS_24const_host_device_scalarIT2_EEPKiS8_PKS5_SA_S6_PS5_21rocsparse_index_base_b,comdat
	.globl	_ZN9rocsparseL19gebsrmvn_4xn_kernelILj128ELj5ELj64E21rocsparse_complex_numIfEEEvi20rocsparse_direction_NS_24const_host_device_scalarIT2_EEPKiS8_PKS5_SA_S6_PS5_21rocsparse_index_base_b ; -- Begin function _ZN9rocsparseL19gebsrmvn_4xn_kernelILj128ELj5ELj64E21rocsparse_complex_numIfEEEvi20rocsparse_direction_NS_24const_host_device_scalarIT2_EEPKiS8_PKS5_SA_S6_PS5_21rocsparse_index_base_b
	.p2align	8
	.type	_ZN9rocsparseL19gebsrmvn_4xn_kernelILj128ELj5ELj64E21rocsparse_complex_numIfEEEvi20rocsparse_direction_NS_24const_host_device_scalarIT2_EEPKiS8_PKS5_SA_S6_PS5_21rocsparse_index_base_b,@function
_ZN9rocsparseL19gebsrmvn_4xn_kernelILj128ELj5ELj64E21rocsparse_complex_numIfEEEvi20rocsparse_direction_NS_24const_host_device_scalarIT2_EEPKiS8_PKS5_SA_S6_PS5_21rocsparse_index_base_b: ; @_ZN9rocsparseL19gebsrmvn_4xn_kernelILj128ELj5ELj64E21rocsparse_complex_numIfEEEvi20rocsparse_direction_NS_24const_host_device_scalarIT2_EEPKiS8_PKS5_SA_S6_PS5_21rocsparse_index_base_b
; %bb.0:
	s_load_dwordx2 s[4:5], s[0:1], 0x8
	s_load_dwordx2 s[6:7], s[0:1], 0x30
	;; [unrolled: 1-line block ×3, first 2 shown]
	s_add_u32 s3, s0, 8
	s_addc_u32 s8, s1, 0
	s_add_u32 s9, s0, 48
	s_addc_u32 s10, s1, 0
	s_waitcnt lgkmcnt(0)
	s_bitcmp1_b32 s13, 0
	s_cselect_b32 s3, s3, s4
	s_cselect_b32 s5, s8, s5
	v_mov_b32_e32 v2, s3
	s_cselect_b32 s3, s10, s7
	s_cselect_b32 s4, s9, s6
	v_mov_b32_e32 v3, s5
	v_mov_b32_e32 v4, s4
	;; [unrolled: 1-line block ×3, first 2 shown]
	flat_load_dwordx2 v[2:3], v[2:3]
	s_waitcnt vmcnt(0) lgkmcnt(0)
	v_cmp_eq_f32_e32 vcc, 0, v2
	flat_load_dwordx2 v[4:5], v[4:5]
	v_cmp_eq_f32_e64 s[4:5], 0, v3
	s_and_b64 s[4:5], vcc, s[4:5]
	s_waitcnt vmcnt(0) lgkmcnt(0)
	v_cmp_eq_f32_e64 s[6:7], 1.0, v4
	v_cmp_eq_f32_e64 s[8:9], 0, v5
	s_and_b64 s[6:7], s[6:7], s[8:9]
	s_and_b64 s[4:5], s[4:5], s[6:7]
	s_xor_b64 s[4:5], s[4:5], -1
	s_and_saveexec_b64 s[6:7], s[4:5]
	s_cbranch_execz .LBB93_19
; %bb.1:
	s_load_dwordx2 s[14:15], s[0:1], 0x0
	v_lshrrev_b32_e32 v1, 6, v0
	v_lshl_or_b32 v6, s2, 1, v1
	s_waitcnt lgkmcnt(0)
	v_cmp_gt_i32_e32 vcc, s14, v6
	s_and_b64 exec, exec, vcc
	s_cbranch_execz .LBB93_19
; %bb.2:
	s_load_dwordx8 s[4:11], s[0:1], 0x10
	v_ashrrev_i32_e32 v7, 31, v6
	s_cmp_lg_u32 s15, 0
	s_waitcnt lgkmcnt(0)
	v_lshl_add_u64 v[8:9], v[6:7], 2, s[4:5]
	global_load_dwordx2 v[8:9], v[8:9], off
	v_and_b32_e32 v7, 63, v0
	s_waitcnt vmcnt(0)
	v_subrev_u32_e32 v0, s12, v8
	v_subrev_u32_e32 v22, s12, v9
	v_add_u32_e32 v0, v0, v7
	v_cmp_lt_i32_e64 s[2:3], v0, v22
	s_cbranch_scc0 .LBB93_8
; %bb.3:
	v_mov_b32_e32 v13, 0
	v_mov_b32_e32 v12, v13
	v_mov_b32_e32 v9, v13
	v_mov_b32_e32 v8, v13
	v_mov_b32_e32 v11, v13
	v_mov_b32_e32 v10, v13
	v_mov_b32_e32 v15, v13
	v_mov_b32_e32 v14, v13
	s_and_saveexec_b64 s[4:5], s[2:3]
	s_cbranch_execz .LBB93_7
; %bb.4:
	v_mad_u64_u32 v[16:17], s[14:15], v0, 20, 16
	v_mov_b32_e32 v19, 0
	s_mov_b64 s[14:15], 0
	v_mov_b32_e32 v20, v0
	v_mov_b32_e32 v14, v19
	;; [unrolled: 1-line block ×9, first 2 shown]
.LBB93_5:                               ; =>This Inner Loop Header: Depth=1
	v_ashrrev_i32_e32 v21, 31, v20
	v_lshl_add_u64 v[24:25], v[20:21], 2, s[6:7]
	global_load_dword v1, v[24:25], off
	v_add_u32_e32 v18, -16, v16
	v_mov_b32_e32 v17, v19
	v_mov_b32_e32 v65, v19
	v_lshl_add_u64 v[32:33], v[18:19], 3, s[8:9]
	v_add_u32_e32 v18, -12, v16
	v_lshl_add_u64 v[48:49], v[16:17], 3, s[8:9]
	global_load_dwordx4 v[24:27], v[32:33], off
	global_load_dwordx4 v[28:31], v[32:33], off offset:16
	v_lshl_add_u64 v[50:51], v[18:19], 3, s[8:9]
	global_load_dwordx4 v[32:35], v[48:49], off offset:16
	global_load_dwordx4 v[36:39], v[48:49], off
	global_load_dwordx4 v[40:43], v[50:51], off offset:16
	global_load_dwordx4 v[44:47], v[50:51], off
	v_add_u32_e32 v20, 64, v20
	v_cmp_ge_i32_e32 vcc, v20, v22
	s_or_b64 s[14:15], vcc, s[14:15]
	s_waitcnt vmcnt(6)
	v_subrev_u32_e32 v1, s12, v1
	v_lshl_add_u32 v64, v1, 2, v1
	v_lshl_add_u64 v[48:49], v[64:65], 3, s[10:11]
	global_load_dwordx2 v[66:67], v[48:49], off
	v_add_u32_e32 v18, 1, v64
	v_lshl_add_u64 v[48:49], v[18:19], 3, s[10:11]
	v_add_u32_e32 v18, -8, v16
	global_load_dwordx2 v[68:69], v[48:49], off
	v_lshl_add_u64 v[56:57], v[18:19], 3, s[8:9]
	v_add_u32_e32 v18, 2, v64
	global_load_dwordx4 v[48:51], v[56:57], off
	global_load_dwordx4 v[52:55], v[56:57], off offset:16
	v_lshl_add_u64 v[56:57], v[18:19], 3, s[10:11]
	v_add_u32_e32 v18, -4, v16
	global_load_dwordx2 v[70:71], v[56:57], off
	v_lshl_add_u64 v[72:73], v[18:19], 3, s[8:9]
	v_add_u32_e32 v18, 3, v64
	global_load_dwordx4 v[56:59], v[72:73], off
	global_load_dwordx4 v[60:63], v[72:73], off offset:16
	v_lshl_add_u64 v[72:73], v[18:19], 3, s[10:11]
	v_add_u32_e32 v18, 4, v64
	global_load_dwordx2 v[64:65], v[72:73], off
	v_lshl_add_u64 v[72:73], v[18:19], 3, s[10:11]
	global_load_dwordx2 v[72:73], v[72:73], off
	s_waitcnt vmcnt(14)
	v_xor_b32_e32 v74, 0x80000000, v27
	v_mov_b32_e32 v75, v26
	v_add_u32_e32 v16, 0x500, v16
	s_waitcnt vmcnt(8)
	v_pk_fma_f32 v[12:13], v[24:25], v[66:67], v[12:13] op_sel_hi:[1,0,1]
	v_pk_fma_f32 v[14:15], v[26:27], v[66:67], v[14:15] op_sel_hi:[1,0,1]
	v_pk_fma_f32 v[12:13], v[24:25], v[66:67], v[12:13] op_sel:[1,1,0] op_sel_hi:[0,1,1] neg_lo:[1,0,0]
	v_xor_b32_e32 v24, 0x80000000, v31
	v_mov_b32_e32 v25, v30
	v_pk_fma_f32 v[10:11], v[28:29], v[66:67], v[10:11] op_sel_hi:[1,0,1]
	v_pk_fma_f32 v[8:9], v[30:31], v[66:67], v[8:9] op_sel_hi:[1,0,1]
	v_pk_fma_f32 v[10:11], v[28:29], v[66:67], v[10:11] op_sel:[1,1,0] op_sel_hi:[0,1,1] neg_lo:[1,0,0]
	v_pk_fma_f32 v[14:15], v[74:75], v[66:67], v[14:15] op_sel:[0,1,0]
	v_pk_fma_f32 v[8:9], v[24:25], v[66:67], v[8:9] op_sel:[0,1,0]
	v_xor_b32_e32 v30, 0x80000000, v47
	v_mov_b32_e32 v31, v46
	v_xor_b32_e32 v74, 0x80000000, v43
	v_mov_b32_e32 v75, v42
	s_waitcnt vmcnt(7)
	v_pk_fma_f32 v[12:13], v[44:45], v[68:69], v[12:13] op_sel_hi:[1,0,1]
	v_pk_fma_f32 v[14:15], v[46:47], v[68:69], v[14:15] op_sel_hi:[1,0,1]
	;; [unrolled: 1-line block ×4, first 2 shown]
	v_pk_fma_f32 v[12:13], v[44:45], v[68:69], v[12:13] op_sel:[1,1,0] op_sel_hi:[0,1,1] neg_lo:[1,0,0]
	v_pk_fma_f32 v[14:15], v[30:31], v[68:69], v[14:15] op_sel:[0,1,0]
	v_pk_fma_f32 v[10:11], v[40:41], v[68:69], v[10:11] op_sel:[1,1,0] op_sel_hi:[0,1,1] neg_lo:[1,0,0]
	v_pk_fma_f32 v[8:9], v[74:75], v[68:69], v[8:9] op_sel:[0,1,0]
	s_waitcnt vmcnt(6)
	v_xor_b32_e32 v24, 0x80000000, v51
	v_mov_b32_e32 v25, v50
	s_waitcnt vmcnt(5)
	v_xor_b32_e32 v42, 0x80000000, v55
	v_mov_b32_e32 v43, v54
	s_waitcnt vmcnt(4)
	v_pk_fma_f32 v[12:13], v[48:49], v[70:71], v[12:13] op_sel_hi:[1,0,1]
	v_pk_fma_f32 v[14:15], v[50:51], v[70:71], v[14:15] op_sel_hi:[1,0,1]
	;; [unrolled: 1-line block ×4, first 2 shown]
	v_pk_fma_f32 v[12:13], v[48:49], v[70:71], v[12:13] op_sel:[1,1,0] op_sel_hi:[0,1,1] neg_lo:[1,0,0]
	v_pk_fma_f32 v[14:15], v[24:25], v[70:71], v[14:15] op_sel:[0,1,0]
	v_pk_fma_f32 v[10:11], v[52:53], v[70:71], v[10:11] op_sel:[1,1,0] op_sel_hi:[0,1,1] neg_lo:[1,0,0]
	v_pk_fma_f32 v[8:9], v[42:43], v[70:71], v[8:9] op_sel:[0,1,0]
	s_waitcnt vmcnt(3)
	v_xor_b32_e32 v30, 0x80000000, v59
	v_mov_b32_e32 v31, v58
	s_waitcnt vmcnt(2)
	v_xor_b32_e32 v40, 0x80000000, v63
	v_mov_b32_e32 v41, v62
	s_waitcnt vmcnt(1)
	v_pk_fma_f32 v[12:13], v[56:57], v[64:65], v[12:13] op_sel_hi:[1,0,1]
	v_pk_fma_f32 v[14:15], v[58:59], v[64:65], v[14:15] op_sel_hi:[1,0,1]
	;; [unrolled: 1-line block ×4, first 2 shown]
	v_pk_fma_f32 v[12:13], v[56:57], v[64:65], v[12:13] op_sel:[1,1,0] op_sel_hi:[0,1,1] neg_lo:[1,0,0]
	v_pk_fma_f32 v[14:15], v[30:31], v[64:65], v[14:15] op_sel:[0,1,0]
	v_pk_fma_f32 v[10:11], v[60:61], v[64:65], v[10:11] op_sel:[1,1,0] op_sel_hi:[0,1,1] neg_lo:[1,0,0]
	v_pk_fma_f32 v[8:9], v[40:41], v[64:65], v[8:9] op_sel:[0,1,0]
	v_xor_b32_e32 v26, 0x80000000, v39
	v_mov_b32_e32 v27, v38
	v_xor_b32_e32 v28, 0x80000000, v35
	v_mov_b32_e32 v29, v34
	s_waitcnt vmcnt(0)
	v_pk_fma_f32 v[12:13], v[36:37], v[72:73], v[12:13] op_sel_hi:[1,0,1]
	v_pk_fma_f32 v[14:15], v[38:39], v[72:73], v[14:15] op_sel_hi:[1,0,1]
	;; [unrolled: 1-line block ×4, first 2 shown]
	v_pk_fma_f32 v[12:13], v[36:37], v[72:73], v[12:13] op_sel:[1,1,0] op_sel_hi:[0,1,1] neg_lo:[1,0,0]
	v_pk_fma_f32 v[14:15], v[26:27], v[72:73], v[14:15] op_sel:[0,1,0]
	v_pk_fma_f32 v[10:11], v[32:33], v[72:73], v[10:11] op_sel:[1,1,0] op_sel_hi:[0,1,1] neg_lo:[1,0,0]
	v_pk_fma_f32 v[8:9], v[28:29], v[72:73], v[8:9] op_sel:[0,1,0]
	s_andn2_b64 exec, exec, s[14:15]
	s_cbranch_execnz .LBB93_5
; %bb.6:
	s_or_b64 exec, exec, s[14:15]
.LBB93_7:
	s_or_b64 exec, exec, s[4:5]
	s_cbranch_execz .LBB93_9
	s_branch .LBB93_14
.LBB93_8:
                                        ; implicit-def: $vgpr13
                                        ; implicit-def: $vgpr9
                                        ; implicit-def: $vgpr11
                                        ; implicit-def: $vgpr15
.LBB93_9:
	v_mov_b32_e32 v13, 0
	v_mov_b32_e32 v12, v13
	v_mov_b32_e32 v9, v13
	v_mov_b32_e32 v8, v13
	v_mov_b32_e32 v11, v13
	v_mov_b32_e32 v10, v13
	v_mov_b32_e32 v15, v13
	v_mov_b32_e32 v14, v13
	s_and_saveexec_b64 s[4:5], s[2:3]
	s_cbranch_execz .LBB93_13
; %bb.10:
	v_mad_u64_u32 v[16:17], s[2:3], v0, 20, 19
	v_mov_b32_e32 v19, 0
	s_mov_b64 s[2:3], 0
	v_mov_b32_e32 v14, v19
	v_mov_b32_e32 v15, v19
	v_mov_b32_e32 v10, v19
	v_mov_b32_e32 v11, v19
	v_mov_b32_e32 v8, v19
	v_mov_b32_e32 v9, v19
	v_mov_b32_e32 v12, v19
	v_mov_b32_e32 v13, v19
.LBB93_11:                              ; =>This Inner Loop Header: Depth=1
	v_ashrrev_i32_e32 v1, 31, v0
	v_lshl_add_u64 v[20:21], v[0:1], 2, s[6:7]
	global_load_dword v1, v[20:21], off
	v_subrev_u32_e32 v18, 19, v16
	v_add_u32_e32 v20, -14, v16
	v_mov_b32_e32 v21, v19
	v_add_u32_e32 v24, -9, v16
	v_add_u32_e32 v26, -4, v16
	v_mov_b32_e32 v25, v19
	v_mov_b32_e32 v27, v19
	v_lshl_add_u64 v[34:35], v[18:19], 3, s[8:9]
	v_lshl_add_u64 v[20:21], v[20:21], 3, s[8:9]
	v_mov_b32_e32 v33, v19
	v_lshl_add_u64 v[36:37], v[24:25], 3, s[8:9]
	v_lshl_add_u64 v[38:39], v[26:27], 3, s[8:9]
	global_load_dwordx2 v[42:43], v[20:21], off
	global_load_dwordx2 v[44:45], v[36:37], off
	;; [unrolled: 1-line block ×3, first 2 shown]
	global_load_dwordx4 v[24:27], v[34:35], off
	global_load_dwordx4 v[28:31], v[34:35], off offset:16
	v_mov_b32_e32 v17, v19
	v_lshl_add_u64 v[40:41], v[16:17], 3, s[8:9]
	v_add_u32_e32 v0, 64, v0
	v_cmp_ge_i32_e32 vcc, v0, v22
	s_or_b64 s[2:3], vcc, s[2:3]
	s_waitcnt vmcnt(5)
	v_subrev_u32_e32 v1, s12, v1
	v_lshl_add_u32 v32, v1, 2, v1
	v_add_u32_e32 v18, 1, v32
	v_lshl_add_u64 v[34:35], v[18:19], 3, s[10:11]
	v_add_u32_e32 v18, -13, v16
	v_lshl_add_u64 v[20:21], v[32:33], 3, s[10:11]
	v_lshl_add_u64 v[36:37], v[18:19], 3, s[8:9]
	v_add_u32_e32 v18, -8, v16
	global_load_dwordx2 v[20:21], v[20:21], off
	s_nop 0
	global_load_dwordx2 v[38:39], v[34:35], off
	global_load_dwordx2 v[48:49], v[36:37], off
	v_lshl_add_u64 v[34:35], v[18:19], 3, s[8:9]
	v_add_u32_e32 v18, -3, v16
	v_lshl_add_u64 v[36:37], v[18:19], 3, s[8:9]
	v_add_u32_e32 v18, 2, v32
	v_lshl_add_u64 v[50:51], v[18:19], 3, s[10:11]
	v_add_u32_e32 v18, -12, v16
	v_lshl_add_u64 v[52:53], v[18:19], 3, s[8:9]
	v_add_u32_e32 v18, -7, v16
	;; [unrolled: 2-line block ×3, first 2 shown]
	global_load_dwordx2 v[34:35], v[34:35], off
	v_lshl_add_u64 v[56:57], v[18:19], 3, s[8:9]
	v_add_u32_e32 v18, 3, v32
	global_load_dwordx2 v[36:37], v[36:37], off
	v_lshl_add_u64 v[58:59], v[18:19], 3, s[10:11]
	v_add_u32_e32 v18, -11, v16
	global_load_dwordx2 v[50:51], v[50:51], off
	v_lshl_add_u64 v[60:61], v[18:19], 3, s[8:9]
	global_load_dwordx2 v[52:53], v[52:53], off
	v_add_u32_e32 v18, -6, v16
	global_load_dwordx2 v[54:55], v[54:55], off
	v_lshl_add_u64 v[62:63], v[18:19], 3, s[8:9]
	v_add_u32_e32 v18, -1, v16
	global_load_dwordx2 v[56:57], v[56:57], off
	v_lshl_add_u64 v[64:65], v[18:19], 3, s[8:9]
	;; [unrolled: 3-line block ×3, first 2 shown]
	global_load_dwordx2 v[60:61], v[60:61], off
	v_add_u32_e32 v18, 4, v32
	global_load_dwordx2 v[62:63], v[62:63], off
	s_nop 0
	global_load_dwordx2 v[32:33], v[66:67], off
	global_load_dwordx2 v[68:69], v[64:65], off
	v_lshl_add_u64 v[64:65], v[18:19], 3, s[10:11]
	v_add_u32_e32 v18, -10, v16
	global_load_dwordx2 v[64:65], v[64:65], off
	v_lshl_add_u64 v[66:67], v[18:19], 3, s[8:9]
	v_add_u32_e32 v18, -5, v16
	global_load_dwordx2 v[66:67], v[66:67], off
	v_lshl_add_u64 v[70:71], v[18:19], 3, s[8:9]
	global_load_dwordx2 v[72:73], v[70:71], off
	global_load_dwordx2 v[74:75], v[40:41], off
	s_waitcnt vmcnt(22)
	v_xor_b32_e32 v40, 0x80000000, v43
	v_mov_b32_e32 v41, v42
	v_add_u32_e32 v16, 0x500, v16
	s_waitcnt vmcnt(17)
	v_pk_fma_f32 v[14:15], v[42:43], v[20:21], v[14:15] op_sel_hi:[1,0,1]
	v_xor_b32_e32 v42, 0x80000000, v45
	v_mov_b32_e32 v43, v44
	v_pk_fma_f32 v[10:11], v[44:45], v[20:21], v[10:11] op_sel_hi:[1,0,1]
	v_xor_b32_e32 v44, 0x80000000, v47
	v_mov_b32_e32 v45, v46
	v_pk_fma_f32 v[8:9], v[46:47], v[20:21], v[8:9] op_sel_hi:[1,0,1]
	v_pk_fma_f32 v[14:15], v[40:41], v[20:21], v[14:15] op_sel:[0,1,0]
	v_pk_fma_f32 v[12:13], v[24:25], v[20:21], v[12:13] op_sel_hi:[1,0,1]
	v_pk_fma_f32 v[10:11], v[42:43], v[20:21], v[10:11] op_sel:[0,1,0]
	v_pk_fma_f32 v[8:9], v[44:45], v[20:21], v[8:9] op_sel:[0,1,0]
	v_pk_fma_f32 v[12:13], v[24:25], v[20:21], v[12:13] op_sel:[1,1,0] op_sel_hi:[0,1,1] neg_lo:[1,0,0]
	s_waitcnt vmcnt(15)
	v_xor_b32_e32 v20, 0x80000000, v49
	v_pk_fma_f32 v[14:15], v[48:49], v[38:39], v[14:15] op_sel_hi:[1,0,1]
	v_mov_b32_e32 v21, v48
	v_pk_fma_f32 v[14:15], v[20:21], v[38:39], v[14:15] op_sel:[0,1,0]
	s_waitcnt vmcnt(14)
	v_xor_b32_e32 v20, 0x80000000, v35
	v_pk_fma_f32 v[10:11], v[34:35], v[38:39], v[10:11] op_sel_hi:[1,0,1]
	v_mov_b32_e32 v21, v34
	v_xor_b32_e32 v46, 0x80000000, v27
	v_mov_b32_e32 v47, v26
	v_pk_fma_f32 v[12:13], v[26:27], v[38:39], v[12:13] op_sel_hi:[1,0,1]
	v_pk_fma_f32 v[10:11], v[20:21], v[38:39], v[10:11] op_sel:[0,1,0]
	s_waitcnt vmcnt(13)
	v_xor_b32_e32 v20, 0x80000000, v37
	v_pk_fma_f32 v[8:9], v[36:37], v[38:39], v[8:9] op_sel_hi:[1,0,1]
	v_mov_b32_e32 v21, v36
	v_pk_fma_f32 v[12:13], v[46:47], v[38:39], v[12:13] op_sel:[0,1,0]
	v_pk_fma_f32 v[8:9], v[20:21], v[38:39], v[8:9] op_sel:[0,1,0]
	s_waitcnt vmcnt(11)
	v_xor_b32_e32 v20, 0x80000000, v53
	v_pk_fma_f32 v[14:15], v[52:53], v[50:51], v[14:15] op_sel_hi:[1,0,1]
	v_mov_b32_e32 v21, v52
	v_pk_fma_f32 v[12:13], v[28:29], v[50:51], v[12:13] op_sel_hi:[1,0,1]
	v_pk_fma_f32 v[14:15], v[20:21], v[50:51], v[14:15] op_sel:[0,1,0]
	s_waitcnt vmcnt(10)
	v_xor_b32_e32 v20, 0x80000000, v55
	v_pk_fma_f32 v[10:11], v[54:55], v[50:51], v[10:11] op_sel_hi:[1,0,1]
	v_mov_b32_e32 v21, v54
	v_pk_fma_f32 v[12:13], v[28:29], v[50:51], v[12:13] op_sel:[1,1,0] op_sel_hi:[0,1,1] neg_lo:[1,0,0]
	v_pk_fma_f32 v[10:11], v[20:21], v[50:51], v[10:11] op_sel:[0,1,0]
	s_waitcnt vmcnt(9)
	v_xor_b32_e32 v20, 0x80000000, v57
	v_pk_fma_f32 v[8:9], v[56:57], v[50:51], v[8:9] op_sel_hi:[1,0,1]
	v_mov_b32_e32 v21, v56
	v_xor_b32_e32 v40, 0x80000000, v31
	v_mov_b32_e32 v41, v30
	s_waitcnt vmcnt(8)
	v_pk_fma_f32 v[12:13], v[30:31], v[58:59], v[12:13] op_sel_hi:[1,0,1]
	v_pk_fma_f32 v[8:9], v[20:21], v[50:51], v[8:9] op_sel:[0,1,0]
	s_waitcnt vmcnt(7)
	v_xor_b32_e32 v20, 0x80000000, v61
	v_pk_fma_f32 v[14:15], v[60:61], v[58:59], v[14:15] op_sel_hi:[1,0,1]
	v_mov_b32_e32 v21, v60
	v_pk_fma_f32 v[12:13], v[40:41], v[58:59], v[12:13] op_sel:[0,1,0]
	v_pk_fma_f32 v[14:15], v[20:21], v[58:59], v[14:15] op_sel:[0,1,0]
	s_waitcnt vmcnt(6)
	v_xor_b32_e32 v20, 0x80000000, v63
	v_pk_fma_f32 v[10:11], v[62:63], v[58:59], v[10:11] op_sel_hi:[1,0,1]
	v_mov_b32_e32 v21, v62
	v_pk_fma_f32 v[10:11], v[20:21], v[58:59], v[10:11] op_sel:[0,1,0]
	s_waitcnt vmcnt(5)
	v_xor_b32_e32 v20, 0x80000000, v33
	v_mov_b32_e32 v21, v32
	s_waitcnt vmcnt(4)
	v_xor_b32_e32 v24, 0x80000000, v69
	v_pk_fma_f32 v[8:9], v[68:69], v[58:59], v[8:9] op_sel_hi:[1,0,1]
	v_mov_b32_e32 v25, v68
	s_waitcnt vmcnt(3)
	v_pk_fma_f32 v[12:13], v[32:33], v[64:65], v[12:13] op_sel_hi:[1,0,1]
	v_pk_fma_f32 v[8:9], v[24:25], v[58:59], v[8:9] op_sel:[0,1,0]
	v_pk_fma_f32 v[12:13], v[20:21], v[64:65], v[12:13] op_sel:[0,1,0]
	s_waitcnt vmcnt(2)
	v_xor_b32_e32 v20, 0x80000000, v67
	v_pk_fma_f32 v[14:15], v[66:67], v[64:65], v[14:15] op_sel_hi:[1,0,1]
	v_mov_b32_e32 v21, v66
	v_pk_fma_f32 v[14:15], v[20:21], v[64:65], v[14:15] op_sel:[0,1,0]
	s_waitcnt vmcnt(1)
	v_xor_b32_e32 v20, 0x80000000, v73
	v_pk_fma_f32 v[10:11], v[72:73], v[64:65], v[10:11] op_sel_hi:[1,0,1]
	v_mov_b32_e32 v21, v72
	s_waitcnt vmcnt(0)
	v_xor_b32_e32 v24, 0x80000000, v75
	v_pk_fma_f32 v[8:9], v[74:75], v[64:65], v[8:9] op_sel_hi:[1,0,1]
	v_mov_b32_e32 v25, v74
	v_pk_fma_f32 v[10:11], v[20:21], v[64:65], v[10:11] op_sel:[0,1,0]
	v_pk_fma_f32 v[8:9], v[24:25], v[64:65], v[8:9] op_sel:[0,1,0]
	s_andn2_b64 exec, exec, s[2:3]
	s_cbranch_execnz .LBB93_11
; %bb.12:
	s_or_b64 exec, exec, s[2:3]
.LBB93_13:
	s_or_b64 exec, exec, s[4:5]
.LBB93_14:
	v_mov_b32_dpp v0, v12 row_shr:1 row_mask:0xf bank_mask:0xf
	v_add_f32_e32 v0, v12, v0
	v_mov_b32_dpp v12, v13 row_shr:1 row_mask:0xf bank_mask:0xf
	v_add_f32_e32 v12, v13, v12
	;; [unrolled: 2-line block ×8, first 2 shown]
	v_mov_b32_dpp v1, v0 row_bcast:15 row_mask:0xa bank_mask:0xf
	v_add_f32_e32 v0, v0, v1
	v_mov_b32_dpp v13, v12 row_bcast:15 row_mask:0xa bank_mask:0xf
	v_add_f32_e32 v13, v12, v13
	v_mov_b32_dpp v12, v14 row_shr:1 row_mask:0xf bank_mask:0xf
	v_add_f32_e32 v12, v14, v12
	v_mov_b32_dpp v1, v0 row_bcast:31 row_mask:0xc bank_mask:0xf
	v_mov_b32_dpp v16, v13 row_bcast:31 row_mask:0xc bank_mask:0xf
	v_mov_b32_dpp v14, v12 row_shr:2 row_mask:0xf bank_mask:0xf
	v_add_f32_e32 v12, v12, v14
	v_cmp_eq_u32_e32 vcc, 63, v7
	s_nop 0
	v_mov_b32_dpp v14, v12 row_shr:4 row_mask:0xf bank_mask:0xe
	v_add_f32_e32 v12, v12, v14
	s_nop 1
	v_mov_b32_dpp v14, v12 row_shr:8 row_mask:0xf bank_mask:0xc
	v_add_f32_e32 v12, v12, v14
	s_nop 1
	v_mov_b32_dpp v14, v12 row_bcast:15 row_mask:0xa bank_mask:0xf
	v_add_f32_e32 v14, v12, v14
	v_mov_b32_dpp v12, v15 row_shr:1 row_mask:0xf bank_mask:0xf
	v_add_f32_e32 v12, v15, v12
	v_mov_b32_dpp v17, v14 row_bcast:31 row_mask:0xc bank_mask:0xf
	s_nop 0
	v_mov_b32_dpp v15, v12 row_shr:2 row_mask:0xf bank_mask:0xf
	v_add_f32_e32 v12, v12, v15
	s_nop 1
	v_mov_b32_dpp v15, v12 row_shr:4 row_mask:0xf bank_mask:0xe
	v_add_f32_e32 v12, v12, v15
	s_nop 1
	v_mov_b32_dpp v15, v12 row_shr:8 row_mask:0xf bank_mask:0xc
	v_add_f32_e32 v12, v12, v15
	s_nop 1
	v_mov_b32_dpp v15, v12 row_bcast:15 row_mask:0xa bank_mask:0xf
	v_add_f32_e32 v15, v12, v15
	v_mov_b32_dpp v12, v10 row_shr:1 row_mask:0xf bank_mask:0xf
	v_add_f32_e32 v10, v10, v12
	v_mov_b32_dpp v18, v15 row_bcast:31 row_mask:0xc bank_mask:0xf
	s_nop 0
	v_mov_b32_dpp v12, v10 row_shr:2 row_mask:0xf bank_mask:0xf
	v_add_f32_e32 v10, v10, v12
	;; [unrolled: 15-line block ×5, first 2 shown]
	s_nop 1
	v_mov_b32_dpp v9, v8 row_shr:4 row_mask:0xf bank_mask:0xe
	v_add_f32_e32 v8, v8, v9
	s_nop 1
	v_mov_b32_dpp v9, v8 row_shr:8 row_mask:0xf bank_mask:0xc
	v_add_f32_e32 v8, v8, v9
	s_nop 1
	v_mov_b32_dpp v9, v8 row_bcast:15 row_mask:0xa bank_mask:0xf
	v_add_f32_e32 v9, v8, v9
	s_nop 1
	v_mov_b32_dpp v25, v9 row_bcast:31 row_mask:0xc bank_mask:0xf
	s_and_b64 exec, exec, vcc
	s_cbranch_execz .LBB93_19
; %bb.15:
	s_load_dwordx2 s[2:3], s[0:1], 0x38
	v_cmp_eq_f32_e32 vcc, 0, v4
	v_cmp_eq_f32_e64 s[0:1], 0, v5
	v_add_f32_e32 v12, v0, v1
	v_add_f32_e32 v20, v13, v16
	;; [unrolled: 1-line block ×8, first 2 shown]
	s_and_b64 s[0:1], vcc, s[0:1]
	s_and_saveexec_b64 s[4:5], s[0:1]
	s_xor_b64 s[0:1], exec, s[4:5]
	s_cbranch_execz .LBB93_17
; %bb.16:
	v_lshlrev_b32_e32 v4, 2, v6
	v_xor_b32_e32 v22, 0x80000000, v3
	v_ashrrev_i32_e32 v5, 31, v4
	v_mov_b32_e32 v23, v2
	s_waitcnt lgkmcnt(0)
	v_lshl_add_u64 v[24:25], v[4:5], 3, s[2:3]
	v_pk_mul_f32 v[4:5], v[20:21], v[22:23] op_sel_hi:[0,1]
	v_pk_mul_f32 v[6:7], v[18:19], v[22:23] op_sel_hi:[0,1]
	v_pk_fma_f32 v[4:5], v[2:3], v[12:13], v[4:5] op_sel_hi:[1,0,1]
	v_pk_fma_f32 v[6:7], v[2:3], v[10:11], v[6:7] op_sel_hi:[1,0,1]
	global_store_dwordx4 v[24:25], v[4:7], off
                                        ; implicit-def: $vgpr12
                                        ; implicit-def: $vgpr20
                                        ; implicit-def: $vgpr10
                                        ; implicit-def: $vgpr18
	s_nop 1
	v_pk_mul_f32 v[4:5], v[16:17], v[22:23] op_sel_hi:[0,1]
	v_pk_mul_f32 v[6:7], v[14:15], v[22:23] op_sel_hi:[0,1]
	v_pk_fma_f32 v[4:5], v[2:3], v[8:9], v[4:5] op_sel_hi:[1,0,1]
	v_pk_fma_f32 v[6:7], v[2:3], v[0:1], v[6:7] op_sel_hi:[1,0,1]
	global_store_dwordx4 v[24:25], v[4:7], off offset:16
                                        ; implicit-def: $vgpr6
                                        ; implicit-def: $vgpr8
                                        ; implicit-def: $vgpr16
                                        ; implicit-def: $vgpr0
                                        ; implicit-def: $vgpr14
                                        ; implicit-def: $vgpr2_vgpr3
                                        ; implicit-def: $vgpr4_vgpr5
.LBB93_17:
	s_andn2_saveexec_b64 s[0:1], s[0:1]
	s_cbranch_execz .LBB93_19
; %bb.18:
	v_lshlrev_b32_e32 v6, 2, v6
	v_ashrrev_i32_e32 v7, 31, v6
	s_waitcnt lgkmcnt(0)
	v_lshl_add_u64 v[30:31], v[6:7], 3, s[2:3]
	global_load_dwordx4 v[22:25], v[30:31], off
	global_load_dwordx4 v[26:29], v[30:31], off offset:16
	v_xor_b32_e32 v6, 0x80000000, v3
	v_mov_b32_e32 v7, v2
	v_pk_mul_f32 v[20:21], v[20:21], v[6:7] op_sel_hi:[0,1]
	v_pk_mul_f32 v[18:19], v[18:19], v[6:7] op_sel_hi:[0,1]
	;; [unrolled: 1-line block ×4, first 2 shown]
	v_pk_fma_f32 v[12:13], v[2:3], v[12:13], v[20:21] op_sel_hi:[1,0,1]
	v_pk_fma_f32 v[10:11], v[2:3], v[10:11], v[18:19] op_sel_hi:[1,0,1]
	v_xor_b32_e32 v32, 0x80000000, v5
	v_mov_b32_e32 v33, v4
	v_pk_fma_f32 v[8:9], v[2:3], v[8:9], v[16:17] op_sel_hi:[1,0,1]
	v_pk_fma_f32 v[0:1], v[2:3], v[0:1], v[6:7] op_sel_hi:[1,0,1]
	s_waitcnt vmcnt(1)
	v_pk_fma_f32 v[2:3], v[4:5], v[22:23], v[12:13] op_sel_hi:[1,0,1]
	v_pk_fma_f32 v[6:7], v[4:5], v[24:25], v[10:11] op_sel_hi:[1,0,1]
	v_mov_b32_e32 v10, v25
	s_waitcnt vmcnt(0)
	v_pk_fma_f32 v[8:9], v[4:5], v[26:27], v[8:9] op_sel_hi:[1,0,1]
	v_pk_fma_f32 v[12:13], v[4:5], v[28:29], v[0:1] op_sel_hi:[1,0,1]
	v_mov_b32_e32 v14, v29
	v_pk_fma_f32 v[0:1], v[32:33], v[22:23], v[2:3] op_sel:[0,1,0]
	v_pk_fma_f32 v[2:3], v[32:33], v[10:11], v[6:7] op_sel_hi:[1,0,1]
	v_pk_fma_f32 v[4:5], v[32:33], v[26:27], v[8:9] op_sel:[0,1,0]
	v_pk_fma_f32 v[6:7], v[32:33], v[14:15], v[12:13] op_sel_hi:[1,0,1]
	global_store_dwordx4 v[30:31], v[0:3], off
	global_store_dwordx4 v[30:31], v[4:7], off offset:16
.LBB93_19:
	s_endpgm
	.section	.rodata,"a",@progbits
	.p2align	6, 0x0
	.amdhsa_kernel _ZN9rocsparseL19gebsrmvn_4xn_kernelILj128ELj5ELj64E21rocsparse_complex_numIfEEEvi20rocsparse_direction_NS_24const_host_device_scalarIT2_EEPKiS8_PKS5_SA_S6_PS5_21rocsparse_index_base_b
		.amdhsa_group_segment_fixed_size 0
		.amdhsa_private_segment_fixed_size 0
		.amdhsa_kernarg_size 72
		.amdhsa_user_sgpr_count 2
		.amdhsa_user_sgpr_dispatch_ptr 0
		.amdhsa_user_sgpr_queue_ptr 0
		.amdhsa_user_sgpr_kernarg_segment_ptr 1
		.amdhsa_user_sgpr_dispatch_id 0
		.amdhsa_user_sgpr_kernarg_preload_length 0
		.amdhsa_user_sgpr_kernarg_preload_offset 0
		.amdhsa_user_sgpr_private_segment_size 0
		.amdhsa_uses_dynamic_stack 0
		.amdhsa_enable_private_segment 0
		.amdhsa_system_sgpr_workgroup_id_x 1
		.amdhsa_system_sgpr_workgroup_id_y 0
		.amdhsa_system_sgpr_workgroup_id_z 0
		.amdhsa_system_sgpr_workgroup_info 0
		.amdhsa_system_vgpr_workitem_id 0
		.amdhsa_next_free_vgpr 76
		.amdhsa_next_free_sgpr 16
		.amdhsa_accum_offset 76
		.amdhsa_reserve_vcc 1
		.amdhsa_float_round_mode_32 0
		.amdhsa_float_round_mode_16_64 0
		.amdhsa_float_denorm_mode_32 3
		.amdhsa_float_denorm_mode_16_64 3
		.amdhsa_dx10_clamp 1
		.amdhsa_ieee_mode 1
		.amdhsa_fp16_overflow 0
		.amdhsa_tg_split 0
		.amdhsa_exception_fp_ieee_invalid_op 0
		.amdhsa_exception_fp_denorm_src 0
		.amdhsa_exception_fp_ieee_div_zero 0
		.amdhsa_exception_fp_ieee_overflow 0
		.amdhsa_exception_fp_ieee_underflow 0
		.amdhsa_exception_fp_ieee_inexact 0
		.amdhsa_exception_int_div_zero 0
	.end_amdhsa_kernel
	.section	.text._ZN9rocsparseL19gebsrmvn_4xn_kernelILj128ELj5ELj64E21rocsparse_complex_numIfEEEvi20rocsparse_direction_NS_24const_host_device_scalarIT2_EEPKiS8_PKS5_SA_S6_PS5_21rocsparse_index_base_b,"axG",@progbits,_ZN9rocsparseL19gebsrmvn_4xn_kernelILj128ELj5ELj64E21rocsparse_complex_numIfEEEvi20rocsparse_direction_NS_24const_host_device_scalarIT2_EEPKiS8_PKS5_SA_S6_PS5_21rocsparse_index_base_b,comdat
.Lfunc_end93:
	.size	_ZN9rocsparseL19gebsrmvn_4xn_kernelILj128ELj5ELj64E21rocsparse_complex_numIfEEEvi20rocsparse_direction_NS_24const_host_device_scalarIT2_EEPKiS8_PKS5_SA_S6_PS5_21rocsparse_index_base_b, .Lfunc_end93-_ZN9rocsparseL19gebsrmvn_4xn_kernelILj128ELj5ELj64E21rocsparse_complex_numIfEEEvi20rocsparse_direction_NS_24const_host_device_scalarIT2_EEPKiS8_PKS5_SA_S6_PS5_21rocsparse_index_base_b
                                        ; -- End function
	.set _ZN9rocsparseL19gebsrmvn_4xn_kernelILj128ELj5ELj64E21rocsparse_complex_numIfEEEvi20rocsparse_direction_NS_24const_host_device_scalarIT2_EEPKiS8_PKS5_SA_S6_PS5_21rocsparse_index_base_b.num_vgpr, 76
	.set _ZN9rocsparseL19gebsrmvn_4xn_kernelILj128ELj5ELj64E21rocsparse_complex_numIfEEEvi20rocsparse_direction_NS_24const_host_device_scalarIT2_EEPKiS8_PKS5_SA_S6_PS5_21rocsparse_index_base_b.num_agpr, 0
	.set _ZN9rocsparseL19gebsrmvn_4xn_kernelILj128ELj5ELj64E21rocsparse_complex_numIfEEEvi20rocsparse_direction_NS_24const_host_device_scalarIT2_EEPKiS8_PKS5_SA_S6_PS5_21rocsparse_index_base_b.numbered_sgpr, 16
	.set _ZN9rocsparseL19gebsrmvn_4xn_kernelILj128ELj5ELj64E21rocsparse_complex_numIfEEEvi20rocsparse_direction_NS_24const_host_device_scalarIT2_EEPKiS8_PKS5_SA_S6_PS5_21rocsparse_index_base_b.num_named_barrier, 0
	.set _ZN9rocsparseL19gebsrmvn_4xn_kernelILj128ELj5ELj64E21rocsparse_complex_numIfEEEvi20rocsparse_direction_NS_24const_host_device_scalarIT2_EEPKiS8_PKS5_SA_S6_PS5_21rocsparse_index_base_b.private_seg_size, 0
	.set _ZN9rocsparseL19gebsrmvn_4xn_kernelILj128ELj5ELj64E21rocsparse_complex_numIfEEEvi20rocsparse_direction_NS_24const_host_device_scalarIT2_EEPKiS8_PKS5_SA_S6_PS5_21rocsparse_index_base_b.uses_vcc, 1
	.set _ZN9rocsparseL19gebsrmvn_4xn_kernelILj128ELj5ELj64E21rocsparse_complex_numIfEEEvi20rocsparse_direction_NS_24const_host_device_scalarIT2_EEPKiS8_PKS5_SA_S6_PS5_21rocsparse_index_base_b.uses_flat_scratch, 0
	.set _ZN9rocsparseL19gebsrmvn_4xn_kernelILj128ELj5ELj64E21rocsparse_complex_numIfEEEvi20rocsparse_direction_NS_24const_host_device_scalarIT2_EEPKiS8_PKS5_SA_S6_PS5_21rocsparse_index_base_b.has_dyn_sized_stack, 0
	.set _ZN9rocsparseL19gebsrmvn_4xn_kernelILj128ELj5ELj64E21rocsparse_complex_numIfEEEvi20rocsparse_direction_NS_24const_host_device_scalarIT2_EEPKiS8_PKS5_SA_S6_PS5_21rocsparse_index_base_b.has_recursion, 0
	.set _ZN9rocsparseL19gebsrmvn_4xn_kernelILj128ELj5ELj64E21rocsparse_complex_numIfEEEvi20rocsparse_direction_NS_24const_host_device_scalarIT2_EEPKiS8_PKS5_SA_S6_PS5_21rocsparse_index_base_b.has_indirect_call, 0
	.section	.AMDGPU.csdata,"",@progbits
; Kernel info:
; codeLenInByte = 3452
; TotalNumSgprs: 22
; NumVgprs: 76
; NumAgprs: 0
; TotalNumVgprs: 76
; ScratchSize: 0
; MemoryBound: 0
; FloatMode: 240
; IeeeMode: 1
; LDSByteSize: 0 bytes/workgroup (compile time only)
; SGPRBlocks: 2
; VGPRBlocks: 9
; NumSGPRsForWavesPerEU: 22
; NumVGPRsForWavesPerEU: 76
; AccumOffset: 76
; Occupancy: 6
; WaveLimiterHint : 1
; COMPUTE_PGM_RSRC2:SCRATCH_EN: 0
; COMPUTE_PGM_RSRC2:USER_SGPR: 2
; COMPUTE_PGM_RSRC2:TRAP_HANDLER: 0
; COMPUTE_PGM_RSRC2:TGID_X_EN: 1
; COMPUTE_PGM_RSRC2:TGID_Y_EN: 0
; COMPUTE_PGM_RSRC2:TGID_Z_EN: 0
; COMPUTE_PGM_RSRC2:TIDIG_COMP_CNT: 0
; COMPUTE_PGM_RSRC3_GFX90A:ACCUM_OFFSET: 18
; COMPUTE_PGM_RSRC3_GFX90A:TG_SPLIT: 0
	.section	.text._ZN9rocsparseL19gebsrmvn_4xn_kernelILj128ELj6ELj4E21rocsparse_complex_numIfEEEvi20rocsparse_direction_NS_24const_host_device_scalarIT2_EEPKiS8_PKS5_SA_S6_PS5_21rocsparse_index_base_b,"axG",@progbits,_ZN9rocsparseL19gebsrmvn_4xn_kernelILj128ELj6ELj4E21rocsparse_complex_numIfEEEvi20rocsparse_direction_NS_24const_host_device_scalarIT2_EEPKiS8_PKS5_SA_S6_PS5_21rocsparse_index_base_b,comdat
	.globl	_ZN9rocsparseL19gebsrmvn_4xn_kernelILj128ELj6ELj4E21rocsparse_complex_numIfEEEvi20rocsparse_direction_NS_24const_host_device_scalarIT2_EEPKiS8_PKS5_SA_S6_PS5_21rocsparse_index_base_b ; -- Begin function _ZN9rocsparseL19gebsrmvn_4xn_kernelILj128ELj6ELj4E21rocsparse_complex_numIfEEEvi20rocsparse_direction_NS_24const_host_device_scalarIT2_EEPKiS8_PKS5_SA_S6_PS5_21rocsparse_index_base_b
	.p2align	8
	.type	_ZN9rocsparseL19gebsrmvn_4xn_kernelILj128ELj6ELj4E21rocsparse_complex_numIfEEEvi20rocsparse_direction_NS_24const_host_device_scalarIT2_EEPKiS8_PKS5_SA_S6_PS5_21rocsparse_index_base_b,@function
_ZN9rocsparseL19gebsrmvn_4xn_kernelILj128ELj6ELj4E21rocsparse_complex_numIfEEEvi20rocsparse_direction_NS_24const_host_device_scalarIT2_EEPKiS8_PKS5_SA_S6_PS5_21rocsparse_index_base_b: ; @_ZN9rocsparseL19gebsrmvn_4xn_kernelILj128ELj6ELj4E21rocsparse_complex_numIfEEEvi20rocsparse_direction_NS_24const_host_device_scalarIT2_EEPKiS8_PKS5_SA_S6_PS5_21rocsparse_index_base_b
; %bb.0:
	s_load_dwordx2 s[4:5], s[0:1], 0x8
	s_load_dwordx2 s[6:7], s[0:1], 0x30
	;; [unrolled: 1-line block ×3, first 2 shown]
	s_add_u32 s3, s0, 8
	s_addc_u32 s8, s1, 0
	s_add_u32 s9, s0, 48
	s_addc_u32 s10, s1, 0
	s_waitcnt lgkmcnt(0)
	s_bitcmp1_b32 s13, 0
	s_cselect_b32 s3, s3, s4
	s_cselect_b32 s5, s8, s5
	v_mov_b32_e32 v2, s3
	s_cselect_b32 s3, s10, s7
	s_cselect_b32 s4, s9, s6
	v_mov_b32_e32 v3, s5
	v_mov_b32_e32 v4, s4
	;; [unrolled: 1-line block ×3, first 2 shown]
	flat_load_dwordx2 v[20:21], v[2:3]
	flat_load_dwordx2 v[22:23], v[4:5]
	s_waitcnt vmcnt(0) lgkmcnt(0)
	v_cmp_eq_f32_e32 vcc, 0, v20
	v_cmp_eq_f32_e64 s[4:5], 0, v21
	v_cmp_eq_f32_e64 s[6:7], 1.0, v22
	v_cmp_eq_f32_e64 s[8:9], 0, v23
	s_and_b64 s[4:5], vcc, s[4:5]
	s_and_b64 s[6:7], s[6:7], s[8:9]
	s_and_b64 s[4:5], s[4:5], s[6:7]
	s_xor_b64 s[4:5], s[4:5], -1
	s_and_saveexec_b64 s[6:7], s[4:5]
	s_cbranch_execz .LBB94_19
; %bb.1:
	s_load_dwordx2 s[14:15], s[0:1], 0x0
	v_lshrrev_b32_e32 v1, 2, v0
	v_lshl_or_b32 v24, s2, 5, v1
	s_waitcnt lgkmcnt(0)
	v_cmp_gt_i32_e32 vcc, s14, v24
	s_and_b64 exec, exec, vcc
	s_cbranch_execz .LBB94_19
; %bb.2:
	s_load_dwordx8 s[4:11], s[0:1], 0x10
	v_ashrrev_i32_e32 v25, 31, v24
	s_cmp_lg_u32 s15, 0
	s_waitcnt lgkmcnt(0)
	v_lshl_add_u64 v[2:3], v[24:25], 2, s[4:5]
	global_load_dwordx2 v[2:3], v[2:3], off
	v_and_b32_e32 v25, 3, v0
	s_waitcnt vmcnt(0)
	v_subrev_u32_e32 v0, s12, v2
	v_subrev_u32_e32 v44, s12, v3
	v_add_u32_e32 v26, v0, v25
	v_cmp_lt_i32_e64 s[2:3], v26, v44
	s_cbranch_scc0 .LBB94_8
; %bb.3:
	v_mov_b32_e32 v33, 0
	v_mov_b32_e32 v32, v33
	;; [unrolled: 1-line block ×8, first 2 shown]
	s_and_saveexec_b64 s[4:5], s[2:3]
	s_cbranch_execz .LBB94_7
; %bb.4:
	v_mad_u64_u32 v[36:37], s[14:15], v26, 24, 20
	v_mov_b32_e32 v39, 0
	s_mov_b64 s[14:15], 0
	v_mov_b32_e32 v40, v26
	v_mov_b32_e32 v28, v39
	;; [unrolled: 1-line block ×9, first 2 shown]
.LBB94_5:                               ; =>This Inner Loop Header: Depth=1
	v_ashrrev_i32_e32 v41, 31, v40
	v_subrev_u32_e32 v38, 20, v36
	v_lshl_add_u64 v[0:1], v[40:41], 2, s[6:7]
	v_lshl_add_u64 v[2:3], v[38:39], 3, s[8:9]
	global_load_dword v27, v[0:1], off
	global_load_dwordx4 v[46:49], v[2:3], off
	global_load_dwordx4 v[50:53], v[2:3], off offset:16
	global_load_dwordx4 v[8:11], v[2:3], off offset:32
	;; [unrolled: 1-line block ×3, first 2 shown]
	v_mov_b32_e32 v37, v39
	v_add_u32_e32 v38, -12, v36
	v_mov_b32_e32 v43, v39
	v_lshl_add_u64 v[70:71], v[36:37], 3, s[8:9]
	v_lshl_add_u64 v[54:55], v[38:39], 3, s[8:9]
	global_load_dwordx4 v[0:3], v[70:71], off
	global_load_dwordx4 v[12:15], v[54:55], off offset:16
	global_load_dwordx4 v[16:19], v[54:55], off
	v_add_u32_e32 v40, 4, v40
	v_cmp_ge_i32_e32 vcc, v40, v44
	s_or_b64 s[14:15], vcc, s[14:15]
	s_waitcnt vmcnt(7)
	v_subrev_u32_e32 v27, s12, v27
	v_mul_lo_u32 v42, v27, 6
	v_lshl_add_u64 v[54:55], v[42:43], 3, s[10:11]
	global_load_dwordx4 v[54:57], v[54:55], off
	v_add_u32_e32 v38, 2, v42
	v_lshl_add_u64 v[58:59], v[38:39], 3, s[10:11]
	v_add_u32_e32 v38, -8, v36
	global_load_dwordx4 v[58:61], v[58:59], off
	v_lshl_add_u64 v[80:81], v[38:39], 3, s[8:9]
	v_add_u32_e32 v38, -4, v36
	global_load_dwordx4 v[62:65], v[80:81], off offset:16
	global_load_dwordx4 v[66:69], v[80:81], off
	v_lshl_add_u64 v[82:83], v[38:39], 3, s[8:9]
	v_add_u32_e32 v38, 4, v42
	s_waitcnt vmcnt(10)
	v_xor_b32_e32 v72, 0x80000000, v47
	v_xor_b32_e32 v74, 0x80000000, v49
	v_mov_b32_e32 v73, v46
	v_mov_b32_e32 v75, v48
	v_lshl_add_u64 v[42:43], v[38:39], 3, s[10:11]
	s_waitcnt vmcnt(9)
	v_xor_b32_e32 v76, 0x80000000, v51
	v_xor_b32_e32 v78, 0x80000000, v53
	v_mov_b32_e32 v77, v50
	v_mov_b32_e32 v79, v52
	v_add_u32_e32 v36, 0x60, v36
	s_waitcnt vmcnt(3)
	v_pk_fma_f32 v[80:81], v[46:47], v[54:55], v[32:33] op_sel_hi:[1,0,1]
	v_pk_fma_f32 v[84:85], v[48:49], v[54:55], v[34:35] op_sel_hi:[1,0,1]
	global_load_dwordx4 v[32:35], v[82:83], off offset:16
	global_load_dwordx4 v[46:49], v[82:83], off
	v_pk_fma_f32 v[82:83], v[50:51], v[54:55], v[30:31] op_sel_hi:[1,0,1]
	v_pk_fma_f32 v[86:87], v[52:53], v[54:55], v[28:29] op_sel_hi:[1,0,1]
	global_load_dwordx4 v[28:31], v[42:43], off
	global_load_dwordx4 v[50:53], v[70:71], off offset:16
	v_pk_fma_f32 v[42:43], v[72:73], v[54:55], v[80:81] op_sel:[0,1,0]
	v_pk_fma_f32 v[72:73], v[74:75], v[54:55], v[84:85] op_sel:[0,1,0]
	;; [unrolled: 1-line block ×4, first 2 shown]
	v_xor_b32_e32 v70, 0x80000000, v11
	v_mov_b32_e32 v71, v10
	v_xor_b32_e32 v74, 0x80000000, v7
	v_mov_b32_e32 v75, v6
	v_pk_fma_f32 v[42:43], v[8:9], v[56:57], v[42:43] op_sel_hi:[1,0,1]
	v_pk_fma_f32 v[10:11], v[10:11], v[56:57], v[72:73] op_sel_hi:[1,0,1]
	v_pk_fma_f32 v[72:73], v[4:5], v[56:57], v[76:77] op_sel_hi:[1,0,1]
	v_pk_fma_f32 v[6:7], v[6:7], v[56:57], v[54:55] op_sel_hi:[1,0,1]
	v_mov_b32_e32 v38, v57
	v_pk_fma_f32 v[8:9], v[8:9], v[38:39], v[42:43] op_sel:[1,0,0] op_sel_hi:[0,0,1] neg_lo:[1,0,0]
	v_pk_fma_f32 v[4:5], v[4:5], v[38:39], v[72:73] op_sel:[1,0,0] op_sel_hi:[0,0,1] neg_lo:[1,0,0]
	v_pk_fma_f32 v[10:11], v[70:71], v[38:39], v[10:11] op_sel_hi:[1,0,1]
	v_pk_fma_f32 v[6:7], v[74:75], v[38:39], v[6:7] op_sel_hi:[1,0,1]
	v_xor_b32_e32 v54, 0x80000000, v19
	v_mov_b32_e32 v55, v18
	v_xor_b32_e32 v42, 0x80000000, v15
	v_mov_b32_e32 v43, v14
	s_waitcnt vmcnt(6)
	v_pk_fma_f32 v[8:9], v[16:17], v[58:59], v[8:9] op_sel_hi:[1,0,1]
	v_pk_fma_f32 v[10:11], v[18:19], v[58:59], v[10:11] op_sel_hi:[1,0,1]
	;; [unrolled: 1-line block ×4, first 2 shown]
	v_pk_fma_f32 v[8:9], v[16:17], v[58:59], v[8:9] op_sel:[1,1,0] op_sel_hi:[0,1,1] neg_lo:[1,0,0]
	v_pk_fma_f32 v[4:5], v[12:13], v[58:59], v[4:5] op_sel:[1,1,0] op_sel_hi:[0,1,1] neg_lo:[1,0,0]
	v_pk_fma_f32 v[10:11], v[54:55], v[58:59], v[10:11] op_sel:[0,1,0]
	v_pk_fma_f32 v[6:7], v[42:43], v[58:59], v[6:7] op_sel:[0,1,0]
	v_mov_b32_e32 v56, v61
	s_waitcnt vmcnt(4)
	v_xor_b32_e32 v72, 0x80000000, v69
	v_mov_b32_e32 v73, v68
	v_xor_b32_e32 v76, 0x80000000, v65
	v_mov_b32_e32 v77, v64
	v_pk_fma_f32 v[8:9], v[66:67], v[60:61], v[8:9] op_sel_hi:[1,0,1]
	v_pk_fma_f32 v[10:11], v[68:69], v[60:61], v[10:11] op_sel_hi:[1,0,1]
	;; [unrolled: 1-line block ×4, first 2 shown]
	v_pk_fma_f32 v[8:9], v[66:67], v[56:57], v[8:9] op_sel:[1,0,0] op_sel_hi:[0,0,1] neg_lo:[1,0,0]
	v_pk_fma_f32 v[10:11], v[72:73], v[56:57], v[10:11] op_sel_hi:[1,0,1]
	v_pk_fma_f32 v[4:5], v[62:63], v[56:57], v[4:5] op_sel:[1,0,0] op_sel_hi:[0,0,1] neg_lo:[1,0,0]
	v_pk_fma_f32 v[6:7], v[76:77], v[56:57], v[6:7] op_sel_hi:[1,0,1]
	v_xor_b32_e32 v80, 0x80000000, v3
	v_mov_b32_e32 v81, v2
	s_waitcnt vmcnt(3)
	v_xor_b32_e32 v74, 0x80000000, v35
	s_waitcnt vmcnt(2)
	v_xor_b32_e32 v70, 0x80000000, v49
	v_mov_b32_e32 v71, v48
	v_mov_b32_e32 v75, v34
	s_waitcnt vmcnt(1)
	v_pk_fma_f32 v[8:9], v[46:47], v[28:29], v[8:9] op_sel_hi:[1,0,1]
	v_pk_fma_f32 v[10:11], v[48:49], v[28:29], v[10:11] op_sel_hi:[1,0,1]
	;; [unrolled: 1-line block ×4, first 2 shown]
	v_pk_fma_f32 v[8:9], v[46:47], v[28:29], v[8:9] op_sel:[1,1,0] op_sel_hi:[0,1,1] neg_lo:[1,0,0]
	v_pk_fma_f32 v[10:11], v[70:71], v[28:29], v[10:11] op_sel:[0,1,0]
	v_pk_fma_f32 v[4:5], v[32:33], v[28:29], v[4:5] op_sel:[1,1,0] op_sel_hi:[0,1,1] neg_lo:[1,0,0]
	v_pk_fma_f32 v[6:7], v[74:75], v[28:29], v[6:7] op_sel:[0,1,0]
	s_waitcnt vmcnt(0)
	v_xor_b32_e32 v78, 0x80000000, v53
	v_mov_b32_e32 v79, v52
	v_mov_b32_e32 v14, v31
	v_pk_fma_f32 v[8:9], v[0:1], v[30:31], v[8:9] op_sel_hi:[1,0,1]
	v_pk_fma_f32 v[2:3], v[2:3], v[30:31], v[10:11] op_sel_hi:[1,0,1]
	;; [unrolled: 1-line block ×4, first 2 shown]
	v_pk_fma_f32 v[32:33], v[0:1], v[14:15], v[8:9] op_sel:[1,0,0] op_sel_hi:[0,0,1] neg_lo:[1,0,0]
	v_pk_fma_f32 v[34:35], v[80:81], v[14:15], v[2:3] op_sel_hi:[1,0,1]
	v_pk_fma_f32 v[30:31], v[50:51], v[14:15], v[4:5] op_sel:[1,0,0] op_sel_hi:[0,0,1] neg_lo:[1,0,0]
	v_pk_fma_f32 v[28:29], v[78:79], v[14:15], v[6:7] op_sel_hi:[1,0,1]
	s_andn2_b64 exec, exec, s[14:15]
	s_cbranch_execnz .LBB94_5
; %bb.6:
	s_or_b64 exec, exec, s[14:15]
.LBB94_7:
	s_or_b64 exec, exec, s[4:5]
	s_cbranch_execz .LBB94_9
	s_branch .LBB94_14
.LBB94_8:
                                        ; implicit-def: $vgpr33
                                        ; implicit-def: $vgpr29
                                        ; implicit-def: $vgpr31
                                        ; implicit-def: $vgpr35
.LBB94_9:
	v_mov_b32_e32 v33, 0
	v_mov_b32_e32 v32, v33
	;; [unrolled: 1-line block ×8, first 2 shown]
	s_and_saveexec_b64 s[4:5], s[2:3]
	s_cbranch_execz .LBB94_13
; %bb.10:
	v_mad_u64_u32 v[0:1], s[2:3], v26, 24, 23
	v_mov_b32_e32 v3, 0
	s_mov_b64 s[2:3], 0
	v_mov_b32_e32 v28, v3
	v_mov_b32_e32 v29, v3
	;; [unrolled: 1-line block ×8, first 2 shown]
.LBB94_11:                              ; =>This Inner Loop Header: Depth=1
	v_ashrrev_i32_e32 v27, 31, v26
	v_subrev_u32_e32 v2, 23, v0
	v_add_u32_e32 v6, -11, v0
	v_add_u32_e32 v8, -5, v0
	v_mov_b32_e32 v7, v3
	v_mov_b32_e32 v9, v3
	;; [unrolled: 1-line block ×3, first 2 shown]
	v_lshl_add_u64 v[18:19], v[26:27], 2, s[6:7]
	v_lshl_add_u64 v[40:41], v[2:3], 3, s[8:9]
	;; [unrolled: 1-line block ×5, first 2 shown]
	global_load_dword v1, v[18:19], off
	global_load_dwordx4 v[6:9], v[40:41], off
	global_load_dwordx4 v[10:13], v[40:41], off offset:48
	global_load_dwordx2 v[52:53], v[42:43], off
	global_load_dwordx4 v[14:17], v[40:41], off offset:16
	global_load_dwordx2 v[54:55], v[46:47], off
	global_load_dwordx4 v[36:39], v[40:41], off offset:32
	v_add_u32_e32 v2, -10, v0
	v_lshl_add_u64 v[18:19], v[2:3], 3, s[8:9]
	v_add_u32_e32 v2, -4, v0
	v_mov_b32_e32 v5, v3
	v_lshl_add_u64 v[40:41], v[2:3], 3, s[8:9]
	global_load_dwordx2 v[18:19], v[18:19], off
	v_add_u32_e32 v26, 4, v26
	global_load_dwordx2 v[56:57], v[40:41], off
	v_cmp_ge_i32_e32 vcc, v26, v44
	s_or_b64 s[2:3], vcc, s[2:3]
	s_waitcnt vmcnt(8)
	v_subrev_u32_e32 v1, s12, v1
	v_mul_lo_u32 v4, v1, 6
	v_lshl_add_u64 v[40:41], v[4:5], 3, s[10:11]
	global_load_dwordx4 v[40:43], v[40:41], off
	v_add_u32_e32 v2, 2, v4
	s_waitcnt vmcnt(8)
	v_xor_b32_e32 v46, 0x80000000, v7
	v_mov_b32_e32 v47, v6
	v_lshl_add_u64 v[72:73], v[2:3], 3, s[10:11]
	v_add_u32_e32 v2, -15, v0
	v_lshl_add_u64 v[74:75], v[2:3], 3, s[8:9]
	v_add_u32_e32 v2, -9, v0
	v_xor_b32_e32 v62, 0x80000000, v9
	v_mov_b32_e32 v63, v8
	s_waitcnt vmcnt(7)
	v_xor_b32_e32 v58, 0x80000000, v11
	v_mov_b32_e32 v59, v10
	v_xor_b32_e32 v64, 0x80000000, v13
	v_mov_b32_e32 v65, v12
	s_waitcnt vmcnt(6)
	v_xor_b32_e32 v60, 0x80000000, v53
	v_mov_b32_e32 v61, v52
	s_waitcnt vmcnt(4)
	;; [unrolled: 3-line block ×5, first 2 shown]
	v_pk_fma_f32 v[6:7], v[6:7], v[40:41], v[32:33] op_sel_hi:[1,0,1]
	s_nop 0
	v_pk_fma_f32 v[6:7], v[46:47], v[40:41], v[6:7] op_sel:[0,1,0]
	global_load_dwordx4 v[46:49], v[72:73], off
	global_load_dwordx2 v[32:33], v[74:75], off
	v_pk_fma_f32 v[8:9], v[8:9], v[42:43], v[6:7] op_sel_hi:[1,0,1]
	v_lshl_add_u64 v[6:7], v[2:3], 3, s[8:9]
	v_add_u32_e32 v2, -3, v0
	global_load_dwordx2 v[72:73], v[6:7], off
	v_lshl_add_u64 v[6:7], v[2:3], 3, s[8:9]
	v_add_u32_e32 v2, -14, v0
	global_load_dwordx2 v[74:75], v[6:7], off
	v_pk_fma_f32 v[6:7], v[10:11], v[40:41], v[34:35] op_sel_hi:[1,0,1]
	v_lshl_add_u64 v[10:11], v[2:3], 3, s[8:9]
	v_pk_fma_f32 v[6:7], v[58:59], v[40:41], v[6:7] op_sel:[0,1,0]
	v_add_u32_e32 v2, -8, v0
	v_pk_fma_f32 v[12:13], v[12:13], v[42:43], v[6:7] op_sel_hi:[1,0,1]
	v_lshl_add_u64 v[6:7], v[2:3], 3, s[8:9]
	v_add_u32_e32 v2, -2, v0
	global_load_dwordx2 v[10:11], v[10:11], off
	v_pk_fma_f32 v[30:31], v[52:53], v[40:41], v[30:31] op_sel_hi:[1,0,1]
	global_load_dwordx2 v[34:35], v[6:7], off
	v_lshl_add_u64 v[6:7], v[2:3], 3, s[8:9]
	v_add_u32_e32 v2, 4, v4
	v_lshl_add_u64 v[4:5], v[2:3], 3, s[10:11]
	v_add_u32_e32 v2, -13, v0
	v_lshl_add_u64 v[52:53], v[2:3], 3, s[8:9]
	v_add_u32_e32 v2, -7, v0
	v_pk_fma_f32 v[28:29], v[54:55], v[40:41], v[28:29] op_sel_hi:[1,0,1]
	v_lshl_add_u64 v[54:55], v[2:3], 3, s[8:9]
	global_load_dwordx2 v[58:59], v[6:7], off
	v_add_u32_e32 v2, -1, v0
	global_load_dwordx2 v[52:53], v[52:53], off
	v_pk_fma_f32 v[30:31], v[60:61], v[40:41], v[30:31] op_sel:[0,1,0]
	global_load_dwordx2 v[54:55], v[54:55], off
	v_pk_fma_f32 v[28:29], v[66:67], v[40:41], v[28:29] op_sel:[0,1,0]
	global_load_dwordx4 v[4:7], v[4:5], off
	v_lshl_add_u64 v[40:41], v[2:3], 3, s[8:9]
	v_add_u32_e32 v2, -12, v0
	v_pk_fma_f32 v[18:19], v[18:19], v[42:43], v[30:31] op_sel_hi:[1,0,1]
	v_lshl_add_u64 v[30:31], v[2:3], 3, s[8:9]
	v_add_u32_e32 v2, -6, v0
	global_load_dwordx2 v[60:61], v[30:31], off
	global_load_dwordx2 v[66:67], v[40:41], off
	v_lshl_add_u64 v[30:31], v[2:3], 3, s[8:9]
	v_pk_fma_f32 v[28:29], v[56:57], v[42:43], v[28:29] op_sel_hi:[1,0,1]
	global_load_dwordx2 v[40:41], v[30:31], off
	global_load_dwordx2 v[56:57], v[50:51], off
	v_mov_b32_e32 v2, v43
	v_pk_fma_f32 v[8:9], v[62:63], v[2:3], v[8:9] op_sel_hi:[1,0,1]
	v_pk_fma_f32 v[12:13], v[64:65], v[2:3], v[12:13] op_sel_hi:[1,0,1]
	;; [unrolled: 1-line block ×4, first 2 shown]
	v_xor_b32_e32 v30, 0x80000000, v17
	v_mov_b32_e32 v31, v16
	v_xor_b32_e32 v42, 0x80000000, v39
	v_mov_b32_e32 v43, v38
	v_add_u32_e32 v0, 0x60, v0
	s_waitcnt vmcnt(13)
	v_pk_fma_f32 v[8:9], v[14:15], v[46:47], v[8:9] op_sel_hi:[1,0,1]
	s_waitcnt vmcnt(12)
	v_xor_b32_e32 v62, 0x80000000, v33
	v_mov_b32_e32 v63, v32
	v_pk_fma_f32 v[12:13], v[32:33], v[46:47], v[12:13] op_sel_hi:[1,0,1]
	v_pk_fma_f32 v[8:9], v[14:15], v[46:47], v[8:9] op_sel:[1,1,0] op_sel_hi:[0,1,1] neg_lo:[1,0,0]
	s_waitcnt vmcnt(11)
	v_xor_b32_e32 v64, 0x80000000, v73
	v_mov_b32_e32 v65, v72
	v_pk_fma_f32 v[18:19], v[72:73], v[46:47], v[18:19] op_sel_hi:[1,0,1]
	v_mov_b32_e32 v50, v49
	s_waitcnt vmcnt(10)
	v_xor_b32_e32 v32, 0x80000000, v75
	v_pk_fma_f32 v[28:29], v[74:75], v[46:47], v[28:29] op_sel_hi:[1,0,1]
	v_mov_b32_e32 v33, v74
	v_pk_fma_f32 v[12:13], v[62:63], v[46:47], v[12:13] op_sel:[0,1,0]
	v_pk_fma_f32 v[14:15], v[64:65], v[46:47], v[18:19] op_sel:[0,1,0]
	v_pk_fma_f32 v[8:9], v[16:17], v[48:49], v[8:9] op_sel_hi:[1,0,1]
	v_pk_fma_f32 v[28:29], v[32:33], v[46:47], v[28:29] op_sel:[0,1,0]
	s_waitcnt vmcnt(9)
	v_xor_b32_e32 v18, 0x80000000, v11
	v_mov_b32_e32 v19, v10
	v_pk_fma_f32 v[10:11], v[10:11], v[48:49], v[12:13] op_sel_hi:[1,0,1]
	s_waitcnt vmcnt(8)
	v_xor_b32_e32 v12, 0x80000000, v35
	v_pk_fma_f32 v[14:15], v[34:35], v[48:49], v[14:15] op_sel_hi:[1,0,1]
	v_mov_b32_e32 v13, v34
	v_pk_fma_f32 v[8:9], v[30:31], v[50:51], v[8:9] op_sel_hi:[1,0,1]
	v_pk_fma_f32 v[10:11], v[18:19], v[50:51], v[10:11] op_sel_hi:[1,0,1]
	;; [unrolled: 1-line block ×3, first 2 shown]
	s_waitcnt vmcnt(7)
	v_xor_b32_e32 v14, 0x80000000, v59
	v_pk_fma_f32 v[16:17], v[58:59], v[48:49], v[28:29] op_sel_hi:[1,0,1]
	v_mov_b32_e32 v15, v58
	v_pk_fma_f32 v[14:15], v[14:15], v[50:51], v[16:17] op_sel_hi:[1,0,1]
	s_waitcnt vmcnt(6)
	v_xor_b32_e32 v16, 0x80000000, v53
	v_mov_b32_e32 v17, v52
	s_waitcnt vmcnt(4)
	v_pk_fma_f32 v[8:9], v[36:37], v[4:5], v[8:9] op_sel_hi:[1,0,1]
	v_pk_fma_f32 v[10:11], v[52:53], v[4:5], v[10:11] op_sel_hi:[1,0,1]
	v_pk_fma_f32 v[8:9], v[36:37], v[4:5], v[8:9] op_sel:[1,1,0] op_sel_hi:[0,1,1] neg_lo:[1,0,0]
	v_mov_b32_e32 v2, v7
	v_pk_fma_f32 v[8:9], v[38:39], v[6:7], v[8:9] op_sel_hi:[1,0,1]
	v_pk_fma_f32 v[10:11], v[16:17], v[4:5], v[10:11] op_sel:[0,1,0]
	v_xor_b32_e32 v16, 0x80000000, v55
	v_pk_fma_f32 v[12:13], v[54:55], v[4:5], v[12:13] op_sel_hi:[1,0,1]
	v_mov_b32_e32 v17, v54
	v_pk_fma_f32 v[32:33], v[42:43], v[2:3], v[8:9] op_sel_hi:[1,0,1]
	v_pk_fma_f32 v[8:9], v[16:17], v[4:5], v[12:13] op_sel:[0,1,0]
	s_waitcnt vmcnt(2)
	v_xor_b32_e32 v16, 0x80000000, v67
	v_pk_fma_f32 v[14:15], v[66:67], v[4:5], v[14:15] op_sel_hi:[1,0,1]
	v_mov_b32_e32 v17, v66
	v_xor_b32_e32 v12, 0x80000000, v61
	v_pk_fma_f32 v[10:11], v[60:61], v[6:7], v[10:11] op_sel_hi:[1,0,1]
	v_mov_b32_e32 v13, v60
	v_pk_fma_f32 v[4:5], v[16:17], v[4:5], v[14:15] op_sel:[0,1,0]
	v_pk_fma_f32 v[34:35], v[12:13], v[2:3], v[10:11] op_sel_hi:[1,0,1]
	s_waitcnt vmcnt(1)
	v_xor_b32_e32 v10, 0x80000000, v41
	v_pk_fma_f32 v[8:9], v[40:41], v[6:7], v[8:9] op_sel_hi:[1,0,1]
	v_mov_b32_e32 v11, v40
	s_waitcnt vmcnt(0)
	v_xor_b32_e32 v12, 0x80000000, v57
	v_mov_b32_e32 v13, v56
	v_pk_fma_f32 v[4:5], v[56:57], v[6:7], v[4:5] op_sel_hi:[1,0,1]
	v_pk_fma_f32 v[30:31], v[10:11], v[2:3], v[8:9] op_sel_hi:[1,0,1]
	;; [unrolled: 1-line block ×3, first 2 shown]
	s_andn2_b64 exec, exec, s[2:3]
	s_cbranch_execnz .LBB94_11
; %bb.12:
	s_or_b64 exec, exec, s[2:3]
.LBB94_13:
	s_or_b64 exec, exec, s[4:5]
.LBB94_14:
	v_mov_b32_dpp v6, v35 row_shr:1 row_mask:0xf bank_mask:0xf
	v_add_f32_e32 v7, v35, v6
	v_mov_b32_dpp v0, v32 row_shr:1 row_mask:0xf bank_mask:0xf
	v_mov_b32_dpp v6, v30 row_shr:1 row_mask:0xf bank_mask:0xf
	v_add_f32_e32 v9, v30, v6
	v_mov_b32_dpp v2, v33 row_shr:1 row_mask:0xf bank_mask:0xf
	;; [unrolled: 3-line block ×3, first 2 shown]
	v_mov_b32_dpp v6, v28 row_shr:1 row_mask:0xf bank_mask:0xf
	v_add_f32_e32 v15, v28, v6
	v_add_f32_e32 v0, v32, v0
	v_mov_b32_dpp v6, v29 row_shr:1 row_mask:0xf bank_mask:0xf
	v_add_f32_e32 v2, v33, v2
	v_add_f32_e32 v4, v34, v4
	;; [unrolled: 1-line block ×3, first 2 shown]
	v_mov_b32_dpp v1, v0 row_shr:2 row_mask:0xf bank_mask:0xf
	v_mov_b32_dpp v3, v2 row_shr:2 row_mask:0xf bank_mask:0xf
	;; [unrolled: 1-line block ×8, first 2 shown]
	v_cmp_eq_u32_e32 vcc, 3, v25
	s_and_b64 exec, exec, vcc
	s_cbranch_execz .LBB94_19
; %bb.15:
	s_load_dwordx2 s[2:3], s[0:1], 0x38
	v_cmp_eq_f32_e32 vcc, 0, v22
	v_cmp_eq_f32_e64 s[0:1], 0, v23
	v_add_f32_e32 v6, v0, v1
	v_add_f32_e32 v14, v2, v3
	;; [unrolled: 1-line block ×8, first 2 shown]
	s_and_b64 s[0:1], vcc, s[0:1]
	s_and_saveexec_b64 s[4:5], s[0:1]
	s_xor_b64 s[0:1], exec, s[4:5]
	s_cbranch_execz .LBB94_17
; %bb.16:
	v_xor_b32_e32 v18, 0x80000000, v21
	v_mov_b32_e32 v19, v20
	v_lshlrev_b32_e32 v16, 2, v24
	v_pk_mul_f32 v[14:15], v[14:15], v[18:19] op_sel_hi:[0,1]
	v_ashrrev_i32_e32 v17, 31, v16
	v_pk_fma_f32 v[14:15], v[20:21], v[6:7], v[14:15] op_sel_hi:[1,0,1]
	v_pk_mul_f32 v[6:7], v[12:13], v[18:19] op_sel_hi:[0,1]
	s_waitcnt lgkmcnt(0)
	v_lshl_add_u64 v[22:23], v[16:17], 3, s[2:3]
	v_pk_fma_f32 v[16:17], v[20:21], v[4:5], v[6:7] op_sel_hi:[1,0,1]
	v_pk_mul_f32 v[4:5], v[10:11], v[18:19] op_sel_hi:[0,1]
	v_pk_fma_f32 v[2:3], v[20:21], v[2:3], v[4:5] op_sel_hi:[1,0,1]
	v_pk_mul_f32 v[4:5], v[8:9], v[18:19] op_sel_hi:[0,1]
	v_pk_fma_f32 v[4:5], v[20:21], v[0:1], v[4:5] op_sel_hi:[1,0,1]
	global_store_dwordx4 v[22:23], v[14:17], off
	global_store_dwordx4 v[22:23], v[2:5], off offset:16
                                        ; implicit-def: $vgpr24
                                        ; implicit-def: $vgpr6
                                        ; implicit-def: $vgpr14
                                        ; implicit-def: $vgpr4
                                        ; implicit-def: $vgpr12
                                        ; implicit-def: $vgpr2
                                        ; implicit-def: $vgpr10
                                        ; implicit-def: $vgpr0
                                        ; implicit-def: $vgpr8
                                        ; implicit-def: $vgpr20_vgpr21
                                        ; implicit-def: $vgpr22_vgpr23
.LBB94_17:
	s_andn2_saveexec_b64 s[0:1], s[0:1]
	s_cbranch_execz .LBB94_19
; %bb.18:
	v_lshlrev_b32_e32 v16, 2, v24
	v_ashrrev_i32_e32 v17, 31, v16
	s_waitcnt lgkmcnt(0)
	v_lshl_add_u64 v[28:29], v[16:17], 3, s[2:3]
	global_load_dwordx4 v[16:19], v[28:29], off
	global_load_dwordx4 v[24:27], v[28:29], off offset:16
	v_xor_b32_e32 v30, 0x80000000, v21
	v_mov_b32_e32 v31, v20
	v_pk_mul_f32 v[14:15], v[14:15], v[30:31] op_sel_hi:[0,1]
	v_pk_mul_f32 v[12:13], v[12:13], v[30:31] op_sel_hi:[0,1]
	v_pk_mul_f32 v[10:11], v[10:11], v[30:31] op_sel_hi:[0,1]
	v_pk_mul_f32 v[8:9], v[8:9], v[30:31] op_sel_hi:[0,1]
	v_pk_fma_f32 v[6:7], v[20:21], v[6:7], v[14:15] op_sel_hi:[1,0,1]
	v_pk_fma_f32 v[4:5], v[20:21], v[4:5], v[12:13] op_sel_hi:[1,0,1]
	v_xor_b32_e32 v32, 0x80000000, v23
	v_mov_b32_e32 v33, v22
	v_pk_fma_f32 v[2:3], v[20:21], v[2:3], v[10:11] op_sel_hi:[1,0,1]
	v_pk_fma_f32 v[0:1], v[20:21], v[0:1], v[8:9] op_sel_hi:[1,0,1]
	s_waitcnt vmcnt(1)
	v_pk_fma_f32 v[6:7], v[22:23], v[16:17], v[6:7] op_sel_hi:[1,0,1]
	v_pk_fma_f32 v[4:5], v[22:23], v[18:19], v[4:5] op_sel_hi:[1,0,1]
	v_mov_b32_e32 v8, v19
	s_waitcnt vmcnt(0)
	v_pk_fma_f32 v[10:11], v[22:23], v[24:25], v[2:3] op_sel_hi:[1,0,1]
	v_pk_fma_f32 v[12:13], v[22:23], v[26:27], v[0:1] op_sel_hi:[1,0,1]
	v_mov_b32_e32 v14, v27
	v_pk_fma_f32 v[0:1], v[32:33], v[16:17], v[6:7] op_sel:[0,1,0]
	v_pk_fma_f32 v[2:3], v[32:33], v[8:9], v[4:5] op_sel_hi:[1,0,1]
	v_pk_fma_f32 v[4:5], v[32:33], v[24:25], v[10:11] op_sel:[0,1,0]
	v_pk_fma_f32 v[6:7], v[32:33], v[14:15], v[12:13] op_sel_hi:[1,0,1]
	global_store_dwordx4 v[28:29], v[0:3], off
	global_store_dwordx4 v[28:29], v[4:7], off offset:16
.LBB94_19:
	s_endpgm
	.section	.rodata,"a",@progbits
	.p2align	6, 0x0
	.amdhsa_kernel _ZN9rocsparseL19gebsrmvn_4xn_kernelILj128ELj6ELj4E21rocsparse_complex_numIfEEEvi20rocsparse_direction_NS_24const_host_device_scalarIT2_EEPKiS8_PKS5_SA_S6_PS5_21rocsparse_index_base_b
		.amdhsa_group_segment_fixed_size 0
		.amdhsa_private_segment_fixed_size 0
		.amdhsa_kernarg_size 72
		.amdhsa_user_sgpr_count 2
		.amdhsa_user_sgpr_dispatch_ptr 0
		.amdhsa_user_sgpr_queue_ptr 0
		.amdhsa_user_sgpr_kernarg_segment_ptr 1
		.amdhsa_user_sgpr_dispatch_id 0
		.amdhsa_user_sgpr_kernarg_preload_length 0
		.amdhsa_user_sgpr_kernarg_preload_offset 0
		.amdhsa_user_sgpr_private_segment_size 0
		.amdhsa_uses_dynamic_stack 0
		.amdhsa_enable_private_segment 0
		.amdhsa_system_sgpr_workgroup_id_x 1
		.amdhsa_system_sgpr_workgroup_id_y 0
		.amdhsa_system_sgpr_workgroup_id_z 0
		.amdhsa_system_sgpr_workgroup_info 0
		.amdhsa_system_vgpr_workitem_id 0
		.amdhsa_next_free_vgpr 88
		.amdhsa_next_free_sgpr 16
		.amdhsa_accum_offset 88
		.amdhsa_reserve_vcc 1
		.amdhsa_float_round_mode_32 0
		.amdhsa_float_round_mode_16_64 0
		.amdhsa_float_denorm_mode_32 3
		.amdhsa_float_denorm_mode_16_64 3
		.amdhsa_dx10_clamp 1
		.amdhsa_ieee_mode 1
		.amdhsa_fp16_overflow 0
		.amdhsa_tg_split 0
		.amdhsa_exception_fp_ieee_invalid_op 0
		.amdhsa_exception_fp_denorm_src 0
		.amdhsa_exception_fp_ieee_div_zero 0
		.amdhsa_exception_fp_ieee_overflow 0
		.amdhsa_exception_fp_ieee_underflow 0
		.amdhsa_exception_fp_ieee_inexact 0
		.amdhsa_exception_int_div_zero 0
	.end_amdhsa_kernel
	.section	.text._ZN9rocsparseL19gebsrmvn_4xn_kernelILj128ELj6ELj4E21rocsparse_complex_numIfEEEvi20rocsparse_direction_NS_24const_host_device_scalarIT2_EEPKiS8_PKS5_SA_S6_PS5_21rocsparse_index_base_b,"axG",@progbits,_ZN9rocsparseL19gebsrmvn_4xn_kernelILj128ELj6ELj4E21rocsparse_complex_numIfEEEvi20rocsparse_direction_NS_24const_host_device_scalarIT2_EEPKiS8_PKS5_SA_S6_PS5_21rocsparse_index_base_b,comdat
.Lfunc_end94:
	.size	_ZN9rocsparseL19gebsrmvn_4xn_kernelILj128ELj6ELj4E21rocsparse_complex_numIfEEEvi20rocsparse_direction_NS_24const_host_device_scalarIT2_EEPKiS8_PKS5_SA_S6_PS5_21rocsparse_index_base_b, .Lfunc_end94-_ZN9rocsparseL19gebsrmvn_4xn_kernelILj128ELj6ELj4E21rocsparse_complex_numIfEEEvi20rocsparse_direction_NS_24const_host_device_scalarIT2_EEPKiS8_PKS5_SA_S6_PS5_21rocsparse_index_base_b
                                        ; -- End function
	.set _ZN9rocsparseL19gebsrmvn_4xn_kernelILj128ELj6ELj4E21rocsparse_complex_numIfEEEvi20rocsparse_direction_NS_24const_host_device_scalarIT2_EEPKiS8_PKS5_SA_S6_PS5_21rocsparse_index_base_b.num_vgpr, 88
	.set _ZN9rocsparseL19gebsrmvn_4xn_kernelILj128ELj6ELj4E21rocsparse_complex_numIfEEEvi20rocsparse_direction_NS_24const_host_device_scalarIT2_EEPKiS8_PKS5_SA_S6_PS5_21rocsparse_index_base_b.num_agpr, 0
	.set _ZN9rocsparseL19gebsrmvn_4xn_kernelILj128ELj6ELj4E21rocsparse_complex_numIfEEEvi20rocsparse_direction_NS_24const_host_device_scalarIT2_EEPKiS8_PKS5_SA_S6_PS5_21rocsparse_index_base_b.numbered_sgpr, 16
	.set _ZN9rocsparseL19gebsrmvn_4xn_kernelILj128ELj6ELj4E21rocsparse_complex_numIfEEEvi20rocsparse_direction_NS_24const_host_device_scalarIT2_EEPKiS8_PKS5_SA_S6_PS5_21rocsparse_index_base_b.num_named_barrier, 0
	.set _ZN9rocsparseL19gebsrmvn_4xn_kernelILj128ELj6ELj4E21rocsparse_complex_numIfEEEvi20rocsparse_direction_NS_24const_host_device_scalarIT2_EEPKiS8_PKS5_SA_S6_PS5_21rocsparse_index_base_b.private_seg_size, 0
	.set _ZN9rocsparseL19gebsrmvn_4xn_kernelILj128ELj6ELj4E21rocsparse_complex_numIfEEEvi20rocsparse_direction_NS_24const_host_device_scalarIT2_EEPKiS8_PKS5_SA_S6_PS5_21rocsparse_index_base_b.uses_vcc, 1
	.set _ZN9rocsparseL19gebsrmvn_4xn_kernelILj128ELj6ELj4E21rocsparse_complex_numIfEEEvi20rocsparse_direction_NS_24const_host_device_scalarIT2_EEPKiS8_PKS5_SA_S6_PS5_21rocsparse_index_base_b.uses_flat_scratch, 0
	.set _ZN9rocsparseL19gebsrmvn_4xn_kernelILj128ELj6ELj4E21rocsparse_complex_numIfEEEvi20rocsparse_direction_NS_24const_host_device_scalarIT2_EEPKiS8_PKS5_SA_S6_PS5_21rocsparse_index_base_b.has_dyn_sized_stack, 0
	.set _ZN9rocsparseL19gebsrmvn_4xn_kernelILj128ELj6ELj4E21rocsparse_complex_numIfEEEvi20rocsparse_direction_NS_24const_host_device_scalarIT2_EEPKiS8_PKS5_SA_S6_PS5_21rocsparse_index_base_b.has_recursion, 0
	.set _ZN9rocsparseL19gebsrmvn_4xn_kernelILj128ELj6ELj4E21rocsparse_complex_numIfEEEvi20rocsparse_direction_NS_24const_host_device_scalarIT2_EEPKiS8_PKS5_SA_S6_PS5_21rocsparse_index_base_b.has_indirect_call, 0
	.section	.AMDGPU.csdata,"",@progbits
; Kernel info:
; codeLenInByte = 3160
; TotalNumSgprs: 22
; NumVgprs: 88
; NumAgprs: 0
; TotalNumVgprs: 88
; ScratchSize: 0
; MemoryBound: 0
; FloatMode: 240
; IeeeMode: 1
; LDSByteSize: 0 bytes/workgroup (compile time only)
; SGPRBlocks: 2
; VGPRBlocks: 10
; NumSGPRsForWavesPerEU: 22
; NumVGPRsForWavesPerEU: 88
; AccumOffset: 88
; Occupancy: 5
; WaveLimiterHint : 1
; COMPUTE_PGM_RSRC2:SCRATCH_EN: 0
; COMPUTE_PGM_RSRC2:USER_SGPR: 2
; COMPUTE_PGM_RSRC2:TRAP_HANDLER: 0
; COMPUTE_PGM_RSRC2:TGID_X_EN: 1
; COMPUTE_PGM_RSRC2:TGID_Y_EN: 0
; COMPUTE_PGM_RSRC2:TGID_Z_EN: 0
; COMPUTE_PGM_RSRC2:TIDIG_COMP_CNT: 0
; COMPUTE_PGM_RSRC3_GFX90A:ACCUM_OFFSET: 21
; COMPUTE_PGM_RSRC3_GFX90A:TG_SPLIT: 0
	.section	.text._ZN9rocsparseL19gebsrmvn_4xn_kernelILj128ELj6ELj8E21rocsparse_complex_numIfEEEvi20rocsparse_direction_NS_24const_host_device_scalarIT2_EEPKiS8_PKS5_SA_S6_PS5_21rocsparse_index_base_b,"axG",@progbits,_ZN9rocsparseL19gebsrmvn_4xn_kernelILj128ELj6ELj8E21rocsparse_complex_numIfEEEvi20rocsparse_direction_NS_24const_host_device_scalarIT2_EEPKiS8_PKS5_SA_S6_PS5_21rocsparse_index_base_b,comdat
	.globl	_ZN9rocsparseL19gebsrmvn_4xn_kernelILj128ELj6ELj8E21rocsparse_complex_numIfEEEvi20rocsparse_direction_NS_24const_host_device_scalarIT2_EEPKiS8_PKS5_SA_S6_PS5_21rocsparse_index_base_b ; -- Begin function _ZN9rocsparseL19gebsrmvn_4xn_kernelILj128ELj6ELj8E21rocsparse_complex_numIfEEEvi20rocsparse_direction_NS_24const_host_device_scalarIT2_EEPKiS8_PKS5_SA_S6_PS5_21rocsparse_index_base_b
	.p2align	8
	.type	_ZN9rocsparseL19gebsrmvn_4xn_kernelILj128ELj6ELj8E21rocsparse_complex_numIfEEEvi20rocsparse_direction_NS_24const_host_device_scalarIT2_EEPKiS8_PKS5_SA_S6_PS5_21rocsparse_index_base_b,@function
_ZN9rocsparseL19gebsrmvn_4xn_kernelILj128ELj6ELj8E21rocsparse_complex_numIfEEEvi20rocsparse_direction_NS_24const_host_device_scalarIT2_EEPKiS8_PKS5_SA_S6_PS5_21rocsparse_index_base_b: ; @_ZN9rocsparseL19gebsrmvn_4xn_kernelILj128ELj6ELj8E21rocsparse_complex_numIfEEEvi20rocsparse_direction_NS_24const_host_device_scalarIT2_EEPKiS8_PKS5_SA_S6_PS5_21rocsparse_index_base_b
; %bb.0:
	s_load_dwordx2 s[4:5], s[0:1], 0x8
	s_load_dwordx2 s[6:7], s[0:1], 0x30
	;; [unrolled: 1-line block ×3, first 2 shown]
	s_add_u32 s3, s0, 8
	s_addc_u32 s8, s1, 0
	s_add_u32 s9, s0, 48
	s_addc_u32 s10, s1, 0
	s_waitcnt lgkmcnt(0)
	s_bitcmp1_b32 s13, 0
	s_cselect_b32 s3, s3, s4
	s_cselect_b32 s5, s8, s5
	v_mov_b32_e32 v2, s3
	s_cselect_b32 s3, s10, s7
	s_cselect_b32 s4, s9, s6
	v_mov_b32_e32 v3, s5
	v_mov_b32_e32 v4, s4
	;; [unrolled: 1-line block ×3, first 2 shown]
	flat_load_dwordx2 v[20:21], v[2:3]
	flat_load_dwordx2 v[22:23], v[4:5]
	s_waitcnt vmcnt(0) lgkmcnt(0)
	v_cmp_eq_f32_e32 vcc, 0, v20
	v_cmp_eq_f32_e64 s[4:5], 0, v21
	v_cmp_eq_f32_e64 s[6:7], 1.0, v22
	v_cmp_eq_f32_e64 s[8:9], 0, v23
	s_and_b64 s[4:5], vcc, s[4:5]
	s_and_b64 s[6:7], s[6:7], s[8:9]
	s_and_b64 s[4:5], s[4:5], s[6:7]
	s_xor_b64 s[4:5], s[4:5], -1
	s_and_saveexec_b64 s[6:7], s[4:5]
	s_cbranch_execz .LBB95_19
; %bb.1:
	s_load_dwordx2 s[14:15], s[0:1], 0x0
	v_lshrrev_b32_e32 v1, 3, v0
	v_lshl_or_b32 v24, s2, 4, v1
	s_waitcnt lgkmcnt(0)
	v_cmp_gt_i32_e32 vcc, s14, v24
	s_and_b64 exec, exec, vcc
	s_cbranch_execz .LBB95_19
; %bb.2:
	s_load_dwordx8 s[4:11], s[0:1], 0x10
	v_ashrrev_i32_e32 v25, 31, v24
	s_cmp_lg_u32 s15, 0
	s_waitcnt lgkmcnt(0)
	v_lshl_add_u64 v[2:3], v[24:25], 2, s[4:5]
	global_load_dwordx2 v[2:3], v[2:3], off
	v_and_b32_e32 v25, 7, v0
	s_waitcnt vmcnt(0)
	v_subrev_u32_e32 v0, s12, v2
	v_subrev_u32_e32 v44, s12, v3
	v_add_u32_e32 v26, v0, v25
	v_cmp_lt_i32_e64 s[2:3], v26, v44
	s_cbranch_scc0 .LBB95_8
; %bb.3:
	v_mov_b32_e32 v35, 0
	v_mov_b32_e32 v34, v35
	;; [unrolled: 1-line block ×8, first 2 shown]
	s_and_saveexec_b64 s[4:5], s[2:3]
	s_cbranch_execz .LBB95_7
; %bb.4:
	v_mad_u64_u32 v[36:37], s[14:15], v26, 24, 20
	v_mov_b32_e32 v39, 0
	s_mov_b64 s[14:15], 0
	v_mov_b32_e32 v40, v26
	v_mov_b32_e32 v28, v39
	v_mov_b32_e32 v29, v39
	v_mov_b32_e32 v30, v39
	v_mov_b32_e32 v31, v39
	v_mov_b32_e32 v32, v39
	v_mov_b32_e32 v33, v39
	v_mov_b32_e32 v34, v39
	v_mov_b32_e32 v35, v39
.LBB95_5:                               ; =>This Inner Loop Header: Depth=1
	v_ashrrev_i32_e32 v41, 31, v40
	v_subrev_u32_e32 v38, 20, v36
	v_lshl_add_u64 v[0:1], v[40:41], 2, s[6:7]
	v_lshl_add_u64 v[2:3], v[38:39], 3, s[8:9]
	global_load_dword v27, v[0:1], off
	global_load_dwordx4 v[46:49], v[2:3], off
	global_load_dwordx4 v[50:53], v[2:3], off offset:16
	global_load_dwordx4 v[8:11], v[2:3], off offset:32
	;; [unrolled: 1-line block ×3, first 2 shown]
	v_mov_b32_e32 v37, v39
	v_add_u32_e32 v38, -12, v36
	v_mov_b32_e32 v43, v39
	v_lshl_add_u64 v[70:71], v[36:37], 3, s[8:9]
	v_lshl_add_u64 v[54:55], v[38:39], 3, s[8:9]
	global_load_dwordx4 v[0:3], v[70:71], off
	global_load_dwordx4 v[12:15], v[54:55], off offset:16
	global_load_dwordx4 v[16:19], v[54:55], off
	v_add_u32_e32 v40, 8, v40
	v_cmp_ge_i32_e32 vcc, v40, v44
	s_or_b64 s[14:15], vcc, s[14:15]
	s_waitcnt vmcnt(7)
	v_subrev_u32_e32 v27, s12, v27
	v_mul_lo_u32 v42, v27, 6
	v_lshl_add_u64 v[54:55], v[42:43], 3, s[10:11]
	global_load_dwordx4 v[54:57], v[54:55], off
	v_add_u32_e32 v38, 2, v42
	v_lshl_add_u64 v[58:59], v[38:39], 3, s[10:11]
	v_add_u32_e32 v38, -8, v36
	global_load_dwordx4 v[58:61], v[58:59], off
	v_lshl_add_u64 v[80:81], v[38:39], 3, s[8:9]
	v_add_u32_e32 v38, -4, v36
	global_load_dwordx4 v[62:65], v[80:81], off offset:16
	global_load_dwordx4 v[66:69], v[80:81], off
	v_lshl_add_u64 v[82:83], v[38:39], 3, s[8:9]
	v_add_u32_e32 v38, 4, v42
	s_waitcnt vmcnt(10)
	v_xor_b32_e32 v72, 0x80000000, v47
	v_xor_b32_e32 v74, 0x80000000, v49
	v_mov_b32_e32 v73, v46
	v_mov_b32_e32 v75, v48
	v_lshl_add_u64 v[42:43], v[38:39], 3, s[10:11]
	s_waitcnt vmcnt(9)
	v_xor_b32_e32 v76, 0x80000000, v51
	v_xor_b32_e32 v78, 0x80000000, v53
	v_mov_b32_e32 v77, v50
	v_mov_b32_e32 v79, v52
	v_add_u32_e32 v36, 0xc0, v36
	s_waitcnt vmcnt(3)
	v_pk_fma_f32 v[80:81], v[46:47], v[54:55], v[34:35] op_sel_hi:[1,0,1]
	v_pk_fma_f32 v[84:85], v[48:49], v[54:55], v[32:33] op_sel_hi:[1,0,1]
	global_load_dwordx4 v[32:35], v[82:83], off offset:16
	global_load_dwordx4 v[46:49], v[82:83], off
	v_pk_fma_f32 v[82:83], v[50:51], v[54:55], v[30:31] op_sel_hi:[1,0,1]
	v_pk_fma_f32 v[86:87], v[52:53], v[54:55], v[28:29] op_sel_hi:[1,0,1]
	global_load_dwordx4 v[28:31], v[42:43], off
	global_load_dwordx4 v[50:53], v[70:71], off offset:16
	v_pk_fma_f32 v[42:43], v[72:73], v[54:55], v[80:81] op_sel:[0,1,0]
	v_pk_fma_f32 v[72:73], v[74:75], v[54:55], v[84:85] op_sel:[0,1,0]
	;; [unrolled: 1-line block ×4, first 2 shown]
	v_xor_b32_e32 v70, 0x80000000, v11
	v_mov_b32_e32 v71, v10
	v_xor_b32_e32 v74, 0x80000000, v7
	v_mov_b32_e32 v75, v6
	v_pk_fma_f32 v[42:43], v[8:9], v[56:57], v[42:43] op_sel_hi:[1,0,1]
	v_pk_fma_f32 v[10:11], v[10:11], v[56:57], v[72:73] op_sel_hi:[1,0,1]
	;; [unrolled: 1-line block ×4, first 2 shown]
	v_mov_b32_e32 v38, v57
	v_pk_fma_f32 v[8:9], v[8:9], v[38:39], v[42:43] op_sel:[1,0,0] op_sel_hi:[0,0,1] neg_lo:[1,0,0]
	v_pk_fma_f32 v[4:5], v[4:5], v[38:39], v[72:73] op_sel:[1,0,0] op_sel_hi:[0,0,1] neg_lo:[1,0,0]
	v_pk_fma_f32 v[10:11], v[70:71], v[38:39], v[10:11] op_sel_hi:[1,0,1]
	v_pk_fma_f32 v[6:7], v[74:75], v[38:39], v[6:7] op_sel_hi:[1,0,1]
	v_xor_b32_e32 v54, 0x80000000, v19
	v_mov_b32_e32 v55, v18
	v_xor_b32_e32 v42, 0x80000000, v15
	v_mov_b32_e32 v43, v14
	s_waitcnt vmcnt(6)
	v_pk_fma_f32 v[8:9], v[16:17], v[58:59], v[8:9] op_sel_hi:[1,0,1]
	v_pk_fma_f32 v[10:11], v[18:19], v[58:59], v[10:11] op_sel_hi:[1,0,1]
	;; [unrolled: 1-line block ×4, first 2 shown]
	v_pk_fma_f32 v[8:9], v[16:17], v[58:59], v[8:9] op_sel:[1,1,0] op_sel_hi:[0,1,1] neg_lo:[1,0,0]
	v_pk_fma_f32 v[4:5], v[12:13], v[58:59], v[4:5] op_sel:[1,1,0] op_sel_hi:[0,1,1] neg_lo:[1,0,0]
	v_pk_fma_f32 v[10:11], v[54:55], v[58:59], v[10:11] op_sel:[0,1,0]
	v_pk_fma_f32 v[6:7], v[42:43], v[58:59], v[6:7] op_sel:[0,1,0]
	v_mov_b32_e32 v56, v61
	s_waitcnt vmcnt(4)
	v_xor_b32_e32 v72, 0x80000000, v69
	v_mov_b32_e32 v73, v68
	v_xor_b32_e32 v76, 0x80000000, v65
	v_mov_b32_e32 v77, v64
	v_pk_fma_f32 v[8:9], v[66:67], v[60:61], v[8:9] op_sel_hi:[1,0,1]
	v_pk_fma_f32 v[10:11], v[68:69], v[60:61], v[10:11] op_sel_hi:[1,0,1]
	;; [unrolled: 1-line block ×4, first 2 shown]
	v_pk_fma_f32 v[8:9], v[66:67], v[56:57], v[8:9] op_sel:[1,0,0] op_sel_hi:[0,0,1] neg_lo:[1,0,0]
	v_pk_fma_f32 v[10:11], v[72:73], v[56:57], v[10:11] op_sel_hi:[1,0,1]
	v_pk_fma_f32 v[4:5], v[62:63], v[56:57], v[4:5] op_sel:[1,0,0] op_sel_hi:[0,0,1] neg_lo:[1,0,0]
	v_pk_fma_f32 v[6:7], v[76:77], v[56:57], v[6:7] op_sel_hi:[1,0,1]
	v_xor_b32_e32 v80, 0x80000000, v3
	v_mov_b32_e32 v81, v2
	s_waitcnt vmcnt(3)
	v_xor_b32_e32 v74, 0x80000000, v35
	s_waitcnt vmcnt(2)
	v_xor_b32_e32 v70, 0x80000000, v49
	v_mov_b32_e32 v71, v48
	v_mov_b32_e32 v75, v34
	s_waitcnt vmcnt(1)
	v_pk_fma_f32 v[8:9], v[46:47], v[28:29], v[8:9] op_sel_hi:[1,0,1]
	v_pk_fma_f32 v[10:11], v[48:49], v[28:29], v[10:11] op_sel_hi:[1,0,1]
	;; [unrolled: 1-line block ×4, first 2 shown]
	v_pk_fma_f32 v[8:9], v[46:47], v[28:29], v[8:9] op_sel:[1,1,0] op_sel_hi:[0,1,1] neg_lo:[1,0,0]
	v_pk_fma_f32 v[10:11], v[70:71], v[28:29], v[10:11] op_sel:[0,1,0]
	v_pk_fma_f32 v[4:5], v[32:33], v[28:29], v[4:5] op_sel:[1,1,0] op_sel_hi:[0,1,1] neg_lo:[1,0,0]
	v_pk_fma_f32 v[6:7], v[74:75], v[28:29], v[6:7] op_sel:[0,1,0]
	s_waitcnt vmcnt(0)
	v_xor_b32_e32 v78, 0x80000000, v53
	v_mov_b32_e32 v79, v52
	v_mov_b32_e32 v14, v31
	v_pk_fma_f32 v[8:9], v[0:1], v[30:31], v[8:9] op_sel_hi:[1,0,1]
	v_pk_fma_f32 v[2:3], v[2:3], v[30:31], v[10:11] op_sel_hi:[1,0,1]
	;; [unrolled: 1-line block ×4, first 2 shown]
	v_pk_fma_f32 v[34:35], v[0:1], v[14:15], v[8:9] op_sel:[1,0,0] op_sel_hi:[0,0,1] neg_lo:[1,0,0]
	v_pk_fma_f32 v[32:33], v[80:81], v[14:15], v[2:3] op_sel_hi:[1,0,1]
	v_pk_fma_f32 v[30:31], v[50:51], v[14:15], v[4:5] op_sel:[1,0,0] op_sel_hi:[0,0,1] neg_lo:[1,0,0]
	v_pk_fma_f32 v[28:29], v[78:79], v[14:15], v[6:7] op_sel_hi:[1,0,1]
	s_andn2_b64 exec, exec, s[14:15]
	s_cbranch_execnz .LBB95_5
; %bb.6:
	s_or_b64 exec, exec, s[14:15]
.LBB95_7:
	s_or_b64 exec, exec, s[4:5]
	s_cbranch_execz .LBB95_9
	s_branch .LBB95_14
.LBB95_8:
                                        ; implicit-def: $vgpr35
                                        ; implicit-def: $vgpr29
                                        ; implicit-def: $vgpr31
                                        ; implicit-def: $vgpr33
.LBB95_9:
	v_mov_b32_e32 v35, 0
	v_mov_b32_e32 v34, v35
	;; [unrolled: 1-line block ×8, first 2 shown]
	s_and_saveexec_b64 s[4:5], s[2:3]
	s_cbranch_execz .LBB95_13
; %bb.10:
	v_mad_u64_u32 v[0:1], s[2:3], v26, 24, 23
	v_mov_b32_e32 v3, 0
	s_mov_b64 s[2:3], 0
	v_mov_b32_e32 v28, v3
	v_mov_b32_e32 v29, v3
	;; [unrolled: 1-line block ×8, first 2 shown]
.LBB95_11:                              ; =>This Inner Loop Header: Depth=1
	v_ashrrev_i32_e32 v27, 31, v26
	v_subrev_u32_e32 v2, 23, v0
	v_add_u32_e32 v6, -11, v0
	v_add_u32_e32 v8, -5, v0
	v_mov_b32_e32 v7, v3
	v_mov_b32_e32 v9, v3
	v_mov_b32_e32 v1, v3
	v_lshl_add_u64 v[18:19], v[26:27], 2, s[6:7]
	v_lshl_add_u64 v[40:41], v[2:3], 3, s[8:9]
	;; [unrolled: 1-line block ×5, first 2 shown]
	global_load_dword v1, v[18:19], off
	global_load_dwordx4 v[6:9], v[40:41], off
	global_load_dwordx4 v[10:13], v[40:41], off offset:48
	global_load_dwordx2 v[52:53], v[42:43], off
	global_load_dwordx4 v[14:17], v[40:41], off offset:16
	global_load_dwordx2 v[54:55], v[46:47], off
	global_load_dwordx4 v[36:39], v[40:41], off offset:32
	v_add_u32_e32 v2, -10, v0
	v_lshl_add_u64 v[18:19], v[2:3], 3, s[8:9]
	v_add_u32_e32 v2, -4, v0
	v_mov_b32_e32 v5, v3
	v_lshl_add_u64 v[40:41], v[2:3], 3, s[8:9]
	global_load_dwordx2 v[18:19], v[18:19], off
	v_add_u32_e32 v26, 8, v26
	global_load_dwordx2 v[56:57], v[40:41], off
	v_cmp_ge_i32_e32 vcc, v26, v44
	s_or_b64 s[2:3], vcc, s[2:3]
	s_waitcnt vmcnt(8)
	v_subrev_u32_e32 v1, s12, v1
	v_mul_lo_u32 v4, v1, 6
	v_lshl_add_u64 v[40:41], v[4:5], 3, s[10:11]
	global_load_dwordx4 v[40:43], v[40:41], off
	v_add_u32_e32 v2, 2, v4
	s_waitcnt vmcnt(8)
	v_xor_b32_e32 v46, 0x80000000, v7
	v_mov_b32_e32 v47, v6
	v_lshl_add_u64 v[72:73], v[2:3], 3, s[10:11]
	v_add_u32_e32 v2, -15, v0
	v_lshl_add_u64 v[74:75], v[2:3], 3, s[8:9]
	v_add_u32_e32 v2, -9, v0
	v_xor_b32_e32 v62, 0x80000000, v9
	v_mov_b32_e32 v63, v8
	s_waitcnt vmcnt(7)
	v_xor_b32_e32 v58, 0x80000000, v11
	v_mov_b32_e32 v59, v10
	v_xor_b32_e32 v64, 0x80000000, v13
	v_mov_b32_e32 v65, v12
	s_waitcnt vmcnt(6)
	v_xor_b32_e32 v60, 0x80000000, v53
	v_mov_b32_e32 v61, v52
	s_waitcnt vmcnt(4)
	;; [unrolled: 3-line block ×5, first 2 shown]
	v_pk_fma_f32 v[6:7], v[6:7], v[40:41], v[34:35] op_sel_hi:[1,0,1]
	s_nop 0
	v_pk_fma_f32 v[6:7], v[46:47], v[40:41], v[6:7] op_sel:[0,1,0]
	global_load_dwordx4 v[46:49], v[72:73], off
	global_load_dwordx2 v[34:35], v[74:75], off
	v_pk_fma_f32 v[8:9], v[8:9], v[42:43], v[6:7] op_sel_hi:[1,0,1]
	v_lshl_add_u64 v[6:7], v[2:3], 3, s[8:9]
	v_add_u32_e32 v2, -3, v0
	global_load_dwordx2 v[72:73], v[6:7], off
	v_lshl_add_u64 v[6:7], v[2:3], 3, s[8:9]
	v_add_u32_e32 v2, -14, v0
	global_load_dwordx2 v[74:75], v[6:7], off
	v_pk_fma_f32 v[6:7], v[10:11], v[40:41], v[32:33] op_sel_hi:[1,0,1]
	v_lshl_add_u64 v[10:11], v[2:3], 3, s[8:9]
	v_pk_fma_f32 v[6:7], v[58:59], v[40:41], v[6:7] op_sel:[0,1,0]
	v_add_u32_e32 v2, -8, v0
	v_pk_fma_f32 v[12:13], v[12:13], v[42:43], v[6:7] op_sel_hi:[1,0,1]
	v_lshl_add_u64 v[6:7], v[2:3], 3, s[8:9]
	v_add_u32_e32 v2, -2, v0
	global_load_dwordx2 v[10:11], v[10:11], off
	v_pk_fma_f32 v[30:31], v[52:53], v[40:41], v[30:31] op_sel_hi:[1,0,1]
	global_load_dwordx2 v[32:33], v[6:7], off
	v_lshl_add_u64 v[6:7], v[2:3], 3, s[8:9]
	v_add_u32_e32 v2, 4, v4
	v_lshl_add_u64 v[4:5], v[2:3], 3, s[10:11]
	v_add_u32_e32 v2, -13, v0
	v_lshl_add_u64 v[52:53], v[2:3], 3, s[8:9]
	v_add_u32_e32 v2, -7, v0
	v_pk_fma_f32 v[28:29], v[54:55], v[40:41], v[28:29] op_sel_hi:[1,0,1]
	v_lshl_add_u64 v[54:55], v[2:3], 3, s[8:9]
	global_load_dwordx2 v[58:59], v[6:7], off
	v_add_u32_e32 v2, -1, v0
	global_load_dwordx2 v[52:53], v[52:53], off
	v_pk_fma_f32 v[30:31], v[60:61], v[40:41], v[30:31] op_sel:[0,1,0]
	global_load_dwordx2 v[54:55], v[54:55], off
	v_pk_fma_f32 v[28:29], v[66:67], v[40:41], v[28:29] op_sel:[0,1,0]
	global_load_dwordx4 v[4:7], v[4:5], off
	v_lshl_add_u64 v[40:41], v[2:3], 3, s[8:9]
	v_add_u32_e32 v2, -12, v0
	v_pk_fma_f32 v[18:19], v[18:19], v[42:43], v[30:31] op_sel_hi:[1,0,1]
	v_lshl_add_u64 v[30:31], v[2:3], 3, s[8:9]
	v_add_u32_e32 v2, -6, v0
	global_load_dwordx2 v[60:61], v[30:31], off
	global_load_dwordx2 v[66:67], v[40:41], off
	v_lshl_add_u64 v[30:31], v[2:3], 3, s[8:9]
	v_pk_fma_f32 v[28:29], v[56:57], v[42:43], v[28:29] op_sel_hi:[1,0,1]
	global_load_dwordx2 v[40:41], v[30:31], off
	global_load_dwordx2 v[56:57], v[50:51], off
	v_mov_b32_e32 v2, v43
	v_pk_fma_f32 v[8:9], v[62:63], v[2:3], v[8:9] op_sel_hi:[1,0,1]
	v_pk_fma_f32 v[12:13], v[64:65], v[2:3], v[12:13] op_sel_hi:[1,0,1]
	;; [unrolled: 1-line block ×4, first 2 shown]
	v_xor_b32_e32 v30, 0x80000000, v17
	v_mov_b32_e32 v31, v16
	v_xor_b32_e32 v42, 0x80000000, v39
	v_mov_b32_e32 v43, v38
	v_add_u32_e32 v0, 0xc0, v0
	s_waitcnt vmcnt(13)
	v_pk_fma_f32 v[8:9], v[14:15], v[46:47], v[8:9] op_sel_hi:[1,0,1]
	s_waitcnt vmcnt(12)
	v_xor_b32_e32 v62, 0x80000000, v35
	v_mov_b32_e32 v63, v34
	v_pk_fma_f32 v[12:13], v[34:35], v[46:47], v[12:13] op_sel_hi:[1,0,1]
	v_pk_fma_f32 v[8:9], v[14:15], v[46:47], v[8:9] op_sel:[1,1,0] op_sel_hi:[0,1,1] neg_lo:[1,0,0]
	s_waitcnt vmcnt(11)
	v_xor_b32_e32 v64, 0x80000000, v73
	v_mov_b32_e32 v65, v72
	v_pk_fma_f32 v[18:19], v[72:73], v[46:47], v[18:19] op_sel_hi:[1,0,1]
	v_mov_b32_e32 v50, v49
	s_waitcnt vmcnt(10)
	v_xor_b32_e32 v34, 0x80000000, v75
	v_pk_fma_f32 v[28:29], v[74:75], v[46:47], v[28:29] op_sel_hi:[1,0,1]
	v_mov_b32_e32 v35, v74
	v_pk_fma_f32 v[12:13], v[62:63], v[46:47], v[12:13] op_sel:[0,1,0]
	v_pk_fma_f32 v[14:15], v[64:65], v[46:47], v[18:19] op_sel:[0,1,0]
	v_pk_fma_f32 v[8:9], v[16:17], v[48:49], v[8:9] op_sel_hi:[1,0,1]
	v_pk_fma_f32 v[28:29], v[34:35], v[46:47], v[28:29] op_sel:[0,1,0]
	s_waitcnt vmcnt(9)
	v_xor_b32_e32 v18, 0x80000000, v11
	v_mov_b32_e32 v19, v10
	v_pk_fma_f32 v[10:11], v[10:11], v[48:49], v[12:13] op_sel_hi:[1,0,1]
	s_waitcnt vmcnt(8)
	v_xor_b32_e32 v12, 0x80000000, v33
	v_pk_fma_f32 v[14:15], v[32:33], v[48:49], v[14:15] op_sel_hi:[1,0,1]
	v_mov_b32_e32 v13, v32
	v_pk_fma_f32 v[8:9], v[30:31], v[50:51], v[8:9] op_sel_hi:[1,0,1]
	v_pk_fma_f32 v[10:11], v[18:19], v[50:51], v[10:11] op_sel_hi:[1,0,1]
	;; [unrolled: 1-line block ×3, first 2 shown]
	s_waitcnt vmcnt(7)
	v_xor_b32_e32 v14, 0x80000000, v59
	v_pk_fma_f32 v[16:17], v[58:59], v[48:49], v[28:29] op_sel_hi:[1,0,1]
	v_mov_b32_e32 v15, v58
	v_pk_fma_f32 v[14:15], v[14:15], v[50:51], v[16:17] op_sel_hi:[1,0,1]
	s_waitcnt vmcnt(6)
	v_xor_b32_e32 v16, 0x80000000, v53
	v_mov_b32_e32 v17, v52
	s_waitcnt vmcnt(4)
	v_pk_fma_f32 v[8:9], v[36:37], v[4:5], v[8:9] op_sel_hi:[1,0,1]
	v_pk_fma_f32 v[10:11], v[52:53], v[4:5], v[10:11] op_sel_hi:[1,0,1]
	v_pk_fma_f32 v[8:9], v[36:37], v[4:5], v[8:9] op_sel:[1,1,0] op_sel_hi:[0,1,1] neg_lo:[1,0,0]
	v_mov_b32_e32 v2, v7
	v_pk_fma_f32 v[8:9], v[38:39], v[6:7], v[8:9] op_sel_hi:[1,0,1]
	v_pk_fma_f32 v[10:11], v[16:17], v[4:5], v[10:11] op_sel:[0,1,0]
	v_xor_b32_e32 v16, 0x80000000, v55
	v_pk_fma_f32 v[12:13], v[54:55], v[4:5], v[12:13] op_sel_hi:[1,0,1]
	v_mov_b32_e32 v17, v54
	v_pk_fma_f32 v[34:35], v[42:43], v[2:3], v[8:9] op_sel_hi:[1,0,1]
	v_pk_fma_f32 v[8:9], v[16:17], v[4:5], v[12:13] op_sel:[0,1,0]
	s_waitcnt vmcnt(2)
	v_xor_b32_e32 v16, 0x80000000, v67
	v_pk_fma_f32 v[14:15], v[66:67], v[4:5], v[14:15] op_sel_hi:[1,0,1]
	v_mov_b32_e32 v17, v66
	v_xor_b32_e32 v12, 0x80000000, v61
	v_pk_fma_f32 v[10:11], v[60:61], v[6:7], v[10:11] op_sel_hi:[1,0,1]
	v_mov_b32_e32 v13, v60
	v_pk_fma_f32 v[4:5], v[16:17], v[4:5], v[14:15] op_sel:[0,1,0]
	v_pk_fma_f32 v[32:33], v[12:13], v[2:3], v[10:11] op_sel_hi:[1,0,1]
	s_waitcnt vmcnt(1)
	v_xor_b32_e32 v10, 0x80000000, v41
	v_pk_fma_f32 v[8:9], v[40:41], v[6:7], v[8:9] op_sel_hi:[1,0,1]
	v_mov_b32_e32 v11, v40
	s_waitcnt vmcnt(0)
	v_xor_b32_e32 v12, 0x80000000, v57
	v_mov_b32_e32 v13, v56
	v_pk_fma_f32 v[4:5], v[56:57], v[6:7], v[4:5] op_sel_hi:[1,0,1]
	v_pk_fma_f32 v[30:31], v[10:11], v[2:3], v[8:9] op_sel_hi:[1,0,1]
	;; [unrolled: 1-line block ×3, first 2 shown]
	s_andn2_b64 exec, exec, s[2:3]
	s_cbranch_execnz .LBB95_11
; %bb.12:
	s_or_b64 exec, exec, s[2:3]
.LBB95_13:
	s_or_b64 exec, exec, s[4:5]
.LBB95_14:
	v_mov_b32_dpp v6, v33 row_shr:1 row_mask:0xf bank_mask:0xf
	v_add_f32_e32 v6, v33, v6
	v_mov_b32_dpp v0, v34 row_shr:1 row_mask:0xf bank_mask:0xf
	v_mov_b32_dpp v2, v35 row_shr:1 row_mask:0xf bank_mask:0xf
	;; [unrolled: 1-line block ×3, first 2 shown]
	v_add_f32_e32 v7, v6, v7
	v_mov_b32_dpp v6, v30 row_shr:1 row_mask:0xf bank_mask:0xf
	v_add_f32_e32 v6, v30, v6
	v_mov_b32_dpp v4, v32 row_shr:1 row_mask:0xf bank_mask:0xf
	;; [unrolled: 2-line block ×4, first 2 shown]
	v_add_f32_e32 v6, v31, v6
	v_add_f32_e32 v2, v35, v2
	v_add_f32_e32 v4, v32, v4
	v_mov_b32_dpp v11, v6 row_shr:2 row_mask:0xf bank_mask:0xf
	v_add_f32_e32 v11, v6, v11
	v_mov_b32_dpp v6, v28 row_shr:1 row_mask:0xf bank_mask:0xf
	v_add_f32_e32 v6, v28, v6
	v_mov_b32_dpp v1, v0 row_shr:2 row_mask:0xf bank_mask:0xf
	v_mov_b32_dpp v3, v2 row_shr:2 row_mask:0xf bank_mask:0xf
	;; [unrolled: 1-line block ×3, first 2 shown]
	v_add_f32_e32 v15, v6, v12
	v_mov_b32_dpp v6, v29 row_shr:1 row_mask:0xf bank_mask:0xf
	v_add_f32_e32 v6, v29, v6
	v_mov_b32_dpp v5, v4 row_shr:2 row_mask:0xf bank_mask:0xf
	;; [unrolled: 2-line block ×3, first 2 shown]
	v_add_f32_e32 v2, v2, v3
	v_add_f32_e32 v4, v4, v5
	;; [unrolled: 1-line block ×3, first 2 shown]
	v_mov_b32_dpp v1, v0 row_shr:4 row_mask:0xf bank_mask:0xe
	v_mov_b32_dpp v3, v2 row_shr:4 row_mask:0xf bank_mask:0xe
	;; [unrolled: 1-line block ×8, first 2 shown]
	v_cmp_eq_u32_e32 vcc, 7, v25
	s_and_b64 exec, exec, vcc
	s_cbranch_execz .LBB95_19
; %bb.15:
	s_load_dwordx2 s[2:3], s[0:1], 0x38
	v_cmp_eq_f32_e32 vcc, 0, v22
	v_cmp_eq_f32_e64 s[0:1], 0, v23
	v_add_f32_e32 v6, v0, v1
	v_add_f32_e32 v14, v2, v3
	;; [unrolled: 1-line block ×8, first 2 shown]
	s_and_b64 s[0:1], vcc, s[0:1]
	s_and_saveexec_b64 s[4:5], s[0:1]
	s_xor_b64 s[0:1], exec, s[4:5]
	s_cbranch_execz .LBB95_17
; %bb.16:
	v_xor_b32_e32 v18, 0x80000000, v21
	v_mov_b32_e32 v19, v20
	v_lshlrev_b32_e32 v16, 2, v24
	v_pk_mul_f32 v[14:15], v[14:15], v[18:19] op_sel_hi:[0,1]
	v_ashrrev_i32_e32 v17, 31, v16
	v_pk_fma_f32 v[14:15], v[20:21], v[6:7], v[14:15] op_sel_hi:[1,0,1]
	v_pk_mul_f32 v[6:7], v[12:13], v[18:19] op_sel_hi:[0,1]
	s_waitcnt lgkmcnt(0)
	v_lshl_add_u64 v[22:23], v[16:17], 3, s[2:3]
	v_pk_fma_f32 v[16:17], v[20:21], v[4:5], v[6:7] op_sel_hi:[1,0,1]
	v_pk_mul_f32 v[4:5], v[10:11], v[18:19] op_sel_hi:[0,1]
	v_pk_fma_f32 v[2:3], v[20:21], v[2:3], v[4:5] op_sel_hi:[1,0,1]
	v_pk_mul_f32 v[4:5], v[8:9], v[18:19] op_sel_hi:[0,1]
	v_pk_fma_f32 v[4:5], v[20:21], v[0:1], v[4:5] op_sel_hi:[1,0,1]
	global_store_dwordx4 v[22:23], v[14:17], off
	global_store_dwordx4 v[22:23], v[2:5], off offset:16
                                        ; implicit-def: $vgpr24
                                        ; implicit-def: $vgpr6
                                        ; implicit-def: $vgpr14
                                        ; implicit-def: $vgpr4
                                        ; implicit-def: $vgpr12
                                        ; implicit-def: $vgpr2
                                        ; implicit-def: $vgpr10
                                        ; implicit-def: $vgpr0
                                        ; implicit-def: $vgpr8
                                        ; implicit-def: $vgpr20_vgpr21
                                        ; implicit-def: $vgpr22_vgpr23
.LBB95_17:
	s_andn2_saveexec_b64 s[0:1], s[0:1]
	s_cbranch_execz .LBB95_19
; %bb.18:
	v_lshlrev_b32_e32 v16, 2, v24
	v_ashrrev_i32_e32 v17, 31, v16
	s_waitcnt lgkmcnt(0)
	v_lshl_add_u64 v[28:29], v[16:17], 3, s[2:3]
	global_load_dwordx4 v[16:19], v[28:29], off
	global_load_dwordx4 v[24:27], v[28:29], off offset:16
	v_xor_b32_e32 v30, 0x80000000, v21
	v_mov_b32_e32 v31, v20
	v_pk_mul_f32 v[14:15], v[14:15], v[30:31] op_sel_hi:[0,1]
	v_pk_mul_f32 v[12:13], v[12:13], v[30:31] op_sel_hi:[0,1]
	;; [unrolled: 1-line block ×4, first 2 shown]
	v_pk_fma_f32 v[6:7], v[20:21], v[6:7], v[14:15] op_sel_hi:[1,0,1]
	v_pk_fma_f32 v[4:5], v[20:21], v[4:5], v[12:13] op_sel_hi:[1,0,1]
	v_xor_b32_e32 v32, 0x80000000, v23
	v_mov_b32_e32 v33, v22
	v_pk_fma_f32 v[2:3], v[20:21], v[2:3], v[10:11] op_sel_hi:[1,0,1]
	v_pk_fma_f32 v[0:1], v[20:21], v[0:1], v[8:9] op_sel_hi:[1,0,1]
	s_waitcnt vmcnt(1)
	v_pk_fma_f32 v[6:7], v[22:23], v[16:17], v[6:7] op_sel_hi:[1,0,1]
	v_pk_fma_f32 v[4:5], v[22:23], v[18:19], v[4:5] op_sel_hi:[1,0,1]
	v_mov_b32_e32 v8, v19
	s_waitcnt vmcnt(0)
	v_pk_fma_f32 v[10:11], v[22:23], v[24:25], v[2:3] op_sel_hi:[1,0,1]
	v_pk_fma_f32 v[12:13], v[22:23], v[26:27], v[0:1] op_sel_hi:[1,0,1]
	v_mov_b32_e32 v14, v27
	v_pk_fma_f32 v[0:1], v[32:33], v[16:17], v[6:7] op_sel:[0,1,0]
	v_pk_fma_f32 v[2:3], v[32:33], v[8:9], v[4:5] op_sel_hi:[1,0,1]
	v_pk_fma_f32 v[4:5], v[32:33], v[24:25], v[10:11] op_sel:[0,1,0]
	v_pk_fma_f32 v[6:7], v[32:33], v[14:15], v[12:13] op_sel_hi:[1,0,1]
	global_store_dwordx4 v[28:29], v[0:3], off
	global_store_dwordx4 v[28:29], v[4:7], off offset:16
.LBB95_19:
	s_endpgm
	.section	.rodata,"a",@progbits
	.p2align	6, 0x0
	.amdhsa_kernel _ZN9rocsparseL19gebsrmvn_4xn_kernelILj128ELj6ELj8E21rocsparse_complex_numIfEEEvi20rocsparse_direction_NS_24const_host_device_scalarIT2_EEPKiS8_PKS5_SA_S6_PS5_21rocsparse_index_base_b
		.amdhsa_group_segment_fixed_size 0
		.amdhsa_private_segment_fixed_size 0
		.amdhsa_kernarg_size 72
		.amdhsa_user_sgpr_count 2
		.amdhsa_user_sgpr_dispatch_ptr 0
		.amdhsa_user_sgpr_queue_ptr 0
		.amdhsa_user_sgpr_kernarg_segment_ptr 1
		.amdhsa_user_sgpr_dispatch_id 0
		.amdhsa_user_sgpr_kernarg_preload_length 0
		.amdhsa_user_sgpr_kernarg_preload_offset 0
		.amdhsa_user_sgpr_private_segment_size 0
		.amdhsa_uses_dynamic_stack 0
		.amdhsa_enable_private_segment 0
		.amdhsa_system_sgpr_workgroup_id_x 1
		.amdhsa_system_sgpr_workgroup_id_y 0
		.amdhsa_system_sgpr_workgroup_id_z 0
		.amdhsa_system_sgpr_workgroup_info 0
		.amdhsa_system_vgpr_workitem_id 0
		.amdhsa_next_free_vgpr 88
		.amdhsa_next_free_sgpr 16
		.amdhsa_accum_offset 88
		.amdhsa_reserve_vcc 1
		.amdhsa_float_round_mode_32 0
		.amdhsa_float_round_mode_16_64 0
		.amdhsa_float_denorm_mode_32 3
		.amdhsa_float_denorm_mode_16_64 3
		.amdhsa_dx10_clamp 1
		.amdhsa_ieee_mode 1
		.amdhsa_fp16_overflow 0
		.amdhsa_tg_split 0
		.amdhsa_exception_fp_ieee_invalid_op 0
		.amdhsa_exception_fp_denorm_src 0
		.amdhsa_exception_fp_ieee_div_zero 0
		.amdhsa_exception_fp_ieee_overflow 0
		.amdhsa_exception_fp_ieee_underflow 0
		.amdhsa_exception_fp_ieee_inexact 0
		.amdhsa_exception_int_div_zero 0
	.end_amdhsa_kernel
	.section	.text._ZN9rocsparseL19gebsrmvn_4xn_kernelILj128ELj6ELj8E21rocsparse_complex_numIfEEEvi20rocsparse_direction_NS_24const_host_device_scalarIT2_EEPKiS8_PKS5_SA_S6_PS5_21rocsparse_index_base_b,"axG",@progbits,_ZN9rocsparseL19gebsrmvn_4xn_kernelILj128ELj6ELj8E21rocsparse_complex_numIfEEEvi20rocsparse_direction_NS_24const_host_device_scalarIT2_EEPKiS8_PKS5_SA_S6_PS5_21rocsparse_index_base_b,comdat
.Lfunc_end95:
	.size	_ZN9rocsparseL19gebsrmvn_4xn_kernelILj128ELj6ELj8E21rocsparse_complex_numIfEEEvi20rocsparse_direction_NS_24const_host_device_scalarIT2_EEPKiS8_PKS5_SA_S6_PS5_21rocsparse_index_base_b, .Lfunc_end95-_ZN9rocsparseL19gebsrmvn_4xn_kernelILj128ELj6ELj8E21rocsparse_complex_numIfEEEvi20rocsparse_direction_NS_24const_host_device_scalarIT2_EEPKiS8_PKS5_SA_S6_PS5_21rocsparse_index_base_b
                                        ; -- End function
	.set _ZN9rocsparseL19gebsrmvn_4xn_kernelILj128ELj6ELj8E21rocsparse_complex_numIfEEEvi20rocsparse_direction_NS_24const_host_device_scalarIT2_EEPKiS8_PKS5_SA_S6_PS5_21rocsparse_index_base_b.num_vgpr, 88
	.set _ZN9rocsparseL19gebsrmvn_4xn_kernelILj128ELj6ELj8E21rocsparse_complex_numIfEEEvi20rocsparse_direction_NS_24const_host_device_scalarIT2_EEPKiS8_PKS5_SA_S6_PS5_21rocsparse_index_base_b.num_agpr, 0
	.set _ZN9rocsparseL19gebsrmvn_4xn_kernelILj128ELj6ELj8E21rocsparse_complex_numIfEEEvi20rocsparse_direction_NS_24const_host_device_scalarIT2_EEPKiS8_PKS5_SA_S6_PS5_21rocsparse_index_base_b.numbered_sgpr, 16
	.set _ZN9rocsparseL19gebsrmvn_4xn_kernelILj128ELj6ELj8E21rocsparse_complex_numIfEEEvi20rocsparse_direction_NS_24const_host_device_scalarIT2_EEPKiS8_PKS5_SA_S6_PS5_21rocsparse_index_base_b.num_named_barrier, 0
	.set _ZN9rocsparseL19gebsrmvn_4xn_kernelILj128ELj6ELj8E21rocsparse_complex_numIfEEEvi20rocsparse_direction_NS_24const_host_device_scalarIT2_EEPKiS8_PKS5_SA_S6_PS5_21rocsparse_index_base_b.private_seg_size, 0
	.set _ZN9rocsparseL19gebsrmvn_4xn_kernelILj128ELj6ELj8E21rocsparse_complex_numIfEEEvi20rocsparse_direction_NS_24const_host_device_scalarIT2_EEPKiS8_PKS5_SA_S6_PS5_21rocsparse_index_base_b.uses_vcc, 1
	.set _ZN9rocsparseL19gebsrmvn_4xn_kernelILj128ELj6ELj8E21rocsparse_complex_numIfEEEvi20rocsparse_direction_NS_24const_host_device_scalarIT2_EEPKiS8_PKS5_SA_S6_PS5_21rocsparse_index_base_b.uses_flat_scratch, 0
	.set _ZN9rocsparseL19gebsrmvn_4xn_kernelILj128ELj6ELj8E21rocsparse_complex_numIfEEEvi20rocsparse_direction_NS_24const_host_device_scalarIT2_EEPKiS8_PKS5_SA_S6_PS5_21rocsparse_index_base_b.has_dyn_sized_stack, 0
	.set _ZN9rocsparseL19gebsrmvn_4xn_kernelILj128ELj6ELj8E21rocsparse_complex_numIfEEEvi20rocsparse_direction_NS_24const_host_device_scalarIT2_EEPKiS8_PKS5_SA_S6_PS5_21rocsparse_index_base_b.has_recursion, 0
	.set _ZN9rocsparseL19gebsrmvn_4xn_kernelILj128ELj6ELj8E21rocsparse_complex_numIfEEEvi20rocsparse_direction_NS_24const_host_device_scalarIT2_EEPKiS8_PKS5_SA_S6_PS5_21rocsparse_index_base_b.has_indirect_call, 0
	.section	.AMDGPU.csdata,"",@progbits
; Kernel info:
; codeLenInByte = 3256
; TotalNumSgprs: 22
; NumVgprs: 88
; NumAgprs: 0
; TotalNumVgprs: 88
; ScratchSize: 0
; MemoryBound: 0
; FloatMode: 240
; IeeeMode: 1
; LDSByteSize: 0 bytes/workgroup (compile time only)
; SGPRBlocks: 2
; VGPRBlocks: 10
; NumSGPRsForWavesPerEU: 22
; NumVGPRsForWavesPerEU: 88
; AccumOffset: 88
; Occupancy: 5
; WaveLimiterHint : 1
; COMPUTE_PGM_RSRC2:SCRATCH_EN: 0
; COMPUTE_PGM_RSRC2:USER_SGPR: 2
; COMPUTE_PGM_RSRC2:TRAP_HANDLER: 0
; COMPUTE_PGM_RSRC2:TGID_X_EN: 1
; COMPUTE_PGM_RSRC2:TGID_Y_EN: 0
; COMPUTE_PGM_RSRC2:TGID_Z_EN: 0
; COMPUTE_PGM_RSRC2:TIDIG_COMP_CNT: 0
; COMPUTE_PGM_RSRC3_GFX90A:ACCUM_OFFSET: 21
; COMPUTE_PGM_RSRC3_GFX90A:TG_SPLIT: 0
	.section	.text._ZN9rocsparseL19gebsrmvn_4xn_kernelILj128ELj6ELj16E21rocsparse_complex_numIfEEEvi20rocsparse_direction_NS_24const_host_device_scalarIT2_EEPKiS8_PKS5_SA_S6_PS5_21rocsparse_index_base_b,"axG",@progbits,_ZN9rocsparseL19gebsrmvn_4xn_kernelILj128ELj6ELj16E21rocsparse_complex_numIfEEEvi20rocsparse_direction_NS_24const_host_device_scalarIT2_EEPKiS8_PKS5_SA_S6_PS5_21rocsparse_index_base_b,comdat
	.globl	_ZN9rocsparseL19gebsrmvn_4xn_kernelILj128ELj6ELj16E21rocsparse_complex_numIfEEEvi20rocsparse_direction_NS_24const_host_device_scalarIT2_EEPKiS8_PKS5_SA_S6_PS5_21rocsparse_index_base_b ; -- Begin function _ZN9rocsparseL19gebsrmvn_4xn_kernelILj128ELj6ELj16E21rocsparse_complex_numIfEEEvi20rocsparse_direction_NS_24const_host_device_scalarIT2_EEPKiS8_PKS5_SA_S6_PS5_21rocsparse_index_base_b
	.p2align	8
	.type	_ZN9rocsparseL19gebsrmvn_4xn_kernelILj128ELj6ELj16E21rocsparse_complex_numIfEEEvi20rocsparse_direction_NS_24const_host_device_scalarIT2_EEPKiS8_PKS5_SA_S6_PS5_21rocsparse_index_base_b,@function
_ZN9rocsparseL19gebsrmvn_4xn_kernelILj128ELj6ELj16E21rocsparse_complex_numIfEEEvi20rocsparse_direction_NS_24const_host_device_scalarIT2_EEPKiS8_PKS5_SA_S6_PS5_21rocsparse_index_base_b: ; @_ZN9rocsparseL19gebsrmvn_4xn_kernelILj128ELj6ELj16E21rocsparse_complex_numIfEEEvi20rocsparse_direction_NS_24const_host_device_scalarIT2_EEPKiS8_PKS5_SA_S6_PS5_21rocsparse_index_base_b
; %bb.0:
	s_load_dwordx2 s[4:5], s[0:1], 0x8
	s_load_dwordx2 s[6:7], s[0:1], 0x30
	;; [unrolled: 1-line block ×3, first 2 shown]
	s_add_u32 s3, s0, 8
	s_addc_u32 s8, s1, 0
	s_add_u32 s9, s0, 48
	s_addc_u32 s10, s1, 0
	s_waitcnt lgkmcnt(0)
	s_bitcmp1_b32 s13, 0
	s_cselect_b32 s3, s3, s4
	s_cselect_b32 s5, s8, s5
	v_mov_b32_e32 v2, s3
	s_cselect_b32 s3, s10, s7
	s_cselect_b32 s4, s9, s6
	v_mov_b32_e32 v3, s5
	v_mov_b32_e32 v4, s4
	;; [unrolled: 1-line block ×3, first 2 shown]
	flat_load_dwordx2 v[20:21], v[2:3]
	flat_load_dwordx2 v[22:23], v[4:5]
	s_waitcnt vmcnt(0) lgkmcnt(0)
	v_cmp_eq_f32_e32 vcc, 0, v20
	v_cmp_eq_f32_e64 s[4:5], 0, v21
	v_cmp_eq_f32_e64 s[6:7], 1.0, v22
	v_cmp_eq_f32_e64 s[8:9], 0, v23
	s_and_b64 s[4:5], vcc, s[4:5]
	s_and_b64 s[6:7], s[6:7], s[8:9]
	s_and_b64 s[4:5], s[4:5], s[6:7]
	s_xor_b64 s[4:5], s[4:5], -1
	s_and_saveexec_b64 s[6:7], s[4:5]
	s_cbranch_execz .LBB96_19
; %bb.1:
	s_load_dwordx2 s[14:15], s[0:1], 0x0
	v_lshrrev_b32_e32 v1, 4, v0
	v_lshl_or_b32 v24, s2, 3, v1
	s_waitcnt lgkmcnt(0)
	v_cmp_gt_i32_e32 vcc, s14, v24
	s_and_b64 exec, exec, vcc
	s_cbranch_execz .LBB96_19
; %bb.2:
	s_load_dwordx8 s[4:11], s[0:1], 0x10
	v_ashrrev_i32_e32 v25, 31, v24
	s_cmp_lg_u32 s15, 0
	s_waitcnt lgkmcnt(0)
	v_lshl_add_u64 v[2:3], v[24:25], 2, s[4:5]
	global_load_dwordx2 v[2:3], v[2:3], off
	v_and_b32_e32 v25, 15, v0
	s_waitcnt vmcnt(0)
	v_subrev_u32_e32 v0, s12, v2
	v_subrev_u32_e32 v44, s12, v3
	v_add_u32_e32 v26, v0, v25
	v_cmp_lt_i32_e64 s[2:3], v26, v44
	s_cbranch_scc0 .LBB96_8
; %bb.3:
	v_mov_b32_e32 v35, 0
	v_mov_b32_e32 v34, v35
	v_mov_b32_e32 v29, v35
	v_mov_b32_e32 v28, v35
	v_mov_b32_e32 v31, v35
	v_mov_b32_e32 v30, v35
	v_mov_b32_e32 v33, v35
	v_mov_b32_e32 v32, v35
	s_and_saveexec_b64 s[4:5], s[2:3]
	s_cbranch_execz .LBB96_7
; %bb.4:
	v_mad_u64_u32 v[36:37], s[14:15], v26, 24, 20
	v_mov_b32_e32 v39, 0
	s_mov_b64 s[14:15], 0
	v_mov_b32_e32 v40, v26
	v_mov_b32_e32 v28, v39
	;; [unrolled: 1-line block ×9, first 2 shown]
.LBB96_5:                               ; =>This Inner Loop Header: Depth=1
	v_ashrrev_i32_e32 v41, 31, v40
	v_subrev_u32_e32 v38, 20, v36
	v_lshl_add_u64 v[0:1], v[40:41], 2, s[6:7]
	v_lshl_add_u64 v[2:3], v[38:39], 3, s[8:9]
	global_load_dword v27, v[0:1], off
	global_load_dwordx4 v[46:49], v[2:3], off
	global_load_dwordx4 v[50:53], v[2:3], off offset:16
	global_load_dwordx4 v[8:11], v[2:3], off offset:32
	;; [unrolled: 1-line block ×3, first 2 shown]
	v_mov_b32_e32 v37, v39
	v_add_u32_e32 v38, -12, v36
	v_mov_b32_e32 v43, v39
	v_lshl_add_u64 v[70:71], v[36:37], 3, s[8:9]
	v_lshl_add_u64 v[54:55], v[38:39], 3, s[8:9]
	global_load_dwordx4 v[0:3], v[70:71], off
	global_load_dwordx4 v[12:15], v[54:55], off offset:16
	global_load_dwordx4 v[16:19], v[54:55], off
	v_add_u32_e32 v40, 16, v40
	v_cmp_ge_i32_e32 vcc, v40, v44
	s_or_b64 s[14:15], vcc, s[14:15]
	s_waitcnt vmcnt(7)
	v_subrev_u32_e32 v27, s12, v27
	v_mul_lo_u32 v42, v27, 6
	v_lshl_add_u64 v[54:55], v[42:43], 3, s[10:11]
	global_load_dwordx4 v[54:57], v[54:55], off
	v_add_u32_e32 v38, 2, v42
	v_lshl_add_u64 v[58:59], v[38:39], 3, s[10:11]
	v_add_u32_e32 v38, -8, v36
	global_load_dwordx4 v[58:61], v[58:59], off
	v_lshl_add_u64 v[80:81], v[38:39], 3, s[8:9]
	v_add_u32_e32 v38, -4, v36
	global_load_dwordx4 v[62:65], v[80:81], off offset:16
	global_load_dwordx4 v[66:69], v[80:81], off
	v_lshl_add_u64 v[82:83], v[38:39], 3, s[8:9]
	v_add_u32_e32 v38, 4, v42
	s_waitcnt vmcnt(10)
	v_xor_b32_e32 v72, 0x80000000, v47
	v_xor_b32_e32 v74, 0x80000000, v49
	v_mov_b32_e32 v73, v46
	v_mov_b32_e32 v75, v48
	v_lshl_add_u64 v[42:43], v[38:39], 3, s[10:11]
	s_waitcnt vmcnt(9)
	v_xor_b32_e32 v76, 0x80000000, v51
	v_xor_b32_e32 v78, 0x80000000, v53
	v_mov_b32_e32 v77, v50
	v_mov_b32_e32 v79, v52
	v_add_u32_e32 v36, 0x180, v36
	s_waitcnt vmcnt(3)
	v_pk_fma_f32 v[80:81], v[46:47], v[54:55], v[34:35] op_sel_hi:[1,0,1]
	v_pk_fma_f32 v[84:85], v[48:49], v[54:55], v[32:33] op_sel_hi:[1,0,1]
	global_load_dwordx4 v[32:35], v[82:83], off offset:16
	global_load_dwordx4 v[46:49], v[82:83], off
	v_pk_fma_f32 v[82:83], v[50:51], v[54:55], v[30:31] op_sel_hi:[1,0,1]
	v_pk_fma_f32 v[86:87], v[52:53], v[54:55], v[28:29] op_sel_hi:[1,0,1]
	global_load_dwordx4 v[28:31], v[42:43], off
	global_load_dwordx4 v[50:53], v[70:71], off offset:16
	v_pk_fma_f32 v[42:43], v[72:73], v[54:55], v[80:81] op_sel:[0,1,0]
	v_pk_fma_f32 v[72:73], v[74:75], v[54:55], v[84:85] op_sel:[0,1,0]
	;; [unrolled: 1-line block ×4, first 2 shown]
	v_xor_b32_e32 v70, 0x80000000, v11
	v_mov_b32_e32 v71, v10
	v_xor_b32_e32 v74, 0x80000000, v7
	v_mov_b32_e32 v75, v6
	v_pk_fma_f32 v[42:43], v[8:9], v[56:57], v[42:43] op_sel_hi:[1,0,1]
	v_pk_fma_f32 v[10:11], v[10:11], v[56:57], v[72:73] op_sel_hi:[1,0,1]
	;; [unrolled: 1-line block ×4, first 2 shown]
	v_mov_b32_e32 v38, v57
	v_pk_fma_f32 v[8:9], v[8:9], v[38:39], v[42:43] op_sel:[1,0,0] op_sel_hi:[0,0,1] neg_lo:[1,0,0]
	v_pk_fma_f32 v[4:5], v[4:5], v[38:39], v[72:73] op_sel:[1,0,0] op_sel_hi:[0,0,1] neg_lo:[1,0,0]
	v_pk_fma_f32 v[10:11], v[70:71], v[38:39], v[10:11] op_sel_hi:[1,0,1]
	v_pk_fma_f32 v[6:7], v[74:75], v[38:39], v[6:7] op_sel_hi:[1,0,1]
	v_xor_b32_e32 v54, 0x80000000, v19
	v_mov_b32_e32 v55, v18
	v_xor_b32_e32 v42, 0x80000000, v15
	v_mov_b32_e32 v43, v14
	s_waitcnt vmcnt(6)
	v_pk_fma_f32 v[8:9], v[16:17], v[58:59], v[8:9] op_sel_hi:[1,0,1]
	v_pk_fma_f32 v[10:11], v[18:19], v[58:59], v[10:11] op_sel_hi:[1,0,1]
	;; [unrolled: 1-line block ×4, first 2 shown]
	v_pk_fma_f32 v[8:9], v[16:17], v[58:59], v[8:9] op_sel:[1,1,0] op_sel_hi:[0,1,1] neg_lo:[1,0,0]
	v_pk_fma_f32 v[4:5], v[12:13], v[58:59], v[4:5] op_sel:[1,1,0] op_sel_hi:[0,1,1] neg_lo:[1,0,0]
	v_pk_fma_f32 v[10:11], v[54:55], v[58:59], v[10:11] op_sel:[0,1,0]
	v_pk_fma_f32 v[6:7], v[42:43], v[58:59], v[6:7] op_sel:[0,1,0]
	v_mov_b32_e32 v56, v61
	s_waitcnt vmcnt(4)
	v_xor_b32_e32 v72, 0x80000000, v69
	v_mov_b32_e32 v73, v68
	v_xor_b32_e32 v76, 0x80000000, v65
	v_mov_b32_e32 v77, v64
	v_pk_fma_f32 v[8:9], v[66:67], v[60:61], v[8:9] op_sel_hi:[1,0,1]
	v_pk_fma_f32 v[10:11], v[68:69], v[60:61], v[10:11] op_sel_hi:[1,0,1]
	;; [unrolled: 1-line block ×4, first 2 shown]
	v_pk_fma_f32 v[8:9], v[66:67], v[56:57], v[8:9] op_sel:[1,0,0] op_sel_hi:[0,0,1] neg_lo:[1,0,0]
	v_pk_fma_f32 v[10:11], v[72:73], v[56:57], v[10:11] op_sel_hi:[1,0,1]
	v_pk_fma_f32 v[4:5], v[62:63], v[56:57], v[4:5] op_sel:[1,0,0] op_sel_hi:[0,0,1] neg_lo:[1,0,0]
	v_pk_fma_f32 v[6:7], v[76:77], v[56:57], v[6:7] op_sel_hi:[1,0,1]
	v_xor_b32_e32 v80, 0x80000000, v3
	v_mov_b32_e32 v81, v2
	s_waitcnt vmcnt(3)
	v_xor_b32_e32 v74, 0x80000000, v35
	s_waitcnt vmcnt(2)
	v_xor_b32_e32 v70, 0x80000000, v49
	v_mov_b32_e32 v71, v48
	v_mov_b32_e32 v75, v34
	s_waitcnt vmcnt(1)
	v_pk_fma_f32 v[8:9], v[46:47], v[28:29], v[8:9] op_sel_hi:[1,0,1]
	v_pk_fma_f32 v[10:11], v[48:49], v[28:29], v[10:11] op_sel_hi:[1,0,1]
	;; [unrolled: 1-line block ×4, first 2 shown]
	v_pk_fma_f32 v[8:9], v[46:47], v[28:29], v[8:9] op_sel:[1,1,0] op_sel_hi:[0,1,1] neg_lo:[1,0,0]
	v_pk_fma_f32 v[10:11], v[70:71], v[28:29], v[10:11] op_sel:[0,1,0]
	v_pk_fma_f32 v[4:5], v[32:33], v[28:29], v[4:5] op_sel:[1,1,0] op_sel_hi:[0,1,1] neg_lo:[1,0,0]
	v_pk_fma_f32 v[6:7], v[74:75], v[28:29], v[6:7] op_sel:[0,1,0]
	s_waitcnt vmcnt(0)
	v_xor_b32_e32 v78, 0x80000000, v53
	v_mov_b32_e32 v79, v52
	v_mov_b32_e32 v14, v31
	v_pk_fma_f32 v[8:9], v[0:1], v[30:31], v[8:9] op_sel_hi:[1,0,1]
	v_pk_fma_f32 v[2:3], v[2:3], v[30:31], v[10:11] op_sel_hi:[1,0,1]
	;; [unrolled: 1-line block ×4, first 2 shown]
	v_pk_fma_f32 v[34:35], v[0:1], v[14:15], v[8:9] op_sel:[1,0,0] op_sel_hi:[0,0,1] neg_lo:[1,0,0]
	v_pk_fma_f32 v[32:33], v[80:81], v[14:15], v[2:3] op_sel_hi:[1,0,1]
	v_pk_fma_f32 v[30:31], v[50:51], v[14:15], v[4:5] op_sel:[1,0,0] op_sel_hi:[0,0,1] neg_lo:[1,0,0]
	v_pk_fma_f32 v[28:29], v[78:79], v[14:15], v[6:7] op_sel_hi:[1,0,1]
	s_andn2_b64 exec, exec, s[14:15]
	s_cbranch_execnz .LBB96_5
; %bb.6:
	s_or_b64 exec, exec, s[14:15]
.LBB96_7:
	s_or_b64 exec, exec, s[4:5]
	s_cbranch_execz .LBB96_9
	s_branch .LBB96_14
.LBB96_8:
                                        ; implicit-def: $vgpr35
                                        ; implicit-def: $vgpr29
                                        ; implicit-def: $vgpr31
                                        ; implicit-def: $vgpr33
.LBB96_9:
	v_mov_b32_e32 v35, 0
	v_mov_b32_e32 v34, v35
	;; [unrolled: 1-line block ×8, first 2 shown]
	s_and_saveexec_b64 s[4:5], s[2:3]
	s_cbranch_execz .LBB96_13
; %bb.10:
	v_mad_u64_u32 v[0:1], s[2:3], v26, 24, 23
	v_mov_b32_e32 v3, 0
	s_mov_b64 s[2:3], 0
	v_mov_b32_e32 v28, v3
	v_mov_b32_e32 v29, v3
	;; [unrolled: 1-line block ×8, first 2 shown]
.LBB96_11:                              ; =>This Inner Loop Header: Depth=1
	v_ashrrev_i32_e32 v27, 31, v26
	v_subrev_u32_e32 v2, 23, v0
	v_add_u32_e32 v6, -11, v0
	v_add_u32_e32 v8, -5, v0
	v_mov_b32_e32 v7, v3
	v_mov_b32_e32 v9, v3
	;; [unrolled: 1-line block ×3, first 2 shown]
	v_lshl_add_u64 v[18:19], v[26:27], 2, s[6:7]
	v_lshl_add_u64 v[40:41], v[2:3], 3, s[8:9]
	;; [unrolled: 1-line block ×5, first 2 shown]
	global_load_dword v1, v[18:19], off
	global_load_dwordx4 v[6:9], v[40:41], off
	global_load_dwordx4 v[10:13], v[40:41], off offset:48
	global_load_dwordx2 v[52:53], v[42:43], off
	global_load_dwordx4 v[14:17], v[40:41], off offset:16
	global_load_dwordx2 v[54:55], v[46:47], off
	global_load_dwordx4 v[36:39], v[40:41], off offset:32
	v_add_u32_e32 v2, -10, v0
	v_lshl_add_u64 v[18:19], v[2:3], 3, s[8:9]
	v_add_u32_e32 v2, -4, v0
	v_mov_b32_e32 v5, v3
	v_lshl_add_u64 v[40:41], v[2:3], 3, s[8:9]
	global_load_dwordx2 v[18:19], v[18:19], off
	v_add_u32_e32 v26, 16, v26
	global_load_dwordx2 v[56:57], v[40:41], off
	v_cmp_ge_i32_e32 vcc, v26, v44
	s_or_b64 s[2:3], vcc, s[2:3]
	s_waitcnt vmcnt(8)
	v_subrev_u32_e32 v1, s12, v1
	v_mul_lo_u32 v4, v1, 6
	v_lshl_add_u64 v[40:41], v[4:5], 3, s[10:11]
	global_load_dwordx4 v[40:43], v[40:41], off
	v_add_u32_e32 v2, 2, v4
	s_waitcnt vmcnt(8)
	v_xor_b32_e32 v46, 0x80000000, v7
	v_mov_b32_e32 v47, v6
	v_lshl_add_u64 v[72:73], v[2:3], 3, s[10:11]
	v_add_u32_e32 v2, -15, v0
	v_lshl_add_u64 v[74:75], v[2:3], 3, s[8:9]
	v_add_u32_e32 v2, -9, v0
	v_xor_b32_e32 v62, 0x80000000, v9
	v_mov_b32_e32 v63, v8
	s_waitcnt vmcnt(7)
	v_xor_b32_e32 v58, 0x80000000, v11
	v_mov_b32_e32 v59, v10
	v_xor_b32_e32 v64, 0x80000000, v13
	v_mov_b32_e32 v65, v12
	s_waitcnt vmcnt(6)
	v_xor_b32_e32 v60, 0x80000000, v53
	v_mov_b32_e32 v61, v52
	s_waitcnt vmcnt(4)
	;; [unrolled: 3-line block ×5, first 2 shown]
	v_pk_fma_f32 v[6:7], v[6:7], v[40:41], v[34:35] op_sel_hi:[1,0,1]
	s_nop 0
	v_pk_fma_f32 v[6:7], v[46:47], v[40:41], v[6:7] op_sel:[0,1,0]
	global_load_dwordx4 v[46:49], v[72:73], off
	global_load_dwordx2 v[34:35], v[74:75], off
	v_pk_fma_f32 v[8:9], v[8:9], v[42:43], v[6:7] op_sel_hi:[1,0,1]
	v_lshl_add_u64 v[6:7], v[2:3], 3, s[8:9]
	v_add_u32_e32 v2, -3, v0
	global_load_dwordx2 v[72:73], v[6:7], off
	v_lshl_add_u64 v[6:7], v[2:3], 3, s[8:9]
	v_add_u32_e32 v2, -14, v0
	global_load_dwordx2 v[74:75], v[6:7], off
	v_pk_fma_f32 v[6:7], v[10:11], v[40:41], v[32:33] op_sel_hi:[1,0,1]
	v_lshl_add_u64 v[10:11], v[2:3], 3, s[8:9]
	v_pk_fma_f32 v[6:7], v[58:59], v[40:41], v[6:7] op_sel:[0,1,0]
	v_add_u32_e32 v2, -8, v0
	v_pk_fma_f32 v[12:13], v[12:13], v[42:43], v[6:7] op_sel_hi:[1,0,1]
	v_lshl_add_u64 v[6:7], v[2:3], 3, s[8:9]
	v_add_u32_e32 v2, -2, v0
	global_load_dwordx2 v[10:11], v[10:11], off
	v_pk_fma_f32 v[30:31], v[52:53], v[40:41], v[30:31] op_sel_hi:[1,0,1]
	global_load_dwordx2 v[32:33], v[6:7], off
	v_lshl_add_u64 v[6:7], v[2:3], 3, s[8:9]
	v_add_u32_e32 v2, 4, v4
	v_lshl_add_u64 v[4:5], v[2:3], 3, s[10:11]
	v_add_u32_e32 v2, -13, v0
	v_lshl_add_u64 v[52:53], v[2:3], 3, s[8:9]
	v_add_u32_e32 v2, -7, v0
	v_pk_fma_f32 v[28:29], v[54:55], v[40:41], v[28:29] op_sel_hi:[1,0,1]
	v_lshl_add_u64 v[54:55], v[2:3], 3, s[8:9]
	global_load_dwordx2 v[58:59], v[6:7], off
	v_add_u32_e32 v2, -1, v0
	global_load_dwordx2 v[52:53], v[52:53], off
	v_pk_fma_f32 v[30:31], v[60:61], v[40:41], v[30:31] op_sel:[0,1,0]
	global_load_dwordx2 v[54:55], v[54:55], off
	v_pk_fma_f32 v[28:29], v[66:67], v[40:41], v[28:29] op_sel:[0,1,0]
	global_load_dwordx4 v[4:7], v[4:5], off
	v_lshl_add_u64 v[40:41], v[2:3], 3, s[8:9]
	v_add_u32_e32 v2, -12, v0
	v_pk_fma_f32 v[18:19], v[18:19], v[42:43], v[30:31] op_sel_hi:[1,0,1]
	v_lshl_add_u64 v[30:31], v[2:3], 3, s[8:9]
	v_add_u32_e32 v2, -6, v0
	global_load_dwordx2 v[60:61], v[30:31], off
	global_load_dwordx2 v[66:67], v[40:41], off
	v_lshl_add_u64 v[30:31], v[2:3], 3, s[8:9]
	v_pk_fma_f32 v[28:29], v[56:57], v[42:43], v[28:29] op_sel_hi:[1,0,1]
	global_load_dwordx2 v[40:41], v[30:31], off
	global_load_dwordx2 v[56:57], v[50:51], off
	v_mov_b32_e32 v2, v43
	v_pk_fma_f32 v[8:9], v[62:63], v[2:3], v[8:9] op_sel_hi:[1,0,1]
	v_pk_fma_f32 v[12:13], v[64:65], v[2:3], v[12:13] op_sel_hi:[1,0,1]
	;; [unrolled: 1-line block ×4, first 2 shown]
	v_xor_b32_e32 v30, 0x80000000, v17
	v_mov_b32_e32 v31, v16
	v_xor_b32_e32 v42, 0x80000000, v39
	v_mov_b32_e32 v43, v38
	v_add_u32_e32 v0, 0x180, v0
	s_waitcnt vmcnt(13)
	v_pk_fma_f32 v[8:9], v[14:15], v[46:47], v[8:9] op_sel_hi:[1,0,1]
	s_waitcnt vmcnt(12)
	v_xor_b32_e32 v62, 0x80000000, v35
	v_mov_b32_e32 v63, v34
	v_pk_fma_f32 v[12:13], v[34:35], v[46:47], v[12:13] op_sel_hi:[1,0,1]
	v_pk_fma_f32 v[8:9], v[14:15], v[46:47], v[8:9] op_sel:[1,1,0] op_sel_hi:[0,1,1] neg_lo:[1,0,0]
	s_waitcnt vmcnt(11)
	v_xor_b32_e32 v64, 0x80000000, v73
	v_mov_b32_e32 v65, v72
	v_pk_fma_f32 v[18:19], v[72:73], v[46:47], v[18:19] op_sel_hi:[1,0,1]
	v_mov_b32_e32 v50, v49
	s_waitcnt vmcnt(10)
	v_xor_b32_e32 v34, 0x80000000, v75
	v_pk_fma_f32 v[28:29], v[74:75], v[46:47], v[28:29] op_sel_hi:[1,0,1]
	v_mov_b32_e32 v35, v74
	v_pk_fma_f32 v[12:13], v[62:63], v[46:47], v[12:13] op_sel:[0,1,0]
	v_pk_fma_f32 v[14:15], v[64:65], v[46:47], v[18:19] op_sel:[0,1,0]
	v_pk_fma_f32 v[8:9], v[16:17], v[48:49], v[8:9] op_sel_hi:[1,0,1]
	v_pk_fma_f32 v[28:29], v[34:35], v[46:47], v[28:29] op_sel:[0,1,0]
	s_waitcnt vmcnt(9)
	v_xor_b32_e32 v18, 0x80000000, v11
	v_mov_b32_e32 v19, v10
	v_pk_fma_f32 v[10:11], v[10:11], v[48:49], v[12:13] op_sel_hi:[1,0,1]
	s_waitcnt vmcnt(8)
	v_xor_b32_e32 v12, 0x80000000, v33
	v_pk_fma_f32 v[14:15], v[32:33], v[48:49], v[14:15] op_sel_hi:[1,0,1]
	v_mov_b32_e32 v13, v32
	v_pk_fma_f32 v[8:9], v[30:31], v[50:51], v[8:9] op_sel_hi:[1,0,1]
	v_pk_fma_f32 v[10:11], v[18:19], v[50:51], v[10:11] op_sel_hi:[1,0,1]
	;; [unrolled: 1-line block ×3, first 2 shown]
	s_waitcnt vmcnt(7)
	v_xor_b32_e32 v14, 0x80000000, v59
	v_pk_fma_f32 v[16:17], v[58:59], v[48:49], v[28:29] op_sel_hi:[1,0,1]
	v_mov_b32_e32 v15, v58
	v_pk_fma_f32 v[14:15], v[14:15], v[50:51], v[16:17] op_sel_hi:[1,0,1]
	s_waitcnt vmcnt(6)
	v_xor_b32_e32 v16, 0x80000000, v53
	v_mov_b32_e32 v17, v52
	s_waitcnt vmcnt(4)
	v_pk_fma_f32 v[8:9], v[36:37], v[4:5], v[8:9] op_sel_hi:[1,0,1]
	v_pk_fma_f32 v[10:11], v[52:53], v[4:5], v[10:11] op_sel_hi:[1,0,1]
	v_pk_fma_f32 v[8:9], v[36:37], v[4:5], v[8:9] op_sel:[1,1,0] op_sel_hi:[0,1,1] neg_lo:[1,0,0]
	v_mov_b32_e32 v2, v7
	v_pk_fma_f32 v[8:9], v[38:39], v[6:7], v[8:9] op_sel_hi:[1,0,1]
	v_pk_fma_f32 v[10:11], v[16:17], v[4:5], v[10:11] op_sel:[0,1,0]
	v_xor_b32_e32 v16, 0x80000000, v55
	v_pk_fma_f32 v[12:13], v[54:55], v[4:5], v[12:13] op_sel_hi:[1,0,1]
	v_mov_b32_e32 v17, v54
	v_pk_fma_f32 v[34:35], v[42:43], v[2:3], v[8:9] op_sel_hi:[1,0,1]
	v_pk_fma_f32 v[8:9], v[16:17], v[4:5], v[12:13] op_sel:[0,1,0]
	s_waitcnt vmcnt(2)
	v_xor_b32_e32 v16, 0x80000000, v67
	v_pk_fma_f32 v[14:15], v[66:67], v[4:5], v[14:15] op_sel_hi:[1,0,1]
	v_mov_b32_e32 v17, v66
	v_xor_b32_e32 v12, 0x80000000, v61
	v_pk_fma_f32 v[10:11], v[60:61], v[6:7], v[10:11] op_sel_hi:[1,0,1]
	v_mov_b32_e32 v13, v60
	v_pk_fma_f32 v[4:5], v[16:17], v[4:5], v[14:15] op_sel:[0,1,0]
	v_pk_fma_f32 v[32:33], v[12:13], v[2:3], v[10:11] op_sel_hi:[1,0,1]
	s_waitcnt vmcnt(1)
	v_xor_b32_e32 v10, 0x80000000, v41
	v_pk_fma_f32 v[8:9], v[40:41], v[6:7], v[8:9] op_sel_hi:[1,0,1]
	v_mov_b32_e32 v11, v40
	s_waitcnt vmcnt(0)
	v_xor_b32_e32 v12, 0x80000000, v57
	v_mov_b32_e32 v13, v56
	v_pk_fma_f32 v[4:5], v[56:57], v[6:7], v[4:5] op_sel_hi:[1,0,1]
	v_pk_fma_f32 v[30:31], v[10:11], v[2:3], v[8:9] op_sel_hi:[1,0,1]
	;; [unrolled: 1-line block ×3, first 2 shown]
	s_andn2_b64 exec, exec, s[2:3]
	s_cbranch_execnz .LBB96_11
; %bb.12:
	s_or_b64 exec, exec, s[2:3]
.LBB96_13:
	s_or_b64 exec, exec, s[4:5]
.LBB96_14:
	v_mov_b32_dpp v6, v33 row_shr:1 row_mask:0xf bank_mask:0xf
	v_add_f32_e32 v6, v33, v6
	v_mov_b32_dpp v0, v34 row_shr:1 row_mask:0xf bank_mask:0xf
	v_mov_b32_dpp v2, v35 row_shr:1 row_mask:0xf bank_mask:0xf
	;; [unrolled: 1-line block ×3, first 2 shown]
	v_add_f32_e32 v6, v6, v7
	v_mov_b32_dpp v4, v32 row_shr:1 row_mask:0xf bank_mask:0xf
	v_add_f32_e32 v0, v34, v0
	v_mov_b32_dpp v7, v6 row_shr:4 row_mask:0xf bank_mask:0xe
	;; [unrolled: 2-line block ×3, first 2 shown]
	v_add_f32_e32 v6, v30, v6
	v_add_f32_e32 v2, v35, v2
	;; [unrolled: 1-line block ×3, first 2 shown]
	v_mov_b32_dpp v9, v6 row_shr:2 row_mask:0xf bank_mask:0xf
	v_add_f32_e32 v6, v6, v9
	v_mov_b32_dpp v1, v0 row_shr:2 row_mask:0xf bank_mask:0xf
	v_mov_b32_dpp v3, v2 row_shr:2 row_mask:0xf bank_mask:0xf
	;; [unrolled: 1-line block ×3, first 2 shown]
	v_add_f32_e32 v9, v6, v9
	v_mov_b32_dpp v6, v31 row_shr:1 row_mask:0xf bank_mask:0xf
	v_add_f32_e32 v6, v31, v6
	v_mov_b32_dpp v5, v4 row_shr:2 row_mask:0xf bank_mask:0xf
	;; [unrolled: 2-line block ×3, first 2 shown]
	v_add_f32_e32 v6, v6, v11
	v_add_f32_e32 v2, v2, v3
	;; [unrolled: 1-line block ×3, first 2 shown]
	v_mov_b32_dpp v11, v6 row_shr:4 row_mask:0xf bank_mask:0xe
	v_add_f32_e32 v11, v6, v11
	v_mov_b32_dpp v6, v28 row_shr:1 row_mask:0xf bank_mask:0xf
	v_add_f32_e32 v6, v28, v6
	v_mov_b32_dpp v1, v0 row_shr:4 row_mask:0xf bank_mask:0xe
	v_mov_b32_dpp v3, v2 row_shr:4 row_mask:0xf bank_mask:0xe
	;; [unrolled: 1-line block ×3, first 2 shown]
	v_add_f32_e32 v6, v6, v12
	v_mov_b32_dpp v5, v4 row_shr:4 row_mask:0xf bank_mask:0xe
	v_add_f32_e32 v0, v0, v1
	v_mov_b32_dpp v12, v6 row_shr:4 row_mask:0xf bank_mask:0xe
	;; [unrolled: 2-line block ×3, first 2 shown]
	v_add_f32_e32 v6, v29, v6
	v_add_f32_e32 v2, v2, v3
	;; [unrolled: 1-line block ×3, first 2 shown]
	v_mov_b32_dpp v12, v6 row_shr:2 row_mask:0xf bank_mask:0xf
	v_add_f32_e32 v6, v6, v12
	v_mov_b32_dpp v1, v0 row_shr:8 row_mask:0xf bank_mask:0xc
	v_mov_b32_dpp v3, v2 row_shr:8 row_mask:0xf bank_mask:0xc
	;; [unrolled: 1-line block ×3, first 2 shown]
	v_add_f32_e32 v17, v6, v12
	v_mov_b32_dpp v5, v4 row_shr:8 row_mask:0xf bank_mask:0xc
	v_mov_b32_dpp v8, v7 row_shr:8 row_mask:0xf bank_mask:0xc
	v_mov_b32_dpp v10, v9 row_shr:8 row_mask:0xf bank_mask:0xc
	v_mov_b32_dpp v13, v11 row_shr:8 row_mask:0xf bank_mask:0xc
	v_mov_b32_dpp v16, v15 row_shr:8 row_mask:0xf bank_mask:0xc
	v_mov_b32_dpp v18, v17 row_shr:8 row_mask:0xf bank_mask:0xc
	v_cmp_eq_u32_e32 vcc, 15, v25
	s_and_b64 exec, exec, vcc
	s_cbranch_execz .LBB96_19
; %bb.15:
	s_load_dwordx2 s[2:3], s[0:1], 0x38
	v_cmp_eq_f32_e32 vcc, 0, v22
	v_cmp_eq_f32_e64 s[0:1], 0, v23
	v_add_f32_e32 v6, v0, v1
	v_add_f32_e32 v14, v2, v3
	;; [unrolled: 1-line block ×8, first 2 shown]
	s_and_b64 s[0:1], vcc, s[0:1]
	s_and_saveexec_b64 s[4:5], s[0:1]
	s_xor_b64 s[0:1], exec, s[4:5]
	s_cbranch_execz .LBB96_17
; %bb.16:
	v_xor_b32_e32 v18, 0x80000000, v21
	v_mov_b32_e32 v19, v20
	v_lshlrev_b32_e32 v16, 2, v24
	v_pk_mul_f32 v[14:15], v[14:15], v[18:19] op_sel_hi:[0,1]
	v_ashrrev_i32_e32 v17, 31, v16
	v_pk_fma_f32 v[14:15], v[20:21], v[6:7], v[14:15] op_sel_hi:[1,0,1]
	v_pk_mul_f32 v[6:7], v[12:13], v[18:19] op_sel_hi:[0,1]
	s_waitcnt lgkmcnt(0)
	v_lshl_add_u64 v[22:23], v[16:17], 3, s[2:3]
	v_pk_fma_f32 v[16:17], v[20:21], v[4:5], v[6:7] op_sel_hi:[1,0,1]
	v_pk_mul_f32 v[4:5], v[10:11], v[18:19] op_sel_hi:[0,1]
	v_pk_fma_f32 v[2:3], v[20:21], v[2:3], v[4:5] op_sel_hi:[1,0,1]
	v_pk_mul_f32 v[4:5], v[8:9], v[18:19] op_sel_hi:[0,1]
	v_pk_fma_f32 v[4:5], v[20:21], v[0:1], v[4:5] op_sel_hi:[1,0,1]
	global_store_dwordx4 v[22:23], v[14:17], off
	global_store_dwordx4 v[22:23], v[2:5], off offset:16
                                        ; implicit-def: $vgpr24
                                        ; implicit-def: $vgpr6
                                        ; implicit-def: $vgpr14
                                        ; implicit-def: $vgpr4
                                        ; implicit-def: $vgpr12
                                        ; implicit-def: $vgpr2
                                        ; implicit-def: $vgpr10
                                        ; implicit-def: $vgpr0
                                        ; implicit-def: $vgpr8
                                        ; implicit-def: $vgpr20_vgpr21
                                        ; implicit-def: $vgpr22_vgpr23
.LBB96_17:
	s_andn2_saveexec_b64 s[0:1], s[0:1]
	s_cbranch_execz .LBB96_19
; %bb.18:
	v_lshlrev_b32_e32 v16, 2, v24
	v_ashrrev_i32_e32 v17, 31, v16
	s_waitcnt lgkmcnt(0)
	v_lshl_add_u64 v[28:29], v[16:17], 3, s[2:3]
	global_load_dwordx4 v[16:19], v[28:29], off
	global_load_dwordx4 v[24:27], v[28:29], off offset:16
	v_xor_b32_e32 v30, 0x80000000, v21
	v_mov_b32_e32 v31, v20
	v_pk_mul_f32 v[14:15], v[14:15], v[30:31] op_sel_hi:[0,1]
	v_pk_mul_f32 v[12:13], v[12:13], v[30:31] op_sel_hi:[0,1]
	;; [unrolled: 1-line block ×4, first 2 shown]
	v_pk_fma_f32 v[6:7], v[20:21], v[6:7], v[14:15] op_sel_hi:[1,0,1]
	v_pk_fma_f32 v[4:5], v[20:21], v[4:5], v[12:13] op_sel_hi:[1,0,1]
	v_xor_b32_e32 v32, 0x80000000, v23
	v_mov_b32_e32 v33, v22
	v_pk_fma_f32 v[2:3], v[20:21], v[2:3], v[10:11] op_sel_hi:[1,0,1]
	v_pk_fma_f32 v[0:1], v[20:21], v[0:1], v[8:9] op_sel_hi:[1,0,1]
	s_waitcnt vmcnt(1)
	v_pk_fma_f32 v[6:7], v[22:23], v[16:17], v[6:7] op_sel_hi:[1,0,1]
	v_pk_fma_f32 v[4:5], v[22:23], v[18:19], v[4:5] op_sel_hi:[1,0,1]
	v_mov_b32_e32 v8, v19
	s_waitcnt vmcnt(0)
	v_pk_fma_f32 v[10:11], v[22:23], v[24:25], v[2:3] op_sel_hi:[1,0,1]
	v_pk_fma_f32 v[12:13], v[22:23], v[26:27], v[0:1] op_sel_hi:[1,0,1]
	v_mov_b32_e32 v14, v27
	v_pk_fma_f32 v[0:1], v[32:33], v[16:17], v[6:7] op_sel:[0,1,0]
	v_pk_fma_f32 v[2:3], v[32:33], v[8:9], v[4:5] op_sel_hi:[1,0,1]
	v_pk_fma_f32 v[4:5], v[32:33], v[24:25], v[10:11] op_sel:[0,1,0]
	v_pk_fma_f32 v[6:7], v[32:33], v[14:15], v[12:13] op_sel_hi:[1,0,1]
	global_store_dwordx4 v[28:29], v[0:3], off
	global_store_dwordx4 v[28:29], v[4:7], off offset:16
.LBB96_19:
	s_endpgm
	.section	.rodata,"a",@progbits
	.p2align	6, 0x0
	.amdhsa_kernel _ZN9rocsparseL19gebsrmvn_4xn_kernelILj128ELj6ELj16E21rocsparse_complex_numIfEEEvi20rocsparse_direction_NS_24const_host_device_scalarIT2_EEPKiS8_PKS5_SA_S6_PS5_21rocsparse_index_base_b
		.amdhsa_group_segment_fixed_size 0
		.amdhsa_private_segment_fixed_size 0
		.amdhsa_kernarg_size 72
		.amdhsa_user_sgpr_count 2
		.amdhsa_user_sgpr_dispatch_ptr 0
		.amdhsa_user_sgpr_queue_ptr 0
		.amdhsa_user_sgpr_kernarg_segment_ptr 1
		.amdhsa_user_sgpr_dispatch_id 0
		.amdhsa_user_sgpr_kernarg_preload_length 0
		.amdhsa_user_sgpr_kernarg_preload_offset 0
		.amdhsa_user_sgpr_private_segment_size 0
		.amdhsa_uses_dynamic_stack 0
		.amdhsa_enable_private_segment 0
		.amdhsa_system_sgpr_workgroup_id_x 1
		.amdhsa_system_sgpr_workgroup_id_y 0
		.amdhsa_system_sgpr_workgroup_id_z 0
		.amdhsa_system_sgpr_workgroup_info 0
		.amdhsa_system_vgpr_workitem_id 0
		.amdhsa_next_free_vgpr 88
		.amdhsa_next_free_sgpr 16
		.amdhsa_accum_offset 88
		.amdhsa_reserve_vcc 1
		.amdhsa_float_round_mode_32 0
		.amdhsa_float_round_mode_16_64 0
		.amdhsa_float_denorm_mode_32 3
		.amdhsa_float_denorm_mode_16_64 3
		.amdhsa_dx10_clamp 1
		.amdhsa_ieee_mode 1
		.amdhsa_fp16_overflow 0
		.amdhsa_tg_split 0
		.amdhsa_exception_fp_ieee_invalid_op 0
		.amdhsa_exception_fp_denorm_src 0
		.amdhsa_exception_fp_ieee_div_zero 0
		.amdhsa_exception_fp_ieee_overflow 0
		.amdhsa_exception_fp_ieee_underflow 0
		.amdhsa_exception_fp_ieee_inexact 0
		.amdhsa_exception_int_div_zero 0
	.end_amdhsa_kernel
	.section	.text._ZN9rocsparseL19gebsrmvn_4xn_kernelILj128ELj6ELj16E21rocsparse_complex_numIfEEEvi20rocsparse_direction_NS_24const_host_device_scalarIT2_EEPKiS8_PKS5_SA_S6_PS5_21rocsparse_index_base_b,"axG",@progbits,_ZN9rocsparseL19gebsrmvn_4xn_kernelILj128ELj6ELj16E21rocsparse_complex_numIfEEEvi20rocsparse_direction_NS_24const_host_device_scalarIT2_EEPKiS8_PKS5_SA_S6_PS5_21rocsparse_index_base_b,comdat
.Lfunc_end96:
	.size	_ZN9rocsparseL19gebsrmvn_4xn_kernelILj128ELj6ELj16E21rocsparse_complex_numIfEEEvi20rocsparse_direction_NS_24const_host_device_scalarIT2_EEPKiS8_PKS5_SA_S6_PS5_21rocsparse_index_base_b, .Lfunc_end96-_ZN9rocsparseL19gebsrmvn_4xn_kernelILj128ELj6ELj16E21rocsparse_complex_numIfEEEvi20rocsparse_direction_NS_24const_host_device_scalarIT2_EEPKiS8_PKS5_SA_S6_PS5_21rocsparse_index_base_b
                                        ; -- End function
	.set _ZN9rocsparseL19gebsrmvn_4xn_kernelILj128ELj6ELj16E21rocsparse_complex_numIfEEEvi20rocsparse_direction_NS_24const_host_device_scalarIT2_EEPKiS8_PKS5_SA_S6_PS5_21rocsparse_index_base_b.num_vgpr, 88
	.set _ZN9rocsparseL19gebsrmvn_4xn_kernelILj128ELj6ELj16E21rocsparse_complex_numIfEEEvi20rocsparse_direction_NS_24const_host_device_scalarIT2_EEPKiS8_PKS5_SA_S6_PS5_21rocsparse_index_base_b.num_agpr, 0
	.set _ZN9rocsparseL19gebsrmvn_4xn_kernelILj128ELj6ELj16E21rocsparse_complex_numIfEEEvi20rocsparse_direction_NS_24const_host_device_scalarIT2_EEPKiS8_PKS5_SA_S6_PS5_21rocsparse_index_base_b.numbered_sgpr, 16
	.set _ZN9rocsparseL19gebsrmvn_4xn_kernelILj128ELj6ELj16E21rocsparse_complex_numIfEEEvi20rocsparse_direction_NS_24const_host_device_scalarIT2_EEPKiS8_PKS5_SA_S6_PS5_21rocsparse_index_base_b.num_named_barrier, 0
	.set _ZN9rocsparseL19gebsrmvn_4xn_kernelILj128ELj6ELj16E21rocsparse_complex_numIfEEEvi20rocsparse_direction_NS_24const_host_device_scalarIT2_EEPKiS8_PKS5_SA_S6_PS5_21rocsparse_index_base_b.private_seg_size, 0
	.set _ZN9rocsparseL19gebsrmvn_4xn_kernelILj128ELj6ELj16E21rocsparse_complex_numIfEEEvi20rocsparse_direction_NS_24const_host_device_scalarIT2_EEPKiS8_PKS5_SA_S6_PS5_21rocsparse_index_base_b.uses_vcc, 1
	.set _ZN9rocsparseL19gebsrmvn_4xn_kernelILj128ELj6ELj16E21rocsparse_complex_numIfEEEvi20rocsparse_direction_NS_24const_host_device_scalarIT2_EEPKiS8_PKS5_SA_S6_PS5_21rocsparse_index_base_b.uses_flat_scratch, 0
	.set _ZN9rocsparseL19gebsrmvn_4xn_kernelILj128ELj6ELj16E21rocsparse_complex_numIfEEEvi20rocsparse_direction_NS_24const_host_device_scalarIT2_EEPKiS8_PKS5_SA_S6_PS5_21rocsparse_index_base_b.has_dyn_sized_stack, 0
	.set _ZN9rocsparseL19gebsrmvn_4xn_kernelILj128ELj6ELj16E21rocsparse_complex_numIfEEEvi20rocsparse_direction_NS_24const_host_device_scalarIT2_EEPKiS8_PKS5_SA_S6_PS5_21rocsparse_index_base_b.has_recursion, 0
	.set _ZN9rocsparseL19gebsrmvn_4xn_kernelILj128ELj6ELj16E21rocsparse_complex_numIfEEEvi20rocsparse_direction_NS_24const_host_device_scalarIT2_EEPKiS8_PKS5_SA_S6_PS5_21rocsparse_index_base_b.has_indirect_call, 0
	.section	.AMDGPU.csdata,"",@progbits
; Kernel info:
; codeLenInByte = 3352
; TotalNumSgprs: 22
; NumVgprs: 88
; NumAgprs: 0
; TotalNumVgprs: 88
; ScratchSize: 0
; MemoryBound: 0
; FloatMode: 240
; IeeeMode: 1
; LDSByteSize: 0 bytes/workgroup (compile time only)
; SGPRBlocks: 2
; VGPRBlocks: 10
; NumSGPRsForWavesPerEU: 22
; NumVGPRsForWavesPerEU: 88
; AccumOffset: 88
; Occupancy: 5
; WaveLimiterHint : 1
; COMPUTE_PGM_RSRC2:SCRATCH_EN: 0
; COMPUTE_PGM_RSRC2:USER_SGPR: 2
; COMPUTE_PGM_RSRC2:TRAP_HANDLER: 0
; COMPUTE_PGM_RSRC2:TGID_X_EN: 1
; COMPUTE_PGM_RSRC2:TGID_Y_EN: 0
; COMPUTE_PGM_RSRC2:TGID_Z_EN: 0
; COMPUTE_PGM_RSRC2:TIDIG_COMP_CNT: 0
; COMPUTE_PGM_RSRC3_GFX90A:ACCUM_OFFSET: 21
; COMPUTE_PGM_RSRC3_GFX90A:TG_SPLIT: 0
	.section	.text._ZN9rocsparseL19gebsrmvn_4xn_kernelILj128ELj6ELj32E21rocsparse_complex_numIfEEEvi20rocsparse_direction_NS_24const_host_device_scalarIT2_EEPKiS8_PKS5_SA_S6_PS5_21rocsparse_index_base_b,"axG",@progbits,_ZN9rocsparseL19gebsrmvn_4xn_kernelILj128ELj6ELj32E21rocsparse_complex_numIfEEEvi20rocsparse_direction_NS_24const_host_device_scalarIT2_EEPKiS8_PKS5_SA_S6_PS5_21rocsparse_index_base_b,comdat
	.globl	_ZN9rocsparseL19gebsrmvn_4xn_kernelILj128ELj6ELj32E21rocsparse_complex_numIfEEEvi20rocsparse_direction_NS_24const_host_device_scalarIT2_EEPKiS8_PKS5_SA_S6_PS5_21rocsparse_index_base_b ; -- Begin function _ZN9rocsparseL19gebsrmvn_4xn_kernelILj128ELj6ELj32E21rocsparse_complex_numIfEEEvi20rocsparse_direction_NS_24const_host_device_scalarIT2_EEPKiS8_PKS5_SA_S6_PS5_21rocsparse_index_base_b
	.p2align	8
	.type	_ZN9rocsparseL19gebsrmvn_4xn_kernelILj128ELj6ELj32E21rocsparse_complex_numIfEEEvi20rocsparse_direction_NS_24const_host_device_scalarIT2_EEPKiS8_PKS5_SA_S6_PS5_21rocsparse_index_base_b,@function
_ZN9rocsparseL19gebsrmvn_4xn_kernelILj128ELj6ELj32E21rocsparse_complex_numIfEEEvi20rocsparse_direction_NS_24const_host_device_scalarIT2_EEPKiS8_PKS5_SA_S6_PS5_21rocsparse_index_base_b: ; @_ZN9rocsparseL19gebsrmvn_4xn_kernelILj128ELj6ELj32E21rocsparse_complex_numIfEEEvi20rocsparse_direction_NS_24const_host_device_scalarIT2_EEPKiS8_PKS5_SA_S6_PS5_21rocsparse_index_base_b
; %bb.0:
	s_load_dwordx2 s[4:5], s[0:1], 0x8
	s_load_dwordx2 s[6:7], s[0:1], 0x30
	s_load_dwordx2 s[12:13], s[0:1], 0x40
	s_add_u32 s3, s0, 8
	s_addc_u32 s8, s1, 0
	s_add_u32 s9, s0, 48
	s_addc_u32 s10, s1, 0
	s_waitcnt lgkmcnt(0)
	s_bitcmp1_b32 s13, 0
	s_cselect_b32 s3, s3, s4
	s_cselect_b32 s5, s8, s5
	v_mov_b32_e32 v2, s3
	s_cselect_b32 s3, s10, s7
	s_cselect_b32 s4, s9, s6
	v_mov_b32_e32 v3, s5
	v_mov_b32_e32 v4, s4
	;; [unrolled: 1-line block ×3, first 2 shown]
	flat_load_dwordx2 v[20:21], v[2:3]
	flat_load_dwordx2 v[22:23], v[4:5]
	s_waitcnt vmcnt(0) lgkmcnt(0)
	v_cmp_eq_f32_e32 vcc, 0, v20
	v_cmp_eq_f32_e64 s[4:5], 0, v21
	v_cmp_eq_f32_e64 s[6:7], 1.0, v22
	v_cmp_eq_f32_e64 s[8:9], 0, v23
	s_and_b64 s[4:5], vcc, s[4:5]
	s_and_b64 s[6:7], s[6:7], s[8:9]
	s_and_b64 s[4:5], s[4:5], s[6:7]
	s_xor_b64 s[4:5], s[4:5], -1
	s_and_saveexec_b64 s[6:7], s[4:5]
	s_cbranch_execz .LBB97_19
; %bb.1:
	s_load_dwordx2 s[14:15], s[0:1], 0x0
	v_lshrrev_b32_e32 v1, 5, v0
	v_lshl_or_b32 v24, s2, 2, v1
	s_waitcnt lgkmcnt(0)
	v_cmp_gt_i32_e32 vcc, s14, v24
	s_and_b64 exec, exec, vcc
	s_cbranch_execz .LBB97_19
; %bb.2:
	s_load_dwordx8 s[4:11], s[0:1], 0x10
	v_ashrrev_i32_e32 v25, 31, v24
	s_cmp_lg_u32 s15, 0
	s_waitcnt lgkmcnt(0)
	v_lshl_add_u64 v[2:3], v[24:25], 2, s[4:5]
	global_load_dwordx2 v[2:3], v[2:3], off
	v_and_b32_e32 v25, 31, v0
	s_waitcnt vmcnt(0)
	v_subrev_u32_e32 v0, s12, v2
	v_subrev_u32_e32 v44, s12, v3
	v_add_u32_e32 v26, v0, v25
	v_cmp_lt_i32_e64 s[2:3], v26, v44
	s_cbranch_scc0 .LBB97_8
; %bb.3:
	v_mov_b32_e32 v35, 0
	v_mov_b32_e32 v34, v35
	;; [unrolled: 1-line block ×8, first 2 shown]
	s_and_saveexec_b64 s[4:5], s[2:3]
	s_cbranch_execz .LBB97_7
; %bb.4:
	v_mad_u64_u32 v[36:37], s[14:15], v26, 24, 20
	v_mov_b32_e32 v39, 0
	s_mov_b64 s[14:15], 0
	v_mov_b32_e32 v40, v26
	v_mov_b32_e32 v28, v39
	;; [unrolled: 1-line block ×9, first 2 shown]
.LBB97_5:                               ; =>This Inner Loop Header: Depth=1
	v_ashrrev_i32_e32 v41, 31, v40
	v_subrev_u32_e32 v38, 20, v36
	v_lshl_add_u64 v[0:1], v[40:41], 2, s[6:7]
	v_lshl_add_u64 v[2:3], v[38:39], 3, s[8:9]
	global_load_dword v27, v[0:1], off
	global_load_dwordx4 v[46:49], v[2:3], off
	global_load_dwordx4 v[50:53], v[2:3], off offset:16
	global_load_dwordx4 v[8:11], v[2:3], off offset:32
	;; [unrolled: 1-line block ×3, first 2 shown]
	v_mov_b32_e32 v37, v39
	v_add_u32_e32 v38, -12, v36
	v_mov_b32_e32 v43, v39
	v_lshl_add_u64 v[70:71], v[36:37], 3, s[8:9]
	v_lshl_add_u64 v[54:55], v[38:39], 3, s[8:9]
	global_load_dwordx4 v[0:3], v[70:71], off
	global_load_dwordx4 v[12:15], v[54:55], off offset:16
	global_load_dwordx4 v[16:19], v[54:55], off
	v_add_u32_e32 v40, 32, v40
	v_cmp_ge_i32_e32 vcc, v40, v44
	s_or_b64 s[14:15], vcc, s[14:15]
	s_waitcnt vmcnt(7)
	v_subrev_u32_e32 v27, s12, v27
	v_mul_lo_u32 v42, v27, 6
	v_lshl_add_u64 v[54:55], v[42:43], 3, s[10:11]
	global_load_dwordx4 v[54:57], v[54:55], off
	v_add_u32_e32 v38, 2, v42
	v_lshl_add_u64 v[58:59], v[38:39], 3, s[10:11]
	v_add_u32_e32 v38, -8, v36
	global_load_dwordx4 v[58:61], v[58:59], off
	v_lshl_add_u64 v[80:81], v[38:39], 3, s[8:9]
	v_add_u32_e32 v38, -4, v36
	global_load_dwordx4 v[62:65], v[80:81], off offset:16
	global_load_dwordx4 v[66:69], v[80:81], off
	v_lshl_add_u64 v[82:83], v[38:39], 3, s[8:9]
	v_add_u32_e32 v38, 4, v42
	s_waitcnt vmcnt(10)
	v_xor_b32_e32 v72, 0x80000000, v47
	v_xor_b32_e32 v74, 0x80000000, v49
	v_mov_b32_e32 v73, v46
	v_mov_b32_e32 v75, v48
	v_lshl_add_u64 v[42:43], v[38:39], 3, s[10:11]
	s_waitcnt vmcnt(9)
	v_xor_b32_e32 v76, 0x80000000, v51
	v_xor_b32_e32 v78, 0x80000000, v53
	v_mov_b32_e32 v77, v50
	v_mov_b32_e32 v79, v52
	v_add_u32_e32 v36, 0x300, v36
	s_waitcnt vmcnt(3)
	v_pk_fma_f32 v[80:81], v[46:47], v[54:55], v[34:35] op_sel_hi:[1,0,1]
	v_pk_fma_f32 v[84:85], v[48:49], v[54:55], v[32:33] op_sel_hi:[1,0,1]
	global_load_dwordx4 v[32:35], v[82:83], off offset:16
	global_load_dwordx4 v[46:49], v[82:83], off
	v_pk_fma_f32 v[82:83], v[50:51], v[54:55], v[30:31] op_sel_hi:[1,0,1]
	v_pk_fma_f32 v[86:87], v[52:53], v[54:55], v[28:29] op_sel_hi:[1,0,1]
	global_load_dwordx4 v[28:31], v[42:43], off
	global_load_dwordx4 v[50:53], v[70:71], off offset:16
	v_pk_fma_f32 v[42:43], v[72:73], v[54:55], v[80:81] op_sel:[0,1,0]
	v_pk_fma_f32 v[72:73], v[74:75], v[54:55], v[84:85] op_sel:[0,1,0]
	v_pk_fma_f32 v[76:77], v[76:77], v[54:55], v[82:83] op_sel:[0,1,0]
	v_pk_fma_f32 v[54:55], v[78:79], v[54:55], v[86:87] op_sel:[0,1,0]
	v_xor_b32_e32 v70, 0x80000000, v11
	v_mov_b32_e32 v71, v10
	v_xor_b32_e32 v74, 0x80000000, v7
	v_mov_b32_e32 v75, v6
	v_pk_fma_f32 v[42:43], v[8:9], v[56:57], v[42:43] op_sel_hi:[1,0,1]
	v_pk_fma_f32 v[10:11], v[10:11], v[56:57], v[72:73] op_sel_hi:[1,0,1]
	;; [unrolled: 1-line block ×4, first 2 shown]
	v_mov_b32_e32 v38, v57
	v_pk_fma_f32 v[8:9], v[8:9], v[38:39], v[42:43] op_sel:[1,0,0] op_sel_hi:[0,0,1] neg_lo:[1,0,0]
	v_pk_fma_f32 v[4:5], v[4:5], v[38:39], v[72:73] op_sel:[1,0,0] op_sel_hi:[0,0,1] neg_lo:[1,0,0]
	v_pk_fma_f32 v[10:11], v[70:71], v[38:39], v[10:11] op_sel_hi:[1,0,1]
	v_pk_fma_f32 v[6:7], v[74:75], v[38:39], v[6:7] op_sel_hi:[1,0,1]
	v_xor_b32_e32 v54, 0x80000000, v19
	v_mov_b32_e32 v55, v18
	v_xor_b32_e32 v42, 0x80000000, v15
	v_mov_b32_e32 v43, v14
	s_waitcnt vmcnt(6)
	v_pk_fma_f32 v[8:9], v[16:17], v[58:59], v[8:9] op_sel_hi:[1,0,1]
	v_pk_fma_f32 v[10:11], v[18:19], v[58:59], v[10:11] op_sel_hi:[1,0,1]
	;; [unrolled: 1-line block ×4, first 2 shown]
	v_pk_fma_f32 v[8:9], v[16:17], v[58:59], v[8:9] op_sel:[1,1,0] op_sel_hi:[0,1,1] neg_lo:[1,0,0]
	v_pk_fma_f32 v[4:5], v[12:13], v[58:59], v[4:5] op_sel:[1,1,0] op_sel_hi:[0,1,1] neg_lo:[1,0,0]
	v_pk_fma_f32 v[10:11], v[54:55], v[58:59], v[10:11] op_sel:[0,1,0]
	v_pk_fma_f32 v[6:7], v[42:43], v[58:59], v[6:7] op_sel:[0,1,0]
	v_mov_b32_e32 v56, v61
	s_waitcnt vmcnt(4)
	v_xor_b32_e32 v72, 0x80000000, v69
	v_mov_b32_e32 v73, v68
	v_xor_b32_e32 v76, 0x80000000, v65
	v_mov_b32_e32 v77, v64
	v_pk_fma_f32 v[8:9], v[66:67], v[60:61], v[8:9] op_sel_hi:[1,0,1]
	v_pk_fma_f32 v[10:11], v[68:69], v[60:61], v[10:11] op_sel_hi:[1,0,1]
	;; [unrolled: 1-line block ×4, first 2 shown]
	v_pk_fma_f32 v[8:9], v[66:67], v[56:57], v[8:9] op_sel:[1,0,0] op_sel_hi:[0,0,1] neg_lo:[1,0,0]
	v_pk_fma_f32 v[10:11], v[72:73], v[56:57], v[10:11] op_sel_hi:[1,0,1]
	v_pk_fma_f32 v[4:5], v[62:63], v[56:57], v[4:5] op_sel:[1,0,0] op_sel_hi:[0,0,1] neg_lo:[1,0,0]
	v_pk_fma_f32 v[6:7], v[76:77], v[56:57], v[6:7] op_sel_hi:[1,0,1]
	v_xor_b32_e32 v80, 0x80000000, v3
	v_mov_b32_e32 v81, v2
	s_waitcnt vmcnt(3)
	v_xor_b32_e32 v74, 0x80000000, v35
	s_waitcnt vmcnt(2)
	v_xor_b32_e32 v70, 0x80000000, v49
	v_mov_b32_e32 v71, v48
	v_mov_b32_e32 v75, v34
	s_waitcnt vmcnt(1)
	v_pk_fma_f32 v[8:9], v[46:47], v[28:29], v[8:9] op_sel_hi:[1,0,1]
	v_pk_fma_f32 v[10:11], v[48:49], v[28:29], v[10:11] op_sel_hi:[1,0,1]
	;; [unrolled: 1-line block ×4, first 2 shown]
	v_pk_fma_f32 v[8:9], v[46:47], v[28:29], v[8:9] op_sel:[1,1,0] op_sel_hi:[0,1,1] neg_lo:[1,0,0]
	v_pk_fma_f32 v[10:11], v[70:71], v[28:29], v[10:11] op_sel:[0,1,0]
	v_pk_fma_f32 v[4:5], v[32:33], v[28:29], v[4:5] op_sel:[1,1,0] op_sel_hi:[0,1,1] neg_lo:[1,0,0]
	v_pk_fma_f32 v[6:7], v[74:75], v[28:29], v[6:7] op_sel:[0,1,0]
	s_waitcnt vmcnt(0)
	v_xor_b32_e32 v78, 0x80000000, v53
	v_mov_b32_e32 v79, v52
	v_mov_b32_e32 v14, v31
	v_pk_fma_f32 v[8:9], v[0:1], v[30:31], v[8:9] op_sel_hi:[1,0,1]
	v_pk_fma_f32 v[2:3], v[2:3], v[30:31], v[10:11] op_sel_hi:[1,0,1]
	;; [unrolled: 1-line block ×4, first 2 shown]
	v_pk_fma_f32 v[34:35], v[0:1], v[14:15], v[8:9] op_sel:[1,0,0] op_sel_hi:[0,0,1] neg_lo:[1,0,0]
	v_pk_fma_f32 v[32:33], v[80:81], v[14:15], v[2:3] op_sel_hi:[1,0,1]
	v_pk_fma_f32 v[30:31], v[50:51], v[14:15], v[4:5] op_sel:[1,0,0] op_sel_hi:[0,0,1] neg_lo:[1,0,0]
	v_pk_fma_f32 v[28:29], v[78:79], v[14:15], v[6:7] op_sel_hi:[1,0,1]
	s_andn2_b64 exec, exec, s[14:15]
	s_cbranch_execnz .LBB97_5
; %bb.6:
	s_or_b64 exec, exec, s[14:15]
.LBB97_7:
	s_or_b64 exec, exec, s[4:5]
	s_cbranch_execz .LBB97_9
	s_branch .LBB97_14
.LBB97_8:
                                        ; implicit-def: $vgpr35
                                        ; implicit-def: $vgpr29
                                        ; implicit-def: $vgpr31
                                        ; implicit-def: $vgpr33
.LBB97_9:
	v_mov_b32_e32 v35, 0
	v_mov_b32_e32 v34, v35
	;; [unrolled: 1-line block ×8, first 2 shown]
	s_and_saveexec_b64 s[4:5], s[2:3]
	s_cbranch_execz .LBB97_13
; %bb.10:
	v_mad_u64_u32 v[0:1], s[2:3], v26, 24, 23
	v_mov_b32_e32 v3, 0
	s_mov_b64 s[2:3], 0
	v_mov_b32_e32 v28, v3
	v_mov_b32_e32 v29, v3
	;; [unrolled: 1-line block ×8, first 2 shown]
.LBB97_11:                              ; =>This Inner Loop Header: Depth=1
	v_ashrrev_i32_e32 v27, 31, v26
	v_subrev_u32_e32 v2, 23, v0
	v_add_u32_e32 v6, -11, v0
	v_add_u32_e32 v8, -5, v0
	v_mov_b32_e32 v7, v3
	v_mov_b32_e32 v9, v3
	;; [unrolled: 1-line block ×3, first 2 shown]
	v_lshl_add_u64 v[18:19], v[26:27], 2, s[6:7]
	v_lshl_add_u64 v[40:41], v[2:3], 3, s[8:9]
	v_lshl_add_u64 v[42:43], v[6:7], 3, s[8:9]
	v_lshl_add_u64 v[46:47], v[8:9], 3, s[8:9]
	v_lshl_add_u64 v[50:51], v[0:1], 3, s[8:9]
	global_load_dword v1, v[18:19], off
	global_load_dwordx4 v[6:9], v[40:41], off
	global_load_dwordx4 v[10:13], v[40:41], off offset:48
	global_load_dwordx2 v[52:53], v[42:43], off
	global_load_dwordx4 v[14:17], v[40:41], off offset:16
	global_load_dwordx2 v[54:55], v[46:47], off
	global_load_dwordx4 v[36:39], v[40:41], off offset:32
	v_add_u32_e32 v2, -10, v0
	v_lshl_add_u64 v[18:19], v[2:3], 3, s[8:9]
	v_add_u32_e32 v2, -4, v0
	v_mov_b32_e32 v5, v3
	v_lshl_add_u64 v[40:41], v[2:3], 3, s[8:9]
	global_load_dwordx2 v[18:19], v[18:19], off
	v_add_u32_e32 v26, 32, v26
	global_load_dwordx2 v[56:57], v[40:41], off
	v_cmp_ge_i32_e32 vcc, v26, v44
	s_or_b64 s[2:3], vcc, s[2:3]
	s_waitcnt vmcnt(8)
	v_subrev_u32_e32 v1, s12, v1
	v_mul_lo_u32 v4, v1, 6
	v_lshl_add_u64 v[40:41], v[4:5], 3, s[10:11]
	global_load_dwordx4 v[40:43], v[40:41], off
	v_add_u32_e32 v2, 2, v4
	s_waitcnt vmcnt(8)
	v_xor_b32_e32 v46, 0x80000000, v7
	v_mov_b32_e32 v47, v6
	v_lshl_add_u64 v[72:73], v[2:3], 3, s[10:11]
	v_add_u32_e32 v2, -15, v0
	v_lshl_add_u64 v[74:75], v[2:3], 3, s[8:9]
	v_add_u32_e32 v2, -9, v0
	v_xor_b32_e32 v62, 0x80000000, v9
	v_mov_b32_e32 v63, v8
	s_waitcnt vmcnt(7)
	v_xor_b32_e32 v58, 0x80000000, v11
	v_mov_b32_e32 v59, v10
	v_xor_b32_e32 v64, 0x80000000, v13
	v_mov_b32_e32 v65, v12
	s_waitcnt vmcnt(6)
	v_xor_b32_e32 v60, 0x80000000, v53
	v_mov_b32_e32 v61, v52
	s_waitcnt vmcnt(4)
	;; [unrolled: 3-line block ×5, first 2 shown]
	v_pk_fma_f32 v[6:7], v[6:7], v[40:41], v[34:35] op_sel_hi:[1,0,1]
	s_nop 0
	v_pk_fma_f32 v[6:7], v[46:47], v[40:41], v[6:7] op_sel:[0,1,0]
	global_load_dwordx4 v[46:49], v[72:73], off
	global_load_dwordx2 v[34:35], v[74:75], off
	v_pk_fma_f32 v[8:9], v[8:9], v[42:43], v[6:7] op_sel_hi:[1,0,1]
	v_lshl_add_u64 v[6:7], v[2:3], 3, s[8:9]
	v_add_u32_e32 v2, -3, v0
	global_load_dwordx2 v[72:73], v[6:7], off
	v_lshl_add_u64 v[6:7], v[2:3], 3, s[8:9]
	v_add_u32_e32 v2, -14, v0
	global_load_dwordx2 v[74:75], v[6:7], off
	v_pk_fma_f32 v[6:7], v[10:11], v[40:41], v[32:33] op_sel_hi:[1,0,1]
	v_lshl_add_u64 v[10:11], v[2:3], 3, s[8:9]
	v_pk_fma_f32 v[6:7], v[58:59], v[40:41], v[6:7] op_sel:[0,1,0]
	v_add_u32_e32 v2, -8, v0
	v_pk_fma_f32 v[12:13], v[12:13], v[42:43], v[6:7] op_sel_hi:[1,0,1]
	v_lshl_add_u64 v[6:7], v[2:3], 3, s[8:9]
	v_add_u32_e32 v2, -2, v0
	global_load_dwordx2 v[10:11], v[10:11], off
	v_pk_fma_f32 v[30:31], v[52:53], v[40:41], v[30:31] op_sel_hi:[1,0,1]
	global_load_dwordx2 v[32:33], v[6:7], off
	v_lshl_add_u64 v[6:7], v[2:3], 3, s[8:9]
	v_add_u32_e32 v2, 4, v4
	v_lshl_add_u64 v[4:5], v[2:3], 3, s[10:11]
	v_add_u32_e32 v2, -13, v0
	v_lshl_add_u64 v[52:53], v[2:3], 3, s[8:9]
	v_add_u32_e32 v2, -7, v0
	v_pk_fma_f32 v[28:29], v[54:55], v[40:41], v[28:29] op_sel_hi:[1,0,1]
	v_lshl_add_u64 v[54:55], v[2:3], 3, s[8:9]
	global_load_dwordx2 v[58:59], v[6:7], off
	v_add_u32_e32 v2, -1, v0
	global_load_dwordx2 v[52:53], v[52:53], off
	v_pk_fma_f32 v[30:31], v[60:61], v[40:41], v[30:31] op_sel:[0,1,0]
	global_load_dwordx2 v[54:55], v[54:55], off
	v_pk_fma_f32 v[28:29], v[66:67], v[40:41], v[28:29] op_sel:[0,1,0]
	global_load_dwordx4 v[4:7], v[4:5], off
	v_lshl_add_u64 v[40:41], v[2:3], 3, s[8:9]
	v_add_u32_e32 v2, -12, v0
	v_pk_fma_f32 v[18:19], v[18:19], v[42:43], v[30:31] op_sel_hi:[1,0,1]
	v_lshl_add_u64 v[30:31], v[2:3], 3, s[8:9]
	v_add_u32_e32 v2, -6, v0
	global_load_dwordx2 v[60:61], v[30:31], off
	global_load_dwordx2 v[66:67], v[40:41], off
	v_lshl_add_u64 v[30:31], v[2:3], 3, s[8:9]
	v_pk_fma_f32 v[28:29], v[56:57], v[42:43], v[28:29] op_sel_hi:[1,0,1]
	global_load_dwordx2 v[40:41], v[30:31], off
	global_load_dwordx2 v[56:57], v[50:51], off
	v_mov_b32_e32 v2, v43
	v_pk_fma_f32 v[8:9], v[62:63], v[2:3], v[8:9] op_sel_hi:[1,0,1]
	v_pk_fma_f32 v[12:13], v[64:65], v[2:3], v[12:13] op_sel_hi:[1,0,1]
	;; [unrolled: 1-line block ×4, first 2 shown]
	v_xor_b32_e32 v30, 0x80000000, v17
	v_mov_b32_e32 v31, v16
	v_xor_b32_e32 v42, 0x80000000, v39
	v_mov_b32_e32 v43, v38
	v_add_u32_e32 v0, 0x300, v0
	s_waitcnt vmcnt(13)
	v_pk_fma_f32 v[8:9], v[14:15], v[46:47], v[8:9] op_sel_hi:[1,0,1]
	s_waitcnt vmcnt(12)
	v_xor_b32_e32 v62, 0x80000000, v35
	v_mov_b32_e32 v63, v34
	v_pk_fma_f32 v[12:13], v[34:35], v[46:47], v[12:13] op_sel_hi:[1,0,1]
	v_pk_fma_f32 v[8:9], v[14:15], v[46:47], v[8:9] op_sel:[1,1,0] op_sel_hi:[0,1,1] neg_lo:[1,0,0]
	s_waitcnt vmcnt(11)
	v_xor_b32_e32 v64, 0x80000000, v73
	v_mov_b32_e32 v65, v72
	v_pk_fma_f32 v[18:19], v[72:73], v[46:47], v[18:19] op_sel_hi:[1,0,1]
	v_mov_b32_e32 v50, v49
	s_waitcnt vmcnt(10)
	v_xor_b32_e32 v34, 0x80000000, v75
	v_pk_fma_f32 v[28:29], v[74:75], v[46:47], v[28:29] op_sel_hi:[1,0,1]
	v_mov_b32_e32 v35, v74
	v_pk_fma_f32 v[12:13], v[62:63], v[46:47], v[12:13] op_sel:[0,1,0]
	v_pk_fma_f32 v[14:15], v[64:65], v[46:47], v[18:19] op_sel:[0,1,0]
	v_pk_fma_f32 v[8:9], v[16:17], v[48:49], v[8:9] op_sel_hi:[1,0,1]
	v_pk_fma_f32 v[28:29], v[34:35], v[46:47], v[28:29] op_sel:[0,1,0]
	s_waitcnt vmcnt(9)
	v_xor_b32_e32 v18, 0x80000000, v11
	v_mov_b32_e32 v19, v10
	v_pk_fma_f32 v[10:11], v[10:11], v[48:49], v[12:13] op_sel_hi:[1,0,1]
	s_waitcnt vmcnt(8)
	v_xor_b32_e32 v12, 0x80000000, v33
	v_pk_fma_f32 v[14:15], v[32:33], v[48:49], v[14:15] op_sel_hi:[1,0,1]
	v_mov_b32_e32 v13, v32
	v_pk_fma_f32 v[8:9], v[30:31], v[50:51], v[8:9] op_sel_hi:[1,0,1]
	v_pk_fma_f32 v[10:11], v[18:19], v[50:51], v[10:11] op_sel_hi:[1,0,1]
	;; [unrolled: 1-line block ×3, first 2 shown]
	s_waitcnt vmcnt(7)
	v_xor_b32_e32 v14, 0x80000000, v59
	v_pk_fma_f32 v[16:17], v[58:59], v[48:49], v[28:29] op_sel_hi:[1,0,1]
	v_mov_b32_e32 v15, v58
	v_pk_fma_f32 v[14:15], v[14:15], v[50:51], v[16:17] op_sel_hi:[1,0,1]
	s_waitcnt vmcnt(6)
	v_xor_b32_e32 v16, 0x80000000, v53
	v_mov_b32_e32 v17, v52
	s_waitcnt vmcnt(4)
	v_pk_fma_f32 v[8:9], v[36:37], v[4:5], v[8:9] op_sel_hi:[1,0,1]
	v_pk_fma_f32 v[10:11], v[52:53], v[4:5], v[10:11] op_sel_hi:[1,0,1]
	v_pk_fma_f32 v[8:9], v[36:37], v[4:5], v[8:9] op_sel:[1,1,0] op_sel_hi:[0,1,1] neg_lo:[1,0,0]
	v_mov_b32_e32 v2, v7
	v_pk_fma_f32 v[8:9], v[38:39], v[6:7], v[8:9] op_sel_hi:[1,0,1]
	v_pk_fma_f32 v[10:11], v[16:17], v[4:5], v[10:11] op_sel:[0,1,0]
	v_xor_b32_e32 v16, 0x80000000, v55
	v_pk_fma_f32 v[12:13], v[54:55], v[4:5], v[12:13] op_sel_hi:[1,0,1]
	v_mov_b32_e32 v17, v54
	v_pk_fma_f32 v[34:35], v[42:43], v[2:3], v[8:9] op_sel_hi:[1,0,1]
	v_pk_fma_f32 v[8:9], v[16:17], v[4:5], v[12:13] op_sel:[0,1,0]
	s_waitcnt vmcnt(2)
	v_xor_b32_e32 v16, 0x80000000, v67
	v_pk_fma_f32 v[14:15], v[66:67], v[4:5], v[14:15] op_sel_hi:[1,0,1]
	v_mov_b32_e32 v17, v66
	v_xor_b32_e32 v12, 0x80000000, v61
	v_pk_fma_f32 v[10:11], v[60:61], v[6:7], v[10:11] op_sel_hi:[1,0,1]
	v_mov_b32_e32 v13, v60
	v_pk_fma_f32 v[4:5], v[16:17], v[4:5], v[14:15] op_sel:[0,1,0]
	v_pk_fma_f32 v[32:33], v[12:13], v[2:3], v[10:11] op_sel_hi:[1,0,1]
	s_waitcnt vmcnt(1)
	v_xor_b32_e32 v10, 0x80000000, v41
	v_pk_fma_f32 v[8:9], v[40:41], v[6:7], v[8:9] op_sel_hi:[1,0,1]
	v_mov_b32_e32 v11, v40
	s_waitcnt vmcnt(0)
	v_xor_b32_e32 v12, 0x80000000, v57
	v_mov_b32_e32 v13, v56
	v_pk_fma_f32 v[4:5], v[56:57], v[6:7], v[4:5] op_sel_hi:[1,0,1]
	v_pk_fma_f32 v[30:31], v[10:11], v[2:3], v[8:9] op_sel_hi:[1,0,1]
	;; [unrolled: 1-line block ×3, first 2 shown]
	s_andn2_b64 exec, exec, s[2:3]
	s_cbranch_execnz .LBB97_11
; %bb.12:
	s_or_b64 exec, exec, s[2:3]
.LBB97_13:
	s_or_b64 exec, exec, s[4:5]
.LBB97_14:
	v_mov_b32_dpp v6, v33 row_shr:1 row_mask:0xf bank_mask:0xf
	v_add_f32_e32 v6, v33, v6
	v_mov_b32_dpp v0, v34 row_shr:1 row_mask:0xf bank_mask:0xf
	v_mov_b32_dpp v2, v35 row_shr:1 row_mask:0xf bank_mask:0xf
	v_mov_b32_dpp v7, v6 row_shr:2 row_mask:0xf bank_mask:0xf
	v_add_f32_e32 v6, v6, v7
	v_mov_b32_dpp v4, v32 row_shr:1 row_mask:0xf bank_mask:0xf
	v_add_f32_e32 v0, v34, v0
	v_mov_b32_dpp v7, v6 row_shr:4 row_mask:0xf bank_mask:0xe
	v_add_f32_e32 v6, v6, v7
	v_add_f32_e32 v2, v35, v2
	v_add_f32_e32 v4, v32, v4
	v_mov_b32_dpp v7, v6 row_shr:8 row_mask:0xf bank_mask:0xc
	v_add_f32_e32 v7, v6, v7
	v_mov_b32_dpp v6, v30 row_shr:1 row_mask:0xf bank_mask:0xf
	v_add_f32_e32 v6, v30, v6
	v_mov_b32_dpp v1, v0 row_shr:2 row_mask:0xf bank_mask:0xf
	v_mov_b32_dpp v3, v2 row_shr:2 row_mask:0xf bank_mask:0xf
	v_mov_b32_dpp v9, v6 row_shr:2 row_mask:0xf bank_mask:0xf
	v_add_f32_e32 v6, v6, v9
	v_mov_b32_dpp v5, v4 row_shr:2 row_mask:0xf bank_mask:0xf
	v_add_f32_e32 v0, v0, v1
	v_mov_b32_dpp v9, v6 row_shr:4 row_mask:0xf bank_mask:0xe
	v_add_f32_e32 v6, v6, v9
	v_add_f32_e32 v2, v2, v3
	v_add_f32_e32 v4, v4, v5
	v_mov_b32_dpp v9, v6 row_shr:8 row_mask:0xf bank_mask:0xc
	v_add_f32_e32 v9, v6, v9
	;; [unrolled: 14-line block ×4, first 2 shown]
	v_mov_b32_dpp v6, v29 row_shr:1 row_mask:0xf bank_mask:0xf
	v_add_f32_e32 v6, v29, v6
	v_mov_b32_dpp v1, v0 row_bcast:15 row_mask:0xa bank_mask:0xf
	v_mov_b32_dpp v3, v2 row_bcast:15 row_mask:0xa bank_mask:0xf
	v_mov_b32_dpp v12, v6 row_shr:2 row_mask:0xf bank_mask:0xf
	v_add_f32_e32 v6, v6, v12
	v_mov_b32_dpp v5, v4 row_bcast:15 row_mask:0xa bank_mask:0xf
	v_mov_b32_dpp v8, v7 row_bcast:15 row_mask:0xa bank_mask:0xf
	v_mov_b32_dpp v12, v6 row_shr:4 row_mask:0xf bank_mask:0xe
	v_add_f32_e32 v6, v6, v12
	v_mov_b32_dpp v10, v9 row_bcast:15 row_mask:0xa bank_mask:0xf
	v_mov_b32_dpp v13, v11 row_bcast:15 row_mask:0xa bank_mask:0xf
	v_mov_b32_dpp v12, v6 row_shr:8 row_mask:0xf bank_mask:0xc
	v_add_f32_e32 v17, v6, v12
	v_mov_b32_dpp v16, v15 row_bcast:15 row_mask:0xa bank_mask:0xf
	v_cmp_eq_u32_e32 vcc, 31, v25
	v_mov_b32_dpp v18, v17 row_bcast:15 row_mask:0xa bank_mask:0xf
	s_and_b64 exec, exec, vcc
	s_cbranch_execz .LBB97_19
; %bb.15:
	s_load_dwordx2 s[2:3], s[0:1], 0x38
	v_cmp_eq_f32_e32 vcc, 0, v22
	v_cmp_eq_f32_e64 s[0:1], 0, v23
	v_add_f32_e32 v6, v0, v1
	v_add_f32_e32 v14, v2, v3
	;; [unrolled: 1-line block ×8, first 2 shown]
	s_and_b64 s[0:1], vcc, s[0:1]
	s_and_saveexec_b64 s[4:5], s[0:1]
	s_xor_b64 s[0:1], exec, s[4:5]
	s_cbranch_execz .LBB97_17
; %bb.16:
	v_xor_b32_e32 v18, 0x80000000, v21
	v_mov_b32_e32 v19, v20
	v_lshlrev_b32_e32 v16, 2, v24
	v_pk_mul_f32 v[14:15], v[14:15], v[18:19] op_sel_hi:[0,1]
	v_ashrrev_i32_e32 v17, 31, v16
	v_pk_fma_f32 v[14:15], v[20:21], v[6:7], v[14:15] op_sel_hi:[1,0,1]
	v_pk_mul_f32 v[6:7], v[12:13], v[18:19] op_sel_hi:[0,1]
	s_waitcnt lgkmcnt(0)
	v_lshl_add_u64 v[22:23], v[16:17], 3, s[2:3]
	v_pk_fma_f32 v[16:17], v[20:21], v[4:5], v[6:7] op_sel_hi:[1,0,1]
	v_pk_mul_f32 v[4:5], v[10:11], v[18:19] op_sel_hi:[0,1]
	v_pk_fma_f32 v[2:3], v[20:21], v[2:3], v[4:5] op_sel_hi:[1,0,1]
	v_pk_mul_f32 v[4:5], v[8:9], v[18:19] op_sel_hi:[0,1]
	v_pk_fma_f32 v[4:5], v[20:21], v[0:1], v[4:5] op_sel_hi:[1,0,1]
	global_store_dwordx4 v[22:23], v[14:17], off
	global_store_dwordx4 v[22:23], v[2:5], off offset:16
                                        ; implicit-def: $vgpr24
                                        ; implicit-def: $vgpr6
                                        ; implicit-def: $vgpr14
                                        ; implicit-def: $vgpr4
                                        ; implicit-def: $vgpr12
                                        ; implicit-def: $vgpr2
                                        ; implicit-def: $vgpr10
                                        ; implicit-def: $vgpr0
                                        ; implicit-def: $vgpr8
                                        ; implicit-def: $vgpr20_vgpr21
                                        ; implicit-def: $vgpr22_vgpr23
.LBB97_17:
	s_andn2_saveexec_b64 s[0:1], s[0:1]
	s_cbranch_execz .LBB97_19
; %bb.18:
	v_lshlrev_b32_e32 v16, 2, v24
	v_ashrrev_i32_e32 v17, 31, v16
	s_waitcnt lgkmcnt(0)
	v_lshl_add_u64 v[28:29], v[16:17], 3, s[2:3]
	global_load_dwordx4 v[16:19], v[28:29], off
	global_load_dwordx4 v[24:27], v[28:29], off offset:16
	v_xor_b32_e32 v30, 0x80000000, v21
	v_mov_b32_e32 v31, v20
	v_pk_mul_f32 v[14:15], v[14:15], v[30:31] op_sel_hi:[0,1]
	v_pk_mul_f32 v[12:13], v[12:13], v[30:31] op_sel_hi:[0,1]
	v_pk_mul_f32 v[10:11], v[10:11], v[30:31] op_sel_hi:[0,1]
	v_pk_mul_f32 v[8:9], v[8:9], v[30:31] op_sel_hi:[0,1]
	v_pk_fma_f32 v[6:7], v[20:21], v[6:7], v[14:15] op_sel_hi:[1,0,1]
	v_pk_fma_f32 v[4:5], v[20:21], v[4:5], v[12:13] op_sel_hi:[1,0,1]
	v_xor_b32_e32 v32, 0x80000000, v23
	v_mov_b32_e32 v33, v22
	v_pk_fma_f32 v[2:3], v[20:21], v[2:3], v[10:11] op_sel_hi:[1,0,1]
	v_pk_fma_f32 v[0:1], v[20:21], v[0:1], v[8:9] op_sel_hi:[1,0,1]
	s_waitcnt vmcnt(1)
	v_pk_fma_f32 v[6:7], v[22:23], v[16:17], v[6:7] op_sel_hi:[1,0,1]
	v_pk_fma_f32 v[4:5], v[22:23], v[18:19], v[4:5] op_sel_hi:[1,0,1]
	v_mov_b32_e32 v8, v19
	s_waitcnt vmcnt(0)
	v_pk_fma_f32 v[10:11], v[22:23], v[24:25], v[2:3] op_sel_hi:[1,0,1]
	v_pk_fma_f32 v[12:13], v[22:23], v[26:27], v[0:1] op_sel_hi:[1,0,1]
	v_mov_b32_e32 v14, v27
	v_pk_fma_f32 v[0:1], v[32:33], v[16:17], v[6:7] op_sel:[0,1,0]
	v_pk_fma_f32 v[2:3], v[32:33], v[8:9], v[4:5] op_sel_hi:[1,0,1]
	v_pk_fma_f32 v[4:5], v[32:33], v[24:25], v[10:11] op_sel:[0,1,0]
	v_pk_fma_f32 v[6:7], v[32:33], v[14:15], v[12:13] op_sel_hi:[1,0,1]
	global_store_dwordx4 v[28:29], v[0:3], off
	global_store_dwordx4 v[28:29], v[4:7], off offset:16
.LBB97_19:
	s_endpgm
	.section	.rodata,"a",@progbits
	.p2align	6, 0x0
	.amdhsa_kernel _ZN9rocsparseL19gebsrmvn_4xn_kernelILj128ELj6ELj32E21rocsparse_complex_numIfEEEvi20rocsparse_direction_NS_24const_host_device_scalarIT2_EEPKiS8_PKS5_SA_S6_PS5_21rocsparse_index_base_b
		.amdhsa_group_segment_fixed_size 0
		.amdhsa_private_segment_fixed_size 0
		.amdhsa_kernarg_size 72
		.amdhsa_user_sgpr_count 2
		.amdhsa_user_sgpr_dispatch_ptr 0
		.amdhsa_user_sgpr_queue_ptr 0
		.amdhsa_user_sgpr_kernarg_segment_ptr 1
		.amdhsa_user_sgpr_dispatch_id 0
		.amdhsa_user_sgpr_kernarg_preload_length 0
		.amdhsa_user_sgpr_kernarg_preload_offset 0
		.amdhsa_user_sgpr_private_segment_size 0
		.amdhsa_uses_dynamic_stack 0
		.amdhsa_enable_private_segment 0
		.amdhsa_system_sgpr_workgroup_id_x 1
		.amdhsa_system_sgpr_workgroup_id_y 0
		.amdhsa_system_sgpr_workgroup_id_z 0
		.amdhsa_system_sgpr_workgroup_info 0
		.amdhsa_system_vgpr_workitem_id 0
		.amdhsa_next_free_vgpr 88
		.amdhsa_next_free_sgpr 16
		.amdhsa_accum_offset 88
		.amdhsa_reserve_vcc 1
		.amdhsa_float_round_mode_32 0
		.amdhsa_float_round_mode_16_64 0
		.amdhsa_float_denorm_mode_32 3
		.amdhsa_float_denorm_mode_16_64 3
		.amdhsa_dx10_clamp 1
		.amdhsa_ieee_mode 1
		.amdhsa_fp16_overflow 0
		.amdhsa_tg_split 0
		.amdhsa_exception_fp_ieee_invalid_op 0
		.amdhsa_exception_fp_denorm_src 0
		.amdhsa_exception_fp_ieee_div_zero 0
		.amdhsa_exception_fp_ieee_overflow 0
		.amdhsa_exception_fp_ieee_underflow 0
		.amdhsa_exception_fp_ieee_inexact 0
		.amdhsa_exception_int_div_zero 0
	.end_amdhsa_kernel
	.section	.text._ZN9rocsparseL19gebsrmvn_4xn_kernelILj128ELj6ELj32E21rocsparse_complex_numIfEEEvi20rocsparse_direction_NS_24const_host_device_scalarIT2_EEPKiS8_PKS5_SA_S6_PS5_21rocsparse_index_base_b,"axG",@progbits,_ZN9rocsparseL19gebsrmvn_4xn_kernelILj128ELj6ELj32E21rocsparse_complex_numIfEEEvi20rocsparse_direction_NS_24const_host_device_scalarIT2_EEPKiS8_PKS5_SA_S6_PS5_21rocsparse_index_base_b,comdat
.Lfunc_end97:
	.size	_ZN9rocsparseL19gebsrmvn_4xn_kernelILj128ELj6ELj32E21rocsparse_complex_numIfEEEvi20rocsparse_direction_NS_24const_host_device_scalarIT2_EEPKiS8_PKS5_SA_S6_PS5_21rocsparse_index_base_b, .Lfunc_end97-_ZN9rocsparseL19gebsrmvn_4xn_kernelILj128ELj6ELj32E21rocsparse_complex_numIfEEEvi20rocsparse_direction_NS_24const_host_device_scalarIT2_EEPKiS8_PKS5_SA_S6_PS5_21rocsparse_index_base_b
                                        ; -- End function
	.set _ZN9rocsparseL19gebsrmvn_4xn_kernelILj128ELj6ELj32E21rocsparse_complex_numIfEEEvi20rocsparse_direction_NS_24const_host_device_scalarIT2_EEPKiS8_PKS5_SA_S6_PS5_21rocsparse_index_base_b.num_vgpr, 88
	.set _ZN9rocsparseL19gebsrmvn_4xn_kernelILj128ELj6ELj32E21rocsparse_complex_numIfEEEvi20rocsparse_direction_NS_24const_host_device_scalarIT2_EEPKiS8_PKS5_SA_S6_PS5_21rocsparse_index_base_b.num_agpr, 0
	.set _ZN9rocsparseL19gebsrmvn_4xn_kernelILj128ELj6ELj32E21rocsparse_complex_numIfEEEvi20rocsparse_direction_NS_24const_host_device_scalarIT2_EEPKiS8_PKS5_SA_S6_PS5_21rocsparse_index_base_b.numbered_sgpr, 16
	.set _ZN9rocsparseL19gebsrmvn_4xn_kernelILj128ELj6ELj32E21rocsparse_complex_numIfEEEvi20rocsparse_direction_NS_24const_host_device_scalarIT2_EEPKiS8_PKS5_SA_S6_PS5_21rocsparse_index_base_b.num_named_barrier, 0
	.set _ZN9rocsparseL19gebsrmvn_4xn_kernelILj128ELj6ELj32E21rocsparse_complex_numIfEEEvi20rocsparse_direction_NS_24const_host_device_scalarIT2_EEPKiS8_PKS5_SA_S6_PS5_21rocsparse_index_base_b.private_seg_size, 0
	.set _ZN9rocsparseL19gebsrmvn_4xn_kernelILj128ELj6ELj32E21rocsparse_complex_numIfEEEvi20rocsparse_direction_NS_24const_host_device_scalarIT2_EEPKiS8_PKS5_SA_S6_PS5_21rocsparse_index_base_b.uses_vcc, 1
	.set _ZN9rocsparseL19gebsrmvn_4xn_kernelILj128ELj6ELj32E21rocsparse_complex_numIfEEEvi20rocsparse_direction_NS_24const_host_device_scalarIT2_EEPKiS8_PKS5_SA_S6_PS5_21rocsparse_index_base_b.uses_flat_scratch, 0
	.set _ZN9rocsparseL19gebsrmvn_4xn_kernelILj128ELj6ELj32E21rocsparse_complex_numIfEEEvi20rocsparse_direction_NS_24const_host_device_scalarIT2_EEPKiS8_PKS5_SA_S6_PS5_21rocsparse_index_base_b.has_dyn_sized_stack, 0
	.set _ZN9rocsparseL19gebsrmvn_4xn_kernelILj128ELj6ELj32E21rocsparse_complex_numIfEEEvi20rocsparse_direction_NS_24const_host_device_scalarIT2_EEPKiS8_PKS5_SA_S6_PS5_21rocsparse_index_base_b.has_recursion, 0
	.set _ZN9rocsparseL19gebsrmvn_4xn_kernelILj128ELj6ELj32E21rocsparse_complex_numIfEEEvi20rocsparse_direction_NS_24const_host_device_scalarIT2_EEPKiS8_PKS5_SA_S6_PS5_21rocsparse_index_base_b.has_indirect_call, 0
	.section	.AMDGPU.csdata,"",@progbits
; Kernel info:
; codeLenInByte = 3448
; TotalNumSgprs: 22
; NumVgprs: 88
; NumAgprs: 0
; TotalNumVgprs: 88
; ScratchSize: 0
; MemoryBound: 0
; FloatMode: 240
; IeeeMode: 1
; LDSByteSize: 0 bytes/workgroup (compile time only)
; SGPRBlocks: 2
; VGPRBlocks: 10
; NumSGPRsForWavesPerEU: 22
; NumVGPRsForWavesPerEU: 88
; AccumOffset: 88
; Occupancy: 5
; WaveLimiterHint : 1
; COMPUTE_PGM_RSRC2:SCRATCH_EN: 0
; COMPUTE_PGM_RSRC2:USER_SGPR: 2
; COMPUTE_PGM_RSRC2:TRAP_HANDLER: 0
; COMPUTE_PGM_RSRC2:TGID_X_EN: 1
; COMPUTE_PGM_RSRC2:TGID_Y_EN: 0
; COMPUTE_PGM_RSRC2:TGID_Z_EN: 0
; COMPUTE_PGM_RSRC2:TIDIG_COMP_CNT: 0
; COMPUTE_PGM_RSRC3_GFX90A:ACCUM_OFFSET: 21
; COMPUTE_PGM_RSRC3_GFX90A:TG_SPLIT: 0
	.section	.text._ZN9rocsparseL19gebsrmvn_4xn_kernelILj128ELj6ELj64E21rocsparse_complex_numIfEEEvi20rocsparse_direction_NS_24const_host_device_scalarIT2_EEPKiS8_PKS5_SA_S6_PS5_21rocsparse_index_base_b,"axG",@progbits,_ZN9rocsparseL19gebsrmvn_4xn_kernelILj128ELj6ELj64E21rocsparse_complex_numIfEEEvi20rocsparse_direction_NS_24const_host_device_scalarIT2_EEPKiS8_PKS5_SA_S6_PS5_21rocsparse_index_base_b,comdat
	.globl	_ZN9rocsparseL19gebsrmvn_4xn_kernelILj128ELj6ELj64E21rocsparse_complex_numIfEEEvi20rocsparse_direction_NS_24const_host_device_scalarIT2_EEPKiS8_PKS5_SA_S6_PS5_21rocsparse_index_base_b ; -- Begin function _ZN9rocsparseL19gebsrmvn_4xn_kernelILj128ELj6ELj64E21rocsparse_complex_numIfEEEvi20rocsparse_direction_NS_24const_host_device_scalarIT2_EEPKiS8_PKS5_SA_S6_PS5_21rocsparse_index_base_b
	.p2align	8
	.type	_ZN9rocsparseL19gebsrmvn_4xn_kernelILj128ELj6ELj64E21rocsparse_complex_numIfEEEvi20rocsparse_direction_NS_24const_host_device_scalarIT2_EEPKiS8_PKS5_SA_S6_PS5_21rocsparse_index_base_b,@function
_ZN9rocsparseL19gebsrmvn_4xn_kernelILj128ELj6ELj64E21rocsparse_complex_numIfEEEvi20rocsparse_direction_NS_24const_host_device_scalarIT2_EEPKiS8_PKS5_SA_S6_PS5_21rocsparse_index_base_b: ; @_ZN9rocsparseL19gebsrmvn_4xn_kernelILj128ELj6ELj64E21rocsparse_complex_numIfEEEvi20rocsparse_direction_NS_24const_host_device_scalarIT2_EEPKiS8_PKS5_SA_S6_PS5_21rocsparse_index_base_b
; %bb.0:
	s_load_dwordx2 s[4:5], s[0:1], 0x8
	s_load_dwordx2 s[6:7], s[0:1], 0x30
	;; [unrolled: 1-line block ×3, first 2 shown]
	s_add_u32 s3, s0, 8
	s_addc_u32 s8, s1, 0
	s_add_u32 s9, s0, 48
	s_addc_u32 s10, s1, 0
	s_waitcnt lgkmcnt(0)
	s_bitcmp1_b32 s13, 0
	s_cselect_b32 s3, s3, s4
	s_cselect_b32 s5, s8, s5
	v_mov_b32_e32 v2, s3
	s_cselect_b32 s3, s10, s7
	s_cselect_b32 s4, s9, s6
	v_mov_b32_e32 v3, s5
	v_mov_b32_e32 v4, s4
	;; [unrolled: 1-line block ×3, first 2 shown]
	flat_load_dwordx2 v[20:21], v[2:3]
	flat_load_dwordx2 v[22:23], v[4:5]
	s_waitcnt vmcnt(0) lgkmcnt(0)
	v_cmp_eq_f32_e32 vcc, 0, v20
	v_cmp_eq_f32_e64 s[4:5], 0, v21
	v_cmp_eq_f32_e64 s[6:7], 1.0, v22
	v_cmp_eq_f32_e64 s[8:9], 0, v23
	s_and_b64 s[4:5], vcc, s[4:5]
	s_and_b64 s[6:7], s[6:7], s[8:9]
	s_and_b64 s[4:5], s[4:5], s[6:7]
	s_xor_b64 s[4:5], s[4:5], -1
	s_and_saveexec_b64 s[6:7], s[4:5]
	s_cbranch_execz .LBB98_19
; %bb.1:
	s_load_dwordx2 s[14:15], s[0:1], 0x0
	v_lshrrev_b32_e32 v1, 6, v0
	v_lshl_or_b32 v24, s2, 1, v1
	s_waitcnt lgkmcnt(0)
	v_cmp_gt_i32_e32 vcc, s14, v24
	s_and_b64 exec, exec, vcc
	s_cbranch_execz .LBB98_19
; %bb.2:
	s_load_dwordx8 s[4:11], s[0:1], 0x10
	v_ashrrev_i32_e32 v25, 31, v24
	s_cmp_lg_u32 s15, 0
	s_waitcnt lgkmcnt(0)
	v_lshl_add_u64 v[2:3], v[24:25], 2, s[4:5]
	global_load_dwordx2 v[2:3], v[2:3], off
	v_and_b32_e32 v25, 63, v0
	s_waitcnt vmcnt(0)
	v_subrev_u32_e32 v0, s12, v2
	v_subrev_u32_e32 v44, s12, v3
	v_add_u32_e32 v26, v0, v25
	v_cmp_lt_i32_e64 s[2:3], v26, v44
	s_cbranch_scc0 .LBB98_8
; %bb.3:
	v_mov_b32_e32 v35, 0
	v_mov_b32_e32 v34, v35
	;; [unrolled: 1-line block ×8, first 2 shown]
	s_and_saveexec_b64 s[4:5], s[2:3]
	s_cbranch_execz .LBB98_7
; %bb.4:
	v_mad_u64_u32 v[36:37], s[14:15], v26, 24, 20
	v_mov_b32_e32 v39, 0
	s_mov_b64 s[14:15], 0
	v_mov_b32_e32 v40, v26
	v_mov_b32_e32 v28, v39
	;; [unrolled: 1-line block ×9, first 2 shown]
.LBB98_5:                               ; =>This Inner Loop Header: Depth=1
	v_ashrrev_i32_e32 v41, 31, v40
	v_subrev_u32_e32 v38, 20, v36
	v_lshl_add_u64 v[0:1], v[40:41], 2, s[6:7]
	v_lshl_add_u64 v[2:3], v[38:39], 3, s[8:9]
	global_load_dword v27, v[0:1], off
	global_load_dwordx4 v[46:49], v[2:3], off
	global_load_dwordx4 v[50:53], v[2:3], off offset:16
	global_load_dwordx4 v[8:11], v[2:3], off offset:32
	;; [unrolled: 1-line block ×3, first 2 shown]
	v_mov_b32_e32 v37, v39
	v_add_u32_e32 v38, -12, v36
	v_mov_b32_e32 v43, v39
	v_lshl_add_u64 v[70:71], v[36:37], 3, s[8:9]
	v_lshl_add_u64 v[54:55], v[38:39], 3, s[8:9]
	global_load_dwordx4 v[0:3], v[70:71], off
	global_load_dwordx4 v[12:15], v[54:55], off offset:16
	global_load_dwordx4 v[16:19], v[54:55], off
	v_add_u32_e32 v40, 64, v40
	v_cmp_ge_i32_e32 vcc, v40, v44
	s_or_b64 s[14:15], vcc, s[14:15]
	s_waitcnt vmcnt(7)
	v_subrev_u32_e32 v27, s12, v27
	v_mul_lo_u32 v42, v27, 6
	v_lshl_add_u64 v[54:55], v[42:43], 3, s[10:11]
	global_load_dwordx4 v[54:57], v[54:55], off
	v_add_u32_e32 v38, 2, v42
	v_lshl_add_u64 v[58:59], v[38:39], 3, s[10:11]
	v_add_u32_e32 v38, -8, v36
	global_load_dwordx4 v[58:61], v[58:59], off
	v_lshl_add_u64 v[80:81], v[38:39], 3, s[8:9]
	v_add_u32_e32 v38, -4, v36
	global_load_dwordx4 v[62:65], v[80:81], off offset:16
	global_load_dwordx4 v[66:69], v[80:81], off
	v_lshl_add_u64 v[82:83], v[38:39], 3, s[8:9]
	v_add_u32_e32 v38, 4, v42
	s_waitcnt vmcnt(10)
	v_xor_b32_e32 v72, 0x80000000, v47
	v_xor_b32_e32 v74, 0x80000000, v49
	v_mov_b32_e32 v73, v46
	v_mov_b32_e32 v75, v48
	v_lshl_add_u64 v[42:43], v[38:39], 3, s[10:11]
	s_waitcnt vmcnt(9)
	v_xor_b32_e32 v76, 0x80000000, v51
	v_xor_b32_e32 v78, 0x80000000, v53
	v_mov_b32_e32 v77, v50
	v_mov_b32_e32 v79, v52
	v_add_u32_e32 v36, 0x600, v36
	s_waitcnt vmcnt(3)
	v_pk_fma_f32 v[80:81], v[46:47], v[54:55], v[34:35] op_sel_hi:[1,0,1]
	v_pk_fma_f32 v[84:85], v[48:49], v[54:55], v[32:33] op_sel_hi:[1,0,1]
	global_load_dwordx4 v[32:35], v[82:83], off offset:16
	global_load_dwordx4 v[46:49], v[82:83], off
	v_pk_fma_f32 v[82:83], v[50:51], v[54:55], v[30:31] op_sel_hi:[1,0,1]
	v_pk_fma_f32 v[86:87], v[52:53], v[54:55], v[28:29] op_sel_hi:[1,0,1]
	global_load_dwordx4 v[28:31], v[42:43], off
	global_load_dwordx4 v[50:53], v[70:71], off offset:16
	v_pk_fma_f32 v[42:43], v[72:73], v[54:55], v[80:81] op_sel:[0,1,0]
	v_pk_fma_f32 v[72:73], v[74:75], v[54:55], v[84:85] op_sel:[0,1,0]
	;; [unrolled: 1-line block ×4, first 2 shown]
	v_xor_b32_e32 v70, 0x80000000, v11
	v_mov_b32_e32 v71, v10
	v_xor_b32_e32 v74, 0x80000000, v7
	v_mov_b32_e32 v75, v6
	v_pk_fma_f32 v[42:43], v[8:9], v[56:57], v[42:43] op_sel_hi:[1,0,1]
	v_pk_fma_f32 v[10:11], v[10:11], v[56:57], v[72:73] op_sel_hi:[1,0,1]
	v_pk_fma_f32 v[72:73], v[4:5], v[56:57], v[76:77] op_sel_hi:[1,0,1]
	v_pk_fma_f32 v[6:7], v[6:7], v[56:57], v[54:55] op_sel_hi:[1,0,1]
	v_mov_b32_e32 v38, v57
	v_pk_fma_f32 v[8:9], v[8:9], v[38:39], v[42:43] op_sel:[1,0,0] op_sel_hi:[0,0,1] neg_lo:[1,0,0]
	v_pk_fma_f32 v[4:5], v[4:5], v[38:39], v[72:73] op_sel:[1,0,0] op_sel_hi:[0,0,1] neg_lo:[1,0,0]
	v_pk_fma_f32 v[10:11], v[70:71], v[38:39], v[10:11] op_sel_hi:[1,0,1]
	v_pk_fma_f32 v[6:7], v[74:75], v[38:39], v[6:7] op_sel_hi:[1,0,1]
	v_xor_b32_e32 v54, 0x80000000, v19
	v_mov_b32_e32 v55, v18
	v_xor_b32_e32 v42, 0x80000000, v15
	v_mov_b32_e32 v43, v14
	s_waitcnt vmcnt(6)
	v_pk_fma_f32 v[8:9], v[16:17], v[58:59], v[8:9] op_sel_hi:[1,0,1]
	v_pk_fma_f32 v[10:11], v[18:19], v[58:59], v[10:11] op_sel_hi:[1,0,1]
	v_pk_fma_f32 v[4:5], v[12:13], v[58:59], v[4:5] op_sel_hi:[1,0,1]
	v_pk_fma_f32 v[6:7], v[14:15], v[58:59], v[6:7] op_sel_hi:[1,0,1]
	v_pk_fma_f32 v[8:9], v[16:17], v[58:59], v[8:9] op_sel:[1,1,0] op_sel_hi:[0,1,1] neg_lo:[1,0,0]
	v_pk_fma_f32 v[4:5], v[12:13], v[58:59], v[4:5] op_sel:[1,1,0] op_sel_hi:[0,1,1] neg_lo:[1,0,0]
	v_pk_fma_f32 v[10:11], v[54:55], v[58:59], v[10:11] op_sel:[0,1,0]
	v_pk_fma_f32 v[6:7], v[42:43], v[58:59], v[6:7] op_sel:[0,1,0]
	v_mov_b32_e32 v56, v61
	s_waitcnt vmcnt(4)
	v_xor_b32_e32 v72, 0x80000000, v69
	v_mov_b32_e32 v73, v68
	v_xor_b32_e32 v76, 0x80000000, v65
	v_mov_b32_e32 v77, v64
	v_pk_fma_f32 v[8:9], v[66:67], v[60:61], v[8:9] op_sel_hi:[1,0,1]
	v_pk_fma_f32 v[10:11], v[68:69], v[60:61], v[10:11] op_sel_hi:[1,0,1]
	;; [unrolled: 1-line block ×4, first 2 shown]
	v_pk_fma_f32 v[8:9], v[66:67], v[56:57], v[8:9] op_sel:[1,0,0] op_sel_hi:[0,0,1] neg_lo:[1,0,0]
	v_pk_fma_f32 v[10:11], v[72:73], v[56:57], v[10:11] op_sel_hi:[1,0,1]
	v_pk_fma_f32 v[4:5], v[62:63], v[56:57], v[4:5] op_sel:[1,0,0] op_sel_hi:[0,0,1] neg_lo:[1,0,0]
	v_pk_fma_f32 v[6:7], v[76:77], v[56:57], v[6:7] op_sel_hi:[1,0,1]
	v_xor_b32_e32 v80, 0x80000000, v3
	v_mov_b32_e32 v81, v2
	s_waitcnt vmcnt(3)
	v_xor_b32_e32 v74, 0x80000000, v35
	s_waitcnt vmcnt(2)
	v_xor_b32_e32 v70, 0x80000000, v49
	v_mov_b32_e32 v71, v48
	v_mov_b32_e32 v75, v34
	s_waitcnt vmcnt(1)
	v_pk_fma_f32 v[8:9], v[46:47], v[28:29], v[8:9] op_sel_hi:[1,0,1]
	v_pk_fma_f32 v[10:11], v[48:49], v[28:29], v[10:11] op_sel_hi:[1,0,1]
	;; [unrolled: 1-line block ×4, first 2 shown]
	v_pk_fma_f32 v[8:9], v[46:47], v[28:29], v[8:9] op_sel:[1,1,0] op_sel_hi:[0,1,1] neg_lo:[1,0,0]
	v_pk_fma_f32 v[10:11], v[70:71], v[28:29], v[10:11] op_sel:[0,1,0]
	v_pk_fma_f32 v[4:5], v[32:33], v[28:29], v[4:5] op_sel:[1,1,0] op_sel_hi:[0,1,1] neg_lo:[1,0,0]
	v_pk_fma_f32 v[6:7], v[74:75], v[28:29], v[6:7] op_sel:[0,1,0]
	s_waitcnt vmcnt(0)
	v_xor_b32_e32 v78, 0x80000000, v53
	v_mov_b32_e32 v79, v52
	v_mov_b32_e32 v14, v31
	v_pk_fma_f32 v[8:9], v[0:1], v[30:31], v[8:9] op_sel_hi:[1,0,1]
	v_pk_fma_f32 v[2:3], v[2:3], v[30:31], v[10:11] op_sel_hi:[1,0,1]
	;; [unrolled: 1-line block ×4, first 2 shown]
	v_pk_fma_f32 v[34:35], v[0:1], v[14:15], v[8:9] op_sel:[1,0,0] op_sel_hi:[0,0,1] neg_lo:[1,0,0]
	v_pk_fma_f32 v[32:33], v[80:81], v[14:15], v[2:3] op_sel_hi:[1,0,1]
	v_pk_fma_f32 v[30:31], v[50:51], v[14:15], v[4:5] op_sel:[1,0,0] op_sel_hi:[0,0,1] neg_lo:[1,0,0]
	v_pk_fma_f32 v[28:29], v[78:79], v[14:15], v[6:7] op_sel_hi:[1,0,1]
	s_andn2_b64 exec, exec, s[14:15]
	s_cbranch_execnz .LBB98_5
; %bb.6:
	s_or_b64 exec, exec, s[14:15]
.LBB98_7:
	s_or_b64 exec, exec, s[4:5]
	s_cbranch_execz .LBB98_9
	s_branch .LBB98_14
.LBB98_8:
                                        ; implicit-def: $vgpr35
                                        ; implicit-def: $vgpr29
                                        ; implicit-def: $vgpr31
                                        ; implicit-def: $vgpr33
.LBB98_9:
	v_mov_b32_e32 v35, 0
	v_mov_b32_e32 v34, v35
	;; [unrolled: 1-line block ×8, first 2 shown]
	s_and_saveexec_b64 s[4:5], s[2:3]
	s_cbranch_execz .LBB98_13
; %bb.10:
	v_mad_u64_u32 v[0:1], s[2:3], v26, 24, 23
	v_mov_b32_e32 v3, 0
	s_mov_b64 s[2:3], 0
	v_mov_b32_e32 v28, v3
	v_mov_b32_e32 v29, v3
	;; [unrolled: 1-line block ×8, first 2 shown]
.LBB98_11:                              ; =>This Inner Loop Header: Depth=1
	v_ashrrev_i32_e32 v27, 31, v26
	v_subrev_u32_e32 v2, 23, v0
	v_add_u32_e32 v6, -11, v0
	v_add_u32_e32 v8, -5, v0
	v_mov_b32_e32 v7, v3
	v_mov_b32_e32 v9, v3
	;; [unrolled: 1-line block ×3, first 2 shown]
	v_lshl_add_u64 v[18:19], v[26:27], 2, s[6:7]
	v_lshl_add_u64 v[40:41], v[2:3], 3, s[8:9]
	;; [unrolled: 1-line block ×5, first 2 shown]
	global_load_dword v1, v[18:19], off
	global_load_dwordx4 v[6:9], v[40:41], off
	global_load_dwordx4 v[10:13], v[40:41], off offset:48
	global_load_dwordx2 v[52:53], v[42:43], off
	global_load_dwordx4 v[14:17], v[40:41], off offset:16
	global_load_dwordx2 v[54:55], v[46:47], off
	global_load_dwordx4 v[36:39], v[40:41], off offset:32
	v_add_u32_e32 v2, -10, v0
	v_lshl_add_u64 v[18:19], v[2:3], 3, s[8:9]
	v_add_u32_e32 v2, -4, v0
	v_mov_b32_e32 v5, v3
	v_lshl_add_u64 v[40:41], v[2:3], 3, s[8:9]
	global_load_dwordx2 v[18:19], v[18:19], off
	v_add_u32_e32 v26, 64, v26
	global_load_dwordx2 v[56:57], v[40:41], off
	v_cmp_ge_i32_e32 vcc, v26, v44
	s_or_b64 s[2:3], vcc, s[2:3]
	s_waitcnt vmcnt(8)
	v_subrev_u32_e32 v1, s12, v1
	v_mul_lo_u32 v4, v1, 6
	v_lshl_add_u64 v[40:41], v[4:5], 3, s[10:11]
	global_load_dwordx4 v[40:43], v[40:41], off
	v_add_u32_e32 v2, 2, v4
	s_waitcnt vmcnt(8)
	v_xor_b32_e32 v46, 0x80000000, v7
	v_mov_b32_e32 v47, v6
	v_lshl_add_u64 v[72:73], v[2:3], 3, s[10:11]
	v_add_u32_e32 v2, -15, v0
	v_lshl_add_u64 v[74:75], v[2:3], 3, s[8:9]
	v_add_u32_e32 v2, -9, v0
	v_xor_b32_e32 v62, 0x80000000, v9
	v_mov_b32_e32 v63, v8
	s_waitcnt vmcnt(7)
	v_xor_b32_e32 v58, 0x80000000, v11
	v_mov_b32_e32 v59, v10
	v_xor_b32_e32 v64, 0x80000000, v13
	v_mov_b32_e32 v65, v12
	s_waitcnt vmcnt(6)
	v_xor_b32_e32 v60, 0x80000000, v53
	v_mov_b32_e32 v61, v52
	s_waitcnt vmcnt(4)
	;; [unrolled: 3-line block ×5, first 2 shown]
	v_pk_fma_f32 v[6:7], v[6:7], v[40:41], v[34:35] op_sel_hi:[1,0,1]
	s_nop 0
	v_pk_fma_f32 v[6:7], v[46:47], v[40:41], v[6:7] op_sel:[0,1,0]
	global_load_dwordx4 v[46:49], v[72:73], off
	global_load_dwordx2 v[34:35], v[74:75], off
	v_pk_fma_f32 v[8:9], v[8:9], v[42:43], v[6:7] op_sel_hi:[1,0,1]
	v_lshl_add_u64 v[6:7], v[2:3], 3, s[8:9]
	v_add_u32_e32 v2, -3, v0
	global_load_dwordx2 v[72:73], v[6:7], off
	v_lshl_add_u64 v[6:7], v[2:3], 3, s[8:9]
	v_add_u32_e32 v2, -14, v0
	global_load_dwordx2 v[74:75], v[6:7], off
	v_pk_fma_f32 v[6:7], v[10:11], v[40:41], v[32:33] op_sel_hi:[1,0,1]
	v_lshl_add_u64 v[10:11], v[2:3], 3, s[8:9]
	v_pk_fma_f32 v[6:7], v[58:59], v[40:41], v[6:7] op_sel:[0,1,0]
	v_add_u32_e32 v2, -8, v0
	v_pk_fma_f32 v[12:13], v[12:13], v[42:43], v[6:7] op_sel_hi:[1,0,1]
	v_lshl_add_u64 v[6:7], v[2:3], 3, s[8:9]
	v_add_u32_e32 v2, -2, v0
	global_load_dwordx2 v[10:11], v[10:11], off
	v_pk_fma_f32 v[30:31], v[52:53], v[40:41], v[30:31] op_sel_hi:[1,0,1]
	global_load_dwordx2 v[32:33], v[6:7], off
	v_lshl_add_u64 v[6:7], v[2:3], 3, s[8:9]
	v_add_u32_e32 v2, 4, v4
	v_lshl_add_u64 v[4:5], v[2:3], 3, s[10:11]
	v_add_u32_e32 v2, -13, v0
	v_lshl_add_u64 v[52:53], v[2:3], 3, s[8:9]
	v_add_u32_e32 v2, -7, v0
	v_pk_fma_f32 v[28:29], v[54:55], v[40:41], v[28:29] op_sel_hi:[1,0,1]
	v_lshl_add_u64 v[54:55], v[2:3], 3, s[8:9]
	global_load_dwordx2 v[58:59], v[6:7], off
	v_add_u32_e32 v2, -1, v0
	global_load_dwordx2 v[52:53], v[52:53], off
	v_pk_fma_f32 v[30:31], v[60:61], v[40:41], v[30:31] op_sel:[0,1,0]
	global_load_dwordx2 v[54:55], v[54:55], off
	v_pk_fma_f32 v[28:29], v[66:67], v[40:41], v[28:29] op_sel:[0,1,0]
	global_load_dwordx4 v[4:7], v[4:5], off
	v_lshl_add_u64 v[40:41], v[2:3], 3, s[8:9]
	v_add_u32_e32 v2, -12, v0
	v_pk_fma_f32 v[18:19], v[18:19], v[42:43], v[30:31] op_sel_hi:[1,0,1]
	v_lshl_add_u64 v[30:31], v[2:3], 3, s[8:9]
	v_add_u32_e32 v2, -6, v0
	global_load_dwordx2 v[60:61], v[30:31], off
	global_load_dwordx2 v[66:67], v[40:41], off
	v_lshl_add_u64 v[30:31], v[2:3], 3, s[8:9]
	v_pk_fma_f32 v[28:29], v[56:57], v[42:43], v[28:29] op_sel_hi:[1,0,1]
	global_load_dwordx2 v[40:41], v[30:31], off
	global_load_dwordx2 v[56:57], v[50:51], off
	v_mov_b32_e32 v2, v43
	v_pk_fma_f32 v[8:9], v[62:63], v[2:3], v[8:9] op_sel_hi:[1,0,1]
	v_pk_fma_f32 v[12:13], v[64:65], v[2:3], v[12:13] op_sel_hi:[1,0,1]
	;; [unrolled: 1-line block ×4, first 2 shown]
	v_xor_b32_e32 v30, 0x80000000, v17
	v_mov_b32_e32 v31, v16
	v_xor_b32_e32 v42, 0x80000000, v39
	v_mov_b32_e32 v43, v38
	v_add_u32_e32 v0, 0x600, v0
	s_waitcnt vmcnt(13)
	v_pk_fma_f32 v[8:9], v[14:15], v[46:47], v[8:9] op_sel_hi:[1,0,1]
	s_waitcnt vmcnt(12)
	v_xor_b32_e32 v62, 0x80000000, v35
	v_mov_b32_e32 v63, v34
	v_pk_fma_f32 v[12:13], v[34:35], v[46:47], v[12:13] op_sel_hi:[1,0,1]
	v_pk_fma_f32 v[8:9], v[14:15], v[46:47], v[8:9] op_sel:[1,1,0] op_sel_hi:[0,1,1] neg_lo:[1,0,0]
	s_waitcnt vmcnt(11)
	v_xor_b32_e32 v64, 0x80000000, v73
	v_mov_b32_e32 v65, v72
	v_pk_fma_f32 v[18:19], v[72:73], v[46:47], v[18:19] op_sel_hi:[1,0,1]
	v_mov_b32_e32 v50, v49
	s_waitcnt vmcnt(10)
	v_xor_b32_e32 v34, 0x80000000, v75
	v_pk_fma_f32 v[28:29], v[74:75], v[46:47], v[28:29] op_sel_hi:[1,0,1]
	v_mov_b32_e32 v35, v74
	v_pk_fma_f32 v[12:13], v[62:63], v[46:47], v[12:13] op_sel:[0,1,0]
	v_pk_fma_f32 v[14:15], v[64:65], v[46:47], v[18:19] op_sel:[0,1,0]
	v_pk_fma_f32 v[8:9], v[16:17], v[48:49], v[8:9] op_sel_hi:[1,0,1]
	v_pk_fma_f32 v[28:29], v[34:35], v[46:47], v[28:29] op_sel:[0,1,0]
	s_waitcnt vmcnt(9)
	v_xor_b32_e32 v18, 0x80000000, v11
	v_mov_b32_e32 v19, v10
	v_pk_fma_f32 v[10:11], v[10:11], v[48:49], v[12:13] op_sel_hi:[1,0,1]
	s_waitcnt vmcnt(8)
	v_xor_b32_e32 v12, 0x80000000, v33
	v_pk_fma_f32 v[14:15], v[32:33], v[48:49], v[14:15] op_sel_hi:[1,0,1]
	v_mov_b32_e32 v13, v32
	v_pk_fma_f32 v[8:9], v[30:31], v[50:51], v[8:9] op_sel_hi:[1,0,1]
	v_pk_fma_f32 v[10:11], v[18:19], v[50:51], v[10:11] op_sel_hi:[1,0,1]
	;; [unrolled: 1-line block ×3, first 2 shown]
	s_waitcnt vmcnt(7)
	v_xor_b32_e32 v14, 0x80000000, v59
	v_pk_fma_f32 v[16:17], v[58:59], v[48:49], v[28:29] op_sel_hi:[1,0,1]
	v_mov_b32_e32 v15, v58
	v_pk_fma_f32 v[14:15], v[14:15], v[50:51], v[16:17] op_sel_hi:[1,0,1]
	s_waitcnt vmcnt(6)
	v_xor_b32_e32 v16, 0x80000000, v53
	v_mov_b32_e32 v17, v52
	s_waitcnt vmcnt(4)
	v_pk_fma_f32 v[8:9], v[36:37], v[4:5], v[8:9] op_sel_hi:[1,0,1]
	v_pk_fma_f32 v[10:11], v[52:53], v[4:5], v[10:11] op_sel_hi:[1,0,1]
	v_pk_fma_f32 v[8:9], v[36:37], v[4:5], v[8:9] op_sel:[1,1,0] op_sel_hi:[0,1,1] neg_lo:[1,0,0]
	v_mov_b32_e32 v2, v7
	v_pk_fma_f32 v[8:9], v[38:39], v[6:7], v[8:9] op_sel_hi:[1,0,1]
	v_pk_fma_f32 v[10:11], v[16:17], v[4:5], v[10:11] op_sel:[0,1,0]
	v_xor_b32_e32 v16, 0x80000000, v55
	v_pk_fma_f32 v[12:13], v[54:55], v[4:5], v[12:13] op_sel_hi:[1,0,1]
	v_mov_b32_e32 v17, v54
	v_pk_fma_f32 v[34:35], v[42:43], v[2:3], v[8:9] op_sel_hi:[1,0,1]
	v_pk_fma_f32 v[8:9], v[16:17], v[4:5], v[12:13] op_sel:[0,1,0]
	s_waitcnt vmcnt(2)
	v_xor_b32_e32 v16, 0x80000000, v67
	v_pk_fma_f32 v[14:15], v[66:67], v[4:5], v[14:15] op_sel_hi:[1,0,1]
	v_mov_b32_e32 v17, v66
	v_xor_b32_e32 v12, 0x80000000, v61
	v_pk_fma_f32 v[10:11], v[60:61], v[6:7], v[10:11] op_sel_hi:[1,0,1]
	v_mov_b32_e32 v13, v60
	v_pk_fma_f32 v[4:5], v[16:17], v[4:5], v[14:15] op_sel:[0,1,0]
	v_pk_fma_f32 v[32:33], v[12:13], v[2:3], v[10:11] op_sel_hi:[1,0,1]
	s_waitcnt vmcnt(1)
	v_xor_b32_e32 v10, 0x80000000, v41
	v_pk_fma_f32 v[8:9], v[40:41], v[6:7], v[8:9] op_sel_hi:[1,0,1]
	v_mov_b32_e32 v11, v40
	s_waitcnt vmcnt(0)
	v_xor_b32_e32 v12, 0x80000000, v57
	v_mov_b32_e32 v13, v56
	v_pk_fma_f32 v[4:5], v[56:57], v[6:7], v[4:5] op_sel_hi:[1,0,1]
	v_pk_fma_f32 v[30:31], v[10:11], v[2:3], v[8:9] op_sel_hi:[1,0,1]
	;; [unrolled: 1-line block ×3, first 2 shown]
	s_andn2_b64 exec, exec, s[2:3]
	s_cbranch_execnz .LBB98_11
; %bb.12:
	s_or_b64 exec, exec, s[2:3]
.LBB98_13:
	s_or_b64 exec, exec, s[4:5]
.LBB98_14:
	v_mov_b32_dpp v6, v33 row_shr:1 row_mask:0xf bank_mask:0xf
	v_add_f32_e32 v6, v33, v6
	v_mov_b32_dpp v0, v34 row_shr:1 row_mask:0xf bank_mask:0xf
	v_mov_b32_dpp v2, v35 row_shr:1 row_mask:0xf bank_mask:0xf
	;; [unrolled: 1-line block ×3, first 2 shown]
	v_add_f32_e32 v6, v6, v7
	v_mov_b32_dpp v4, v32 row_shr:1 row_mask:0xf bank_mask:0xf
	v_add_f32_e32 v0, v34, v0
	v_mov_b32_dpp v7, v6 row_shr:4 row_mask:0xf bank_mask:0xe
	v_add_f32_e32 v6, v6, v7
	v_add_f32_e32 v2, v35, v2
	;; [unrolled: 1-line block ×3, first 2 shown]
	v_mov_b32_dpp v7, v6 row_shr:8 row_mask:0xf bank_mask:0xc
	v_add_f32_e32 v6, v6, v7
	v_mov_b32_dpp v1, v0 row_shr:2 row_mask:0xf bank_mask:0xf
	v_mov_b32_dpp v3, v2 row_shr:2 row_mask:0xf bank_mask:0xf
	v_mov_b32_dpp v7, v6 row_bcast:15 row_mask:0xa bank_mask:0xf
	v_add_f32_e32 v7, v6, v7
	v_mov_b32_dpp v6, v30 row_shr:1 row_mask:0xf bank_mask:0xf
	v_add_f32_e32 v6, v30, v6
	v_mov_b32_dpp v5, v4 row_shr:2 row_mask:0xf bank_mask:0xf
	;; [unrolled: 2-line block ×3, first 2 shown]
	v_add_f32_e32 v6, v6, v9
	v_add_f32_e32 v2, v2, v3
	;; [unrolled: 1-line block ×3, first 2 shown]
	v_mov_b32_dpp v9, v6 row_shr:4 row_mask:0xf bank_mask:0xe
	v_add_f32_e32 v6, v6, v9
	v_mov_b32_dpp v1, v0 row_shr:4 row_mask:0xf bank_mask:0xe
	v_mov_b32_dpp v3, v2 row_shr:4 row_mask:0xf bank_mask:0xe
	;; [unrolled: 1-line block ×3, first 2 shown]
	v_add_f32_e32 v6, v6, v9
	v_mov_b32_dpp v5, v4 row_shr:4 row_mask:0xf bank_mask:0xe
	v_add_f32_e32 v0, v0, v1
	v_mov_b32_dpp v9, v6 row_bcast:15 row_mask:0xa bank_mask:0xf
	v_add_f32_e32 v9, v6, v9
	v_mov_b32_dpp v6, v31 row_shr:1 row_mask:0xf bank_mask:0xf
	v_add_f32_e32 v6, v31, v6
	v_add_f32_e32 v2, v2, v3
	v_add_f32_e32 v4, v4, v5
	v_mov_b32_dpp v11, v6 row_shr:2 row_mask:0xf bank_mask:0xf
	v_add_f32_e32 v6, v6, v11
	v_mov_b32_dpp v1, v0 row_shr:8 row_mask:0xf bank_mask:0xc
	v_mov_b32_dpp v3, v2 row_shr:8 row_mask:0xf bank_mask:0xc
	;; [unrolled: 1-line block ×3, first 2 shown]
	v_add_f32_e32 v6, v6, v11
	v_mov_b32_dpp v5, v4 row_shr:8 row_mask:0xf bank_mask:0xc
	v_add_f32_e32 v0, v0, v1
	v_mov_b32_dpp v11, v6 row_shr:8 row_mask:0xf bank_mask:0xc
	v_add_f32_e32 v6, v6, v11
	v_add_f32_e32 v2, v2, v3
	;; [unrolled: 1-line block ×3, first 2 shown]
	v_mov_b32_dpp v11, v6 row_bcast:15 row_mask:0xa bank_mask:0xf
	v_add_f32_e32 v11, v6, v11
	v_mov_b32_dpp v6, v28 row_shr:1 row_mask:0xf bank_mask:0xf
	v_add_f32_e32 v6, v28, v6
	v_mov_b32_dpp v1, v0 row_bcast:15 row_mask:0xa bank_mask:0xf
	v_mov_b32_dpp v3, v2 row_bcast:15 row_mask:0xa bank_mask:0xf
	v_mov_b32_dpp v12, v6 row_shr:2 row_mask:0xf bank_mask:0xf
	v_add_f32_e32 v6, v6, v12
	v_mov_b32_dpp v5, v4 row_bcast:15 row_mask:0xa bank_mask:0xf
	v_add_f32_e32 v0, v0, v1
	v_mov_b32_dpp v12, v6 row_shr:4 row_mask:0xf bank_mask:0xe
	v_add_f32_e32 v6, v6, v12
	v_add_f32_e32 v2, v2, v3
	;; [unrolled: 1-line block ×3, first 2 shown]
	v_mov_b32_dpp v12, v6 row_shr:8 row_mask:0xf bank_mask:0xc
	v_add_f32_e32 v6, v6, v12
	v_mov_b32_dpp v1, v0 row_bcast:31 row_mask:0xc bank_mask:0xf
	v_mov_b32_dpp v3, v2 row_bcast:31 row_mask:0xc bank_mask:0xf
	;; [unrolled: 1-line block ×3, first 2 shown]
	v_add_f32_e32 v15, v6, v12
	v_mov_b32_dpp v6, v29 row_shr:1 row_mask:0xf bank_mask:0xf
	v_add_f32_e32 v6, v29, v6
	v_mov_b32_dpp v5, v4 row_bcast:31 row_mask:0xc bank_mask:0xf
	v_mov_b32_dpp v8, v7 row_bcast:31 row_mask:0xc bank_mask:0xf
	v_mov_b32_dpp v12, v6 row_shr:2 row_mask:0xf bank_mask:0xf
	v_add_f32_e32 v6, v6, v12
	v_mov_b32_dpp v10, v9 row_bcast:31 row_mask:0xc bank_mask:0xf
	v_mov_b32_dpp v13, v11 row_bcast:31 row_mask:0xc bank_mask:0xf
	v_mov_b32_dpp v12, v6 row_shr:4 row_mask:0xf bank_mask:0xe
	v_add_f32_e32 v6, v6, v12
	v_mov_b32_dpp v16, v15 row_bcast:31 row_mask:0xc bank_mask:0xf
	v_cmp_eq_u32_e32 vcc, 63, v25
	v_mov_b32_dpp v12, v6 row_shr:8 row_mask:0xf bank_mask:0xc
	v_add_f32_e32 v6, v6, v12
	s_nop 1
	v_mov_b32_dpp v12, v6 row_bcast:15 row_mask:0xa bank_mask:0xf
	v_add_f32_e32 v17, v6, v12
	s_nop 1
	v_mov_b32_dpp v18, v17 row_bcast:31 row_mask:0xc bank_mask:0xf
	s_and_b64 exec, exec, vcc
	s_cbranch_execz .LBB98_19
; %bb.15:
	s_load_dwordx2 s[2:3], s[0:1], 0x38
	v_cmp_eq_f32_e32 vcc, 0, v22
	v_cmp_eq_f32_e64 s[0:1], 0, v23
	v_add_f32_e32 v6, v0, v1
	v_add_f32_e32 v14, v2, v3
	;; [unrolled: 1-line block ×8, first 2 shown]
	s_and_b64 s[0:1], vcc, s[0:1]
	s_and_saveexec_b64 s[4:5], s[0:1]
	s_xor_b64 s[0:1], exec, s[4:5]
	s_cbranch_execz .LBB98_17
; %bb.16:
	v_xor_b32_e32 v18, 0x80000000, v21
	v_mov_b32_e32 v19, v20
	v_lshlrev_b32_e32 v16, 2, v24
	v_pk_mul_f32 v[14:15], v[14:15], v[18:19] op_sel_hi:[0,1]
	v_ashrrev_i32_e32 v17, 31, v16
	v_pk_fma_f32 v[14:15], v[20:21], v[6:7], v[14:15] op_sel_hi:[1,0,1]
	v_pk_mul_f32 v[6:7], v[12:13], v[18:19] op_sel_hi:[0,1]
	s_waitcnt lgkmcnt(0)
	v_lshl_add_u64 v[22:23], v[16:17], 3, s[2:3]
	v_pk_fma_f32 v[16:17], v[20:21], v[4:5], v[6:7] op_sel_hi:[1,0,1]
	v_pk_mul_f32 v[4:5], v[10:11], v[18:19] op_sel_hi:[0,1]
	v_pk_fma_f32 v[2:3], v[20:21], v[2:3], v[4:5] op_sel_hi:[1,0,1]
	v_pk_mul_f32 v[4:5], v[8:9], v[18:19] op_sel_hi:[0,1]
	v_pk_fma_f32 v[4:5], v[20:21], v[0:1], v[4:5] op_sel_hi:[1,0,1]
	global_store_dwordx4 v[22:23], v[14:17], off
	global_store_dwordx4 v[22:23], v[2:5], off offset:16
                                        ; implicit-def: $vgpr24
                                        ; implicit-def: $vgpr6
                                        ; implicit-def: $vgpr14
                                        ; implicit-def: $vgpr4
                                        ; implicit-def: $vgpr12
                                        ; implicit-def: $vgpr2
                                        ; implicit-def: $vgpr10
                                        ; implicit-def: $vgpr0
                                        ; implicit-def: $vgpr8
                                        ; implicit-def: $vgpr20_vgpr21
                                        ; implicit-def: $vgpr22_vgpr23
.LBB98_17:
	s_andn2_saveexec_b64 s[0:1], s[0:1]
	s_cbranch_execz .LBB98_19
; %bb.18:
	v_lshlrev_b32_e32 v16, 2, v24
	v_ashrrev_i32_e32 v17, 31, v16
	s_waitcnt lgkmcnt(0)
	v_lshl_add_u64 v[28:29], v[16:17], 3, s[2:3]
	global_load_dwordx4 v[16:19], v[28:29], off
	global_load_dwordx4 v[24:27], v[28:29], off offset:16
	v_xor_b32_e32 v30, 0x80000000, v21
	v_mov_b32_e32 v31, v20
	v_pk_mul_f32 v[14:15], v[14:15], v[30:31] op_sel_hi:[0,1]
	v_pk_mul_f32 v[12:13], v[12:13], v[30:31] op_sel_hi:[0,1]
	;; [unrolled: 1-line block ×4, first 2 shown]
	v_pk_fma_f32 v[6:7], v[20:21], v[6:7], v[14:15] op_sel_hi:[1,0,1]
	v_pk_fma_f32 v[4:5], v[20:21], v[4:5], v[12:13] op_sel_hi:[1,0,1]
	v_xor_b32_e32 v32, 0x80000000, v23
	v_mov_b32_e32 v33, v22
	v_pk_fma_f32 v[2:3], v[20:21], v[2:3], v[10:11] op_sel_hi:[1,0,1]
	v_pk_fma_f32 v[0:1], v[20:21], v[0:1], v[8:9] op_sel_hi:[1,0,1]
	s_waitcnt vmcnt(1)
	v_pk_fma_f32 v[6:7], v[22:23], v[16:17], v[6:7] op_sel_hi:[1,0,1]
	v_pk_fma_f32 v[4:5], v[22:23], v[18:19], v[4:5] op_sel_hi:[1,0,1]
	v_mov_b32_e32 v8, v19
	s_waitcnt vmcnt(0)
	v_pk_fma_f32 v[10:11], v[22:23], v[24:25], v[2:3] op_sel_hi:[1,0,1]
	v_pk_fma_f32 v[12:13], v[22:23], v[26:27], v[0:1] op_sel_hi:[1,0,1]
	v_mov_b32_e32 v14, v27
	v_pk_fma_f32 v[0:1], v[32:33], v[16:17], v[6:7] op_sel:[0,1,0]
	v_pk_fma_f32 v[2:3], v[32:33], v[8:9], v[4:5] op_sel_hi:[1,0,1]
	v_pk_fma_f32 v[4:5], v[32:33], v[24:25], v[10:11] op_sel:[0,1,0]
	v_pk_fma_f32 v[6:7], v[32:33], v[14:15], v[12:13] op_sel_hi:[1,0,1]
	global_store_dwordx4 v[28:29], v[0:3], off
	global_store_dwordx4 v[28:29], v[4:7], off offset:16
.LBB98_19:
	s_endpgm
	.section	.rodata,"a",@progbits
	.p2align	6, 0x0
	.amdhsa_kernel _ZN9rocsparseL19gebsrmvn_4xn_kernelILj128ELj6ELj64E21rocsparse_complex_numIfEEEvi20rocsparse_direction_NS_24const_host_device_scalarIT2_EEPKiS8_PKS5_SA_S6_PS5_21rocsparse_index_base_b
		.amdhsa_group_segment_fixed_size 0
		.amdhsa_private_segment_fixed_size 0
		.amdhsa_kernarg_size 72
		.amdhsa_user_sgpr_count 2
		.amdhsa_user_sgpr_dispatch_ptr 0
		.amdhsa_user_sgpr_queue_ptr 0
		.amdhsa_user_sgpr_kernarg_segment_ptr 1
		.amdhsa_user_sgpr_dispatch_id 0
		.amdhsa_user_sgpr_kernarg_preload_length 0
		.amdhsa_user_sgpr_kernarg_preload_offset 0
		.amdhsa_user_sgpr_private_segment_size 0
		.amdhsa_uses_dynamic_stack 0
		.amdhsa_enable_private_segment 0
		.amdhsa_system_sgpr_workgroup_id_x 1
		.amdhsa_system_sgpr_workgroup_id_y 0
		.amdhsa_system_sgpr_workgroup_id_z 0
		.amdhsa_system_sgpr_workgroup_info 0
		.amdhsa_system_vgpr_workitem_id 0
		.amdhsa_next_free_vgpr 88
		.amdhsa_next_free_sgpr 16
		.amdhsa_accum_offset 88
		.amdhsa_reserve_vcc 1
		.amdhsa_float_round_mode_32 0
		.amdhsa_float_round_mode_16_64 0
		.amdhsa_float_denorm_mode_32 3
		.amdhsa_float_denorm_mode_16_64 3
		.amdhsa_dx10_clamp 1
		.amdhsa_ieee_mode 1
		.amdhsa_fp16_overflow 0
		.amdhsa_tg_split 0
		.amdhsa_exception_fp_ieee_invalid_op 0
		.amdhsa_exception_fp_denorm_src 0
		.amdhsa_exception_fp_ieee_div_zero 0
		.amdhsa_exception_fp_ieee_overflow 0
		.amdhsa_exception_fp_ieee_underflow 0
		.amdhsa_exception_fp_ieee_inexact 0
		.amdhsa_exception_int_div_zero 0
	.end_amdhsa_kernel
	.section	.text._ZN9rocsparseL19gebsrmvn_4xn_kernelILj128ELj6ELj64E21rocsparse_complex_numIfEEEvi20rocsparse_direction_NS_24const_host_device_scalarIT2_EEPKiS8_PKS5_SA_S6_PS5_21rocsparse_index_base_b,"axG",@progbits,_ZN9rocsparseL19gebsrmvn_4xn_kernelILj128ELj6ELj64E21rocsparse_complex_numIfEEEvi20rocsparse_direction_NS_24const_host_device_scalarIT2_EEPKiS8_PKS5_SA_S6_PS5_21rocsparse_index_base_b,comdat
.Lfunc_end98:
	.size	_ZN9rocsparseL19gebsrmvn_4xn_kernelILj128ELj6ELj64E21rocsparse_complex_numIfEEEvi20rocsparse_direction_NS_24const_host_device_scalarIT2_EEPKiS8_PKS5_SA_S6_PS5_21rocsparse_index_base_b, .Lfunc_end98-_ZN9rocsparseL19gebsrmvn_4xn_kernelILj128ELj6ELj64E21rocsparse_complex_numIfEEEvi20rocsparse_direction_NS_24const_host_device_scalarIT2_EEPKiS8_PKS5_SA_S6_PS5_21rocsparse_index_base_b
                                        ; -- End function
	.set _ZN9rocsparseL19gebsrmvn_4xn_kernelILj128ELj6ELj64E21rocsparse_complex_numIfEEEvi20rocsparse_direction_NS_24const_host_device_scalarIT2_EEPKiS8_PKS5_SA_S6_PS5_21rocsparse_index_base_b.num_vgpr, 88
	.set _ZN9rocsparseL19gebsrmvn_4xn_kernelILj128ELj6ELj64E21rocsparse_complex_numIfEEEvi20rocsparse_direction_NS_24const_host_device_scalarIT2_EEPKiS8_PKS5_SA_S6_PS5_21rocsparse_index_base_b.num_agpr, 0
	.set _ZN9rocsparseL19gebsrmvn_4xn_kernelILj128ELj6ELj64E21rocsparse_complex_numIfEEEvi20rocsparse_direction_NS_24const_host_device_scalarIT2_EEPKiS8_PKS5_SA_S6_PS5_21rocsparse_index_base_b.numbered_sgpr, 16
	.set _ZN9rocsparseL19gebsrmvn_4xn_kernelILj128ELj6ELj64E21rocsparse_complex_numIfEEEvi20rocsparse_direction_NS_24const_host_device_scalarIT2_EEPKiS8_PKS5_SA_S6_PS5_21rocsparse_index_base_b.num_named_barrier, 0
	.set _ZN9rocsparseL19gebsrmvn_4xn_kernelILj128ELj6ELj64E21rocsparse_complex_numIfEEEvi20rocsparse_direction_NS_24const_host_device_scalarIT2_EEPKiS8_PKS5_SA_S6_PS5_21rocsparse_index_base_b.private_seg_size, 0
	.set _ZN9rocsparseL19gebsrmvn_4xn_kernelILj128ELj6ELj64E21rocsparse_complex_numIfEEEvi20rocsparse_direction_NS_24const_host_device_scalarIT2_EEPKiS8_PKS5_SA_S6_PS5_21rocsparse_index_base_b.uses_vcc, 1
	.set _ZN9rocsparseL19gebsrmvn_4xn_kernelILj128ELj6ELj64E21rocsparse_complex_numIfEEEvi20rocsparse_direction_NS_24const_host_device_scalarIT2_EEPKiS8_PKS5_SA_S6_PS5_21rocsparse_index_base_b.uses_flat_scratch, 0
	.set _ZN9rocsparseL19gebsrmvn_4xn_kernelILj128ELj6ELj64E21rocsparse_complex_numIfEEEvi20rocsparse_direction_NS_24const_host_device_scalarIT2_EEPKiS8_PKS5_SA_S6_PS5_21rocsparse_index_base_b.has_dyn_sized_stack, 0
	.set _ZN9rocsparseL19gebsrmvn_4xn_kernelILj128ELj6ELj64E21rocsparse_complex_numIfEEEvi20rocsparse_direction_NS_24const_host_device_scalarIT2_EEPKiS8_PKS5_SA_S6_PS5_21rocsparse_index_base_b.has_recursion, 0
	.set _ZN9rocsparseL19gebsrmvn_4xn_kernelILj128ELj6ELj64E21rocsparse_complex_numIfEEEvi20rocsparse_direction_NS_24const_host_device_scalarIT2_EEPKiS8_PKS5_SA_S6_PS5_21rocsparse_index_base_b.has_indirect_call, 0
	.section	.AMDGPU.csdata,"",@progbits
; Kernel info:
; codeLenInByte = 3552
; TotalNumSgprs: 22
; NumVgprs: 88
; NumAgprs: 0
; TotalNumVgprs: 88
; ScratchSize: 0
; MemoryBound: 0
; FloatMode: 240
; IeeeMode: 1
; LDSByteSize: 0 bytes/workgroup (compile time only)
; SGPRBlocks: 2
; VGPRBlocks: 10
; NumSGPRsForWavesPerEU: 22
; NumVGPRsForWavesPerEU: 88
; AccumOffset: 88
; Occupancy: 5
; WaveLimiterHint : 1
; COMPUTE_PGM_RSRC2:SCRATCH_EN: 0
; COMPUTE_PGM_RSRC2:USER_SGPR: 2
; COMPUTE_PGM_RSRC2:TRAP_HANDLER: 0
; COMPUTE_PGM_RSRC2:TGID_X_EN: 1
; COMPUTE_PGM_RSRC2:TGID_Y_EN: 0
; COMPUTE_PGM_RSRC2:TGID_Z_EN: 0
; COMPUTE_PGM_RSRC2:TIDIG_COMP_CNT: 0
; COMPUTE_PGM_RSRC3_GFX90A:ACCUM_OFFSET: 21
; COMPUTE_PGM_RSRC3_GFX90A:TG_SPLIT: 0
	.section	.text._ZN9rocsparseL19gebsrmvn_4xn_kernelILj128ELj7ELj4E21rocsparse_complex_numIfEEEvi20rocsparse_direction_NS_24const_host_device_scalarIT2_EEPKiS8_PKS5_SA_S6_PS5_21rocsparse_index_base_b,"axG",@progbits,_ZN9rocsparseL19gebsrmvn_4xn_kernelILj128ELj7ELj4E21rocsparse_complex_numIfEEEvi20rocsparse_direction_NS_24const_host_device_scalarIT2_EEPKiS8_PKS5_SA_S6_PS5_21rocsparse_index_base_b,comdat
	.globl	_ZN9rocsparseL19gebsrmvn_4xn_kernelILj128ELj7ELj4E21rocsparse_complex_numIfEEEvi20rocsparse_direction_NS_24const_host_device_scalarIT2_EEPKiS8_PKS5_SA_S6_PS5_21rocsparse_index_base_b ; -- Begin function _ZN9rocsparseL19gebsrmvn_4xn_kernelILj128ELj7ELj4E21rocsparse_complex_numIfEEEvi20rocsparse_direction_NS_24const_host_device_scalarIT2_EEPKiS8_PKS5_SA_S6_PS5_21rocsparse_index_base_b
	.p2align	8
	.type	_ZN9rocsparseL19gebsrmvn_4xn_kernelILj128ELj7ELj4E21rocsparse_complex_numIfEEEvi20rocsparse_direction_NS_24const_host_device_scalarIT2_EEPKiS8_PKS5_SA_S6_PS5_21rocsparse_index_base_b,@function
_ZN9rocsparseL19gebsrmvn_4xn_kernelILj128ELj7ELj4E21rocsparse_complex_numIfEEEvi20rocsparse_direction_NS_24const_host_device_scalarIT2_EEPKiS8_PKS5_SA_S6_PS5_21rocsparse_index_base_b: ; @_ZN9rocsparseL19gebsrmvn_4xn_kernelILj128ELj7ELj4E21rocsparse_complex_numIfEEEvi20rocsparse_direction_NS_24const_host_device_scalarIT2_EEPKiS8_PKS5_SA_S6_PS5_21rocsparse_index_base_b
; %bb.0:
	s_load_dwordx2 s[4:5], s[0:1], 0x8
	s_load_dwordx2 s[6:7], s[0:1], 0x30
	;; [unrolled: 1-line block ×3, first 2 shown]
	s_add_u32 s3, s0, 8
	s_addc_u32 s8, s1, 0
	s_add_u32 s9, s0, 48
	s_addc_u32 s10, s1, 0
	s_waitcnt lgkmcnt(0)
	s_bitcmp1_b32 s13, 0
	s_cselect_b32 s3, s3, s4
	s_cselect_b32 s5, s8, s5
	v_mov_b32_e32 v2, s3
	s_cselect_b32 s3, s10, s7
	s_cselect_b32 s4, s9, s6
	v_mov_b32_e32 v3, s5
	v_mov_b32_e32 v4, s4
	;; [unrolled: 1-line block ×3, first 2 shown]
	flat_load_dwordx2 v[8:9], v[2:3]
	flat_load_dwordx2 v[10:11], v[4:5]
	s_waitcnt vmcnt(0) lgkmcnt(0)
	v_cmp_eq_f32_e32 vcc, 0, v8
	v_cmp_eq_f32_e64 s[4:5], 0, v9
	v_cmp_eq_f32_e64 s[6:7], 1.0, v10
	v_cmp_eq_f32_e64 s[8:9], 0, v11
	s_and_b64 s[4:5], vcc, s[4:5]
	s_and_b64 s[6:7], s[6:7], s[8:9]
	s_and_b64 s[4:5], s[4:5], s[6:7]
	s_xor_b64 s[4:5], s[4:5], -1
	s_and_saveexec_b64 s[6:7], s[4:5]
	s_cbranch_execz .LBB99_19
; %bb.1:
	s_load_dwordx2 s[14:15], s[0:1], 0x0
	v_lshrrev_b32_e32 v1, 2, v0
	v_lshl_or_b32 v12, s2, 5, v1
	s_waitcnt lgkmcnt(0)
	v_cmp_gt_i32_e32 vcc, s14, v12
	s_and_b64 exec, exec, vcc
	s_cbranch_execz .LBB99_19
; %bb.2:
	s_load_dwordx8 s[4:11], s[0:1], 0x10
	v_ashrrev_i32_e32 v13, 31, v12
	s_cmp_lg_u32 s15, 0
	s_waitcnt lgkmcnt(0)
	v_lshl_add_u64 v[2:3], v[12:13], 2, s[4:5]
	global_load_dwordx2 v[2:3], v[2:3], off
	v_and_b32_e32 v13, 3, v0
	s_waitcnt vmcnt(0)
	v_subrev_u32_e32 v0, s12, v2
	v_subrev_u32_e32 v32, s12, v3
	v_add_u32_e32 v14, v0, v13
	v_cmp_lt_i32_e64 s[2:3], v14, v32
	s_cbranch_scc0 .LBB99_8
; %bb.3:
	v_mov_b32_e32 v17, 0
	v_mov_b32_e32 v16, v17
	;; [unrolled: 1-line block ×8, first 2 shown]
	s_and_saveexec_b64 s[4:5], s[2:3]
	s_cbranch_execz .LBB99_7
; %bb.4:
	v_mad_u64_u32 v[24:25], s[14:15], v14, 28, 24
	v_mov_b32_e32 v27, 0
	s_mov_b64 s[14:15], 0
	v_mov_b32_e32 v28, v14
	v_mov_b32_e32 v18, v27
	;; [unrolled: 1-line block ×9, first 2 shown]
.LBB99_5:                               ; =>This Inner Loop Header: Depth=1
	v_ashrrev_i32_e32 v29, 31, v28
	v_subrev_u32_e32 v26, 24, v24
	v_lshl_add_u64 v[0:1], v[28:29], 2, s[6:7]
	v_lshl_add_u64 v[2:3], v[26:27], 3, s[8:9]
	global_load_dword v15, v[0:1], off
	global_load_dwordx4 v[34:37], v[2:3], off
	global_load_dwordx4 v[38:41], v[2:3], off offset:16
	v_mov_b32_e32 v25, v27
	v_mov_b32_e32 v31, v27
	v_subrev_u32_e32 v26, 20, v24
	v_lshl_add_u64 v[50:51], v[24:25], 3, s[8:9]
	v_lshl_add_u64 v[52:53], v[26:27], 3, s[8:9]
	global_load_dwordx4 v[0:3], v[50:51], off offset:16
	global_load_dwordx4 v[4:7], v[50:51], off
	global_load_dwordx4 v[42:45], v[52:53], off
	global_load_dwordx4 v[46:49], v[52:53], off offset:16
	v_add_u32_e32 v28, 4, v28
	v_cmp_ge_i32_e32 vcc, v28, v32
	s_or_b64 s[14:15], vcc, s[14:15]
	s_waitcnt vmcnt(6)
	v_subrev_u32_e32 v15, s12, v15
	v_mul_lo_u32 v30, v15, 7
	v_lshl_add_u64 v[50:51], v[30:31], 3, s[10:11]
	global_load_dwordx2 v[78:79], v[50:51], off
	v_add_u32_e32 v26, 1, v30
	v_lshl_add_u64 v[50:51], v[26:27], 3, s[10:11]
	global_load_dwordx2 v[80:81], v[50:51], off
	v_add_u32_e32 v26, -16, v24
	v_lshl_add_u64 v[58:59], v[26:27], 3, s[8:9]
	v_add_u32_e32 v26, 2, v30
	v_lshl_add_u64 v[60:61], v[26:27], 3, s[10:11]
	v_add_u32_e32 v26, -12, v24
	global_load_dwordx4 v[50:53], v[58:59], off
	global_load_dwordx4 v[54:57], v[58:59], off offset:16
	global_load_dwordx2 v[82:83], v[60:61], off
	v_lshl_add_u64 v[84:85], v[26:27], 3, s[8:9]
	v_add_u32_e32 v26, 3, v30
	s_waitcnt vmcnt(10)
	v_xor_b32_e32 v66, 0x80000000, v37
	v_mov_b32_e32 v67, v36
	global_load_dwordx4 v[58:61], v[84:85], off offset:16
	global_load_dwordx4 v[62:65], v[84:85], off
	s_waitcnt vmcnt(11)
	v_xor_b32_e32 v68, 0x80000000, v41
	v_mov_b32_e32 v69, v40
	s_waitcnt vmcnt(8)
	v_xor_b32_e32 v72, 0x80000000, v45
	v_mov_b32_e32 v73, v44
	v_xor_b32_e32 v70, 0x80000000, v43
	s_waitcnt vmcnt(7)
	v_xor_b32_e32 v74, 0x80000000, v47
	v_xor_b32_e32 v76, 0x80000000, v49
	v_mov_b32_e32 v71, v42
	v_mov_b32_e32 v75, v46
	;; [unrolled: 1-line block ×3, first 2 shown]
	s_waitcnt vmcnt(6)
	v_pk_fma_f32 v[16:17], v[34:35], v[78:79], v[16:17] op_sel_hi:[1,0,1]
	s_nop 0
	v_pk_fma_f32 v[34:35], v[34:35], v[78:79], v[16:17] op_sel:[1,1,0] op_sel_hi:[0,1,1] neg_lo:[1,0,0]
	v_lshl_add_u64 v[16:17], v[26:27], 3, s[10:11]
	v_add_u32_e32 v26, -8, v24
	v_pk_fma_f32 v[22:23], v[36:37], v[78:79], v[22:23] op_sel_hi:[1,0,1]
	global_load_dwordx2 v[84:85], v[16:17], off
	v_lshl_add_u64 v[36:37], v[26:27], 3, s[8:9]
	v_add_u32_e32 v26, 4, v30
	v_pk_fma_f32 v[16:17], v[38:39], v[78:79], v[20:21] op_sel_hi:[1,0,1]
	v_pk_fma_f32 v[40:41], v[40:41], v[78:79], v[18:19] op_sel_hi:[1,0,1]
	v_pk_fma_f32 v[38:39], v[38:39], v[78:79], v[16:17] op_sel:[1,1,0] op_sel_hi:[0,1,1] neg_lo:[1,0,0]
	global_load_dwordx4 v[16:19], v[36:37], off
	v_pk_fma_f32 v[66:67], v[66:67], v[78:79], v[22:23] op_sel:[0,1,0]
	global_load_dwordx4 v[20:23], v[36:37], off offset:16
	v_lshl_add_u64 v[36:37], v[26:27], 3, s[10:11]
	v_add_u32_e32 v26, -4, v24
	v_pk_fma_f32 v[40:41], v[68:69], v[78:79], v[40:41] op_sel:[0,1,0]
	v_lshl_add_u64 v[68:69], v[26:27], 3, s[8:9]
	v_add_u32_e32 v26, 5, v30
	global_load_dwordx2 v[78:79], v[36:37], off
	s_waitcnt vmcnt(9)
	v_pk_fma_f32 v[44:45], v[44:45], v[80:81], v[66:67] op_sel_hi:[1,0,1]
	v_lshl_add_u64 v[66:67], v[26:27], 3, s[10:11]
	v_pk_fma_f32 v[42:43], v[42:43], v[80:81], v[34:35] op_sel_hi:[1,0,1]
	v_pk_fma_f32 v[46:47], v[46:47], v[80:81], v[38:39] op_sel_hi:[1,0,1]
	;; [unrolled: 1-line block ×3, first 2 shown]
	global_load_dwordx4 v[38:41], v[68:69], off offset:16
	v_add_u32_e32 v26, 6, v30
	global_load_dwordx2 v[30:31], v[66:67], off
	global_load_dwordx4 v[34:37], v[68:69], off
	v_lshl_add_u64 v[66:67], v[26:27], 3, s[10:11]
	global_load_dwordx2 v[66:67], v[66:67], off
	v_pk_fma_f32 v[42:43], v[70:71], v[80:81], v[42:43] op_sel:[0,1,0]
	v_pk_fma_f32 v[44:45], v[72:73], v[80:81], v[44:45] op_sel:[0,1,0]
	;; [unrolled: 1-line block ×4, first 2 shown]
	s_waitcnt vmcnt(12)
	v_xor_b32_e32 v72, 0x80000000, v53
	v_mov_b32_e32 v73, v52
	s_waitcnt vmcnt(11)
	v_xor_b32_e32 v74, 0x80000000, v57
	v_mov_b32_e32 v75, v56
	s_waitcnt vmcnt(10)
	v_pk_fma_f32 v[42:43], v[50:51], v[82:83], v[42:43] op_sel_hi:[1,0,1]
	v_pk_fma_f32 v[44:45], v[52:53], v[82:83], v[44:45] op_sel_hi:[1,0,1]
	;; [unrolled: 1-line block ×4, first 2 shown]
	v_pk_fma_f32 v[42:43], v[50:51], v[82:83], v[42:43] op_sel:[1,1,0] op_sel_hi:[0,1,1] neg_lo:[1,0,0]
	v_pk_fma_f32 v[46:47], v[54:55], v[82:83], v[46:47] op_sel:[1,1,0] op_sel_hi:[0,1,1] neg_lo:[1,0,0]
	v_pk_fma_f32 v[44:45], v[72:73], v[82:83], v[44:45] op_sel:[0,1,0]
	v_pk_fma_f32 v[48:49], v[74:75], v[82:83], v[48:49] op_sel:[0,1,0]
	s_waitcnt vmcnt(8)
	v_xor_b32_e32 v52, 0x80000000, v65
	v_mov_b32_e32 v53, v64
	v_xor_b32_e32 v50, 0x80000000, v61
	v_mov_b32_e32 v51, v60
	;; [unrolled: 2-line block ×4, first 2 shown]
	v_add_u32_e32 v24, 0x70, v24
	s_waitcnt vmcnt(7)
	v_pk_fma_f32 v[42:43], v[62:63], v[84:85], v[42:43] op_sel_hi:[1,0,1]
	v_pk_fma_f32 v[44:45], v[64:65], v[84:85], v[44:45] op_sel_hi:[1,0,1]
	;; [unrolled: 1-line block ×4, first 2 shown]
	v_pk_fma_f32 v[42:43], v[62:63], v[84:85], v[42:43] op_sel:[1,1,0] op_sel_hi:[0,1,1] neg_lo:[1,0,0]
	v_pk_fma_f32 v[44:45], v[52:53], v[84:85], v[44:45] op_sel:[0,1,0]
	v_pk_fma_f32 v[46:47], v[58:59], v[84:85], v[46:47] op_sel:[1,1,0] op_sel_hi:[0,1,1] neg_lo:[1,0,0]
	v_pk_fma_f32 v[48:49], v[50:51], v[84:85], v[48:49] op_sel:[0,1,0]
	s_waitcnt vmcnt(6)
	v_xor_b32_e32 v54, 0x80000000, v19
	v_mov_b32_e32 v55, v18
	s_waitcnt vmcnt(5)
	v_xor_b32_e32 v56, 0x80000000, v23
	v_mov_b32_e32 v57, v22
	s_waitcnt vmcnt(4)
	v_pk_fma_f32 v[42:43], v[16:17], v[78:79], v[42:43] op_sel_hi:[1,0,1]
	v_pk_fma_f32 v[18:19], v[18:19], v[78:79], v[44:45] op_sel_hi:[1,0,1]
	v_pk_fma_f32 v[46:47], v[20:21], v[78:79], v[46:47] op_sel_hi:[1,0,1]
	v_pk_fma_f32 v[22:23], v[22:23], v[78:79], v[48:49] op_sel_hi:[1,0,1]
	v_pk_fma_f32 v[16:17], v[16:17], v[78:79], v[42:43] op_sel:[1,1,0] op_sel_hi:[0,1,1] neg_lo:[1,0,0]
	v_pk_fma_f32 v[18:19], v[54:55], v[78:79], v[18:19] op_sel:[0,1,0]
	v_pk_fma_f32 v[20:21], v[20:21], v[78:79], v[46:47] op_sel:[1,1,0] op_sel_hi:[0,1,1] neg_lo:[1,0,0]
	v_pk_fma_f32 v[22:23], v[56:57], v[78:79], v[22:23] op_sel:[0,1,0]
	s_waitcnt vmcnt(3)
	v_xor_b32_e32 v48, 0x80000000, v41
	s_waitcnt vmcnt(1)
	v_xor_b32_e32 v44, 0x80000000, v37
	v_mov_b32_e32 v45, v36
	v_mov_b32_e32 v49, v40
	v_pk_fma_f32 v[16:17], v[34:35], v[30:31], v[16:17] op_sel_hi:[1,0,1]
	v_pk_fma_f32 v[18:19], v[36:37], v[30:31], v[18:19] op_sel_hi:[1,0,1]
	;; [unrolled: 1-line block ×4, first 2 shown]
	v_pk_fma_f32 v[16:17], v[34:35], v[30:31], v[16:17] op_sel:[1,1,0] op_sel_hi:[0,1,1] neg_lo:[1,0,0]
	v_pk_fma_f32 v[18:19], v[44:45], v[30:31], v[18:19] op_sel:[0,1,0]
	v_pk_fma_f32 v[20:21], v[38:39], v[30:31], v[20:21] op_sel:[1,1,0] op_sel_hi:[0,1,1] neg_lo:[1,0,0]
	v_pk_fma_f32 v[22:23], v[48:49], v[30:31], v[22:23] op_sel:[0,1,0]
	s_waitcnt vmcnt(0)
	v_pk_fma_f32 v[16:17], v[4:5], v[66:67], v[16:17] op_sel_hi:[1,0,1]
	v_pk_fma_f32 v[6:7], v[6:7], v[66:67], v[18:19] op_sel_hi:[1,0,1]
	;; [unrolled: 1-line block ×4, first 2 shown]
	v_pk_fma_f32 v[16:17], v[4:5], v[66:67], v[16:17] op_sel:[1,1,0] op_sel_hi:[0,1,1] neg_lo:[1,0,0]
	v_pk_fma_f32 v[22:23], v[68:69], v[66:67], v[6:7] op_sel:[0,1,0]
	v_pk_fma_f32 v[20:21], v[0:1], v[66:67], v[18:19] op_sel:[1,1,0] op_sel_hi:[0,1,1] neg_lo:[1,0,0]
	v_pk_fma_f32 v[18:19], v[70:71], v[66:67], v[2:3] op_sel:[0,1,0]
	s_andn2_b64 exec, exec, s[14:15]
	s_cbranch_execnz .LBB99_5
; %bb.6:
	s_or_b64 exec, exec, s[14:15]
.LBB99_7:
	s_or_b64 exec, exec, s[4:5]
	s_cbranch_execz .LBB99_9
	s_branch .LBB99_14
.LBB99_8:
                                        ; implicit-def: $vgpr17
                                        ; implicit-def: $vgpr19
                                        ; implicit-def: $vgpr21
                                        ; implicit-def: $vgpr23
.LBB99_9:
	v_mov_b32_e32 v17, 0
	v_mov_b32_e32 v16, v17
	;; [unrolled: 1-line block ×8, first 2 shown]
	s_and_saveexec_b64 s[4:5], s[2:3]
	s_cbranch_execz .LBB99_13
; %bb.10:
	v_mad_u64_u32 v[4:5], s[2:3], v14, 28, 27
	v_mov_b32_e32 v7, 0
	s_mov_b64 s[2:3], 0
	v_mov_b32_e32 v18, v7
	v_mov_b32_e32 v19, v7
	;; [unrolled: 1-line block ×8, first 2 shown]
.LBB99_11:                              ; =>This Inner Loop Header: Depth=1
	v_ashrrev_i32_e32 v15, 31, v14
	v_subrev_u32_e32 v6, 27, v4
	v_subrev_u32_e32 v26, 20, v4
	v_add_u32_e32 v2, -13, v4
	v_add_u32_e32 v0, -6, v4
	v_mov_b32_e32 v27, v7
	v_mov_b32_e32 v3, v7
	;; [unrolled: 1-line block ×3, first 2 shown]
	v_lshl_add_u64 v[30:31], v[14:15], 2, s[6:7]
	v_lshl_add_u64 v[34:35], v[6:7], 3, s[8:9]
	;; [unrolled: 1-line block ×5, first 2 shown]
	global_load_dword v5, v[30:31], off
	global_load_dwordx4 v[26:29], v[34:35], off
	global_load_dwordx2 v[42:43], v[36:37], off
	global_load_dwordx2 v[44:45], v[38:39], off
	;; [unrolled: 1-line block ×3, first 2 shown]
	global_load_dwordx4 v[0:3], v[34:35], off offset:16
	v_mov_b32_e32 v25, v7
	v_add_u32_e32 v14, 4, v14
	v_cmp_ge_i32_e32 vcc, v14, v32
	s_or_b64 s[2:3], vcc, s[2:3]
	s_waitcnt vmcnt(5)
	v_subrev_u32_e32 v5, s12, v5
	v_mul_lo_u32 v24, v5, 7
	v_lshl_add_u64 v[40:41], v[24:25], 3, s[10:11]
	global_load_dwordx2 v[40:41], v[40:41], off
	v_add_u32_e32 v6, 1, v24
	v_lshl_add_u64 v[48:49], v[6:7], 3, s[10:11]
	global_load_dwordx2 v[48:49], v[48:49], off
	v_subrev_u32_e32 v6, 19, v4
	v_lshl_add_u64 v[50:51], v[6:7], 3, s[8:9]
	v_add_u32_e32 v6, -12, v4
	v_lshl_add_u64 v[52:53], v[6:7], 3, s[8:9]
	v_add_u32_e32 v6, -5, v4
	v_lshl_add_u64 v[54:55], v[6:7], 3, s[8:9]
	v_add_u32_e32 v6, 2, v24
	v_lshl_add_u64 v[56:57], v[6:7], 3, s[10:11]
	v_subrev_u32_e32 v6, 18, v4
	v_lshl_add_u64 v[58:59], v[6:7], 3, s[8:9]
	v_add_u32_e32 v6, -11, v4
	v_lshl_add_u64 v[60:61], v[6:7], 3, s[8:9]
	v_add_u32_e32 v6, -4, v4
	v_lshl_add_u64 v[62:63], v[6:7], 3, s[8:9]
	v_add_u32_e32 v6, 3, v24
	v_lshl_add_u64 v[64:65], v[6:7], 3, s[10:11]
	v_subrev_u32_e32 v6, 17, v4
	v_lshl_add_u64 v[66:67], v[6:7], 3, s[8:9]
	v_add_u32_e32 v6, -10, v4
	v_lshl_add_u64 v[68:69], v[6:7], 3, s[8:9]
	v_add_u32_e32 v6, -3, v4
	v_lshl_add_u64 v[70:71], v[6:7], 3, s[8:9]
	v_subrev_u32_e32 v6, 23, v4
	v_lshl_add_u64 v[72:73], v[6:7], 3, s[8:9]
	v_add_u32_e32 v6, 4, v24
	s_waitcnt vmcnt(5)
	v_xor_b32_e32 v34, 0x80000000, v43
	v_mov_b32_e32 v35, v42
	s_waitcnt vmcnt(4)
	v_xor_b32_e32 v36, 0x80000000, v45
	v_mov_b32_e32 v37, v44
	s_waitcnt vmcnt(3)
	v_xor_b32_e32 v38, 0x80000000, v47
	v_mov_b32_e32 v39, v46
	v_xor_b32_e32 v30, 0x80000000, v29
	v_mov_b32_e32 v31, v28
	v_mov_b32_e32 v5, v7
	s_waitcnt vmcnt(1)
	v_pk_fma_f32 v[22:23], v[42:43], v[40:41], v[22:23] op_sel_hi:[1,0,1]
	v_lshl_add_u64 v[42:43], v[6:7], 3, s[10:11]
	v_add_u32_e32 v6, -16, v4
	v_pk_fma_f32 v[20:21], v[44:45], v[40:41], v[20:21] op_sel_hi:[1,0,1]
	v_lshl_add_u64 v[44:45], v[6:7], 3, s[8:9]
	v_add_u32_e32 v6, -9, v4
	;; [unrolled: 3-line block ×3, first 2 shown]
	v_pk_fma_f32 v[22:23], v[34:35], v[40:41], v[22:23] op_sel:[0,1,0]
	v_lshl_add_u64 v[34:35], v[6:7], 3, s[8:9]
	v_subrev_u32_e32 v6, 22, v4
	v_pk_fma_f32 v[20:21], v[36:37], v[40:41], v[20:21] op_sel:[0,1,0]
	v_lshl_add_u64 v[36:37], v[6:7], 3, s[8:9]
	v_add_u32_e32 v6, 5, v24
	v_pk_fma_f32 v[18:19], v[38:39], v[40:41], v[18:19] op_sel:[0,1,0]
	v_lshl_add_u64 v[38:39], v[6:7], 3, s[10:11]
	v_add_u32_e32 v6, -15, v4
	v_pk_fma_f32 v[16:17], v[26:27], v[40:41], v[16:17] op_sel_hi:[1,0,1]
	s_nop 0
	v_pk_fma_f32 v[16:17], v[26:27], v[40:41], v[16:17] op_sel:[1,1,0] op_sel_hi:[0,1,1] neg_lo:[1,0,0]
	v_lshl_add_u64 v[26:27], v[6:7], 3, s[8:9]
	v_add_u32_e32 v6, -8, v4
	s_waitcnt vmcnt(0)
	v_pk_fma_f32 v[16:17], v[28:29], v[48:49], v[16:17] op_sel_hi:[1,0,1]
	v_lshl_add_u64 v[28:29], v[6:7], 3, s[8:9]
	v_add_u32_e32 v6, -1, v4
	v_lshl_add_u64 v[40:41], v[6:7], 3, s[8:9]
	v_subrev_u32_e32 v6, 21, v4
	v_lshl_add_u64 v[74:75], v[6:7], 3, s[8:9]
	v_add_u32_e32 v6, 6, v24
	global_load_dwordx2 v[24:25], v[50:51], off
	global_load_dwordx2 v[76:77], v[52:53], off
	;; [unrolled: 1-line block ×3, first 2 shown]
	v_pk_fma_f32 v[16:17], v[30:31], v[48:49], v[16:17] op_sel:[0,1,0]
	global_load_dwordx2 v[30:31], v[56:57], off
	global_load_dwordx2 v[52:53], v[58:59], off
	;; [unrolled: 1-line block ×15, first 2 shown]
                                        ; kill: killed $vgpr66_vgpr67
                                        ; kill: killed $vgpr70_vgpr71
                                        ; kill: killed $vgpr72_vgpr73
                                        ; kill: killed $vgpr46_vgpr47
                                        ; kill: killed $vgpr58_vgpr59
                                        ; kill: killed $vgpr38_vgpr39
                                        ; kill: killed $vgpr62_vgpr63
                                        ; kill: killed $vgpr64_vgpr65
                                        ; kill: killed $vgpr68_vgpr69
                                        ; kill: killed $vgpr44_vgpr45
                                        ; kill: killed $vgpr42_vgpr43
                                        ; kill: killed $vgpr34_vgpr35
                                        ; kill: killed $vgpr56_vgpr57
                                        ; kill: killed $vgpr36_vgpr37
                                        ; kill: killed $vgpr60_vgpr61
	s_nop 0
	global_load_dwordx2 v[34:35], v[26:27], off
	global_load_dwordx2 v[36:37], v[28:29], off
	v_lshl_add_u64 v[28:29], v[6:7], 3, s[10:11]
	v_add_u32_e32 v6, -14, v4
	global_load_dwordx2 v[38:39], v[74:75], off
	global_load_dwordx2 v[42:43], v[40:41], off
	;; [unrolled: 1-line block ×3, first 2 shown]
	v_lshl_add_u64 v[28:29], v[6:7], 3, s[8:9]
	v_add_u32_e32 v6, -7, v4
	global_load_dwordx2 v[28:29], v[28:29], off
	s_waitcnt vmcnt(20)
	v_pk_fma_f32 v[16:17], v[0:1], v[30:31], v[16:17] op_sel_hi:[1,0,1]
	s_nop 0
	v_pk_fma_f32 v[0:1], v[0:1], v[30:31], v[16:17] op_sel:[1,1,0] op_sel_hi:[0,1,1] neg_lo:[1,0,0]
	s_waitcnt vmcnt(16)
	v_pk_fma_f32 v[0:1], v[2:3], v[82:83], v[0:1] op_sel_hi:[1,0,1]
	v_pk_fma_f32 v[22:23], v[24:25], v[48:49], v[22:23] op_sel_hi:[1,0,1]
	v_xor_b32_e32 v26, 0x80000000, v77
	v_pk_fma_f32 v[20:21], v[76:77], v[48:49], v[20:21] op_sel_hi:[1,0,1]
	v_mov_b32_e32 v27, v76
	v_pk_fma_f32 v[20:21], v[26:27], v[48:49], v[20:21] op_sel:[0,1,0]
	v_xor_b32_e32 v26, 0x80000000, v79
	v_pk_fma_f32 v[18:19], v[78:79], v[48:49], v[18:19] op_sel_hi:[1,0,1]
	v_mov_b32_e32 v27, v78
	v_pk_fma_f32 v[18:19], v[26:27], v[48:49], v[18:19] op_sel:[0,1,0]
	v_lshl_add_u64 v[26:27], v[6:7], 3, s[8:9]
	v_xor_b32_e32 v50, 0x80000000, v25
	v_mov_b32_e32 v51, v24
	v_lshl_add_u64 v[24:25], v[4:5], 3, s[8:9]
	global_load_dwordx2 v[40:41], v[26:27], off
	global_load_dwordx2 v[46:47], v[24:25], off
	v_pk_fma_f32 v[22:23], v[50:51], v[48:49], v[22:23] op_sel:[0,1,0]
	v_xor_b32_e32 v24, 0x80000000, v53
	v_pk_fma_f32 v[22:23], v[52:53], v[30:31], v[22:23] op_sel_hi:[1,0,1]
	v_mov_b32_e32 v25, v52
	v_pk_fma_f32 v[16:17], v[24:25], v[30:31], v[22:23] op_sel:[0,1,0]
	v_xor_b32_e32 v22, 0x80000000, v55
	v_pk_fma_f32 v[20:21], v[54:55], v[30:31], v[20:21] op_sel_hi:[1,0,1]
	v_mov_b32_e32 v23, v54
	;; [unrolled: 4-line block ×3, first 2 shown]
	v_xor_b32_e32 v26, 0x80000000, v3
	v_mov_b32_e32 v27, v2
	v_pk_fma_f32 v[2:3], v[22:23], v[30:31], v[18:19] op_sel:[0,1,0]
	s_waitcnt vmcnt(17)
	v_xor_b32_e32 v18, 0x80000000, v85
	v_pk_fma_f32 v[16:17], v[84:85], v[82:83], v[16:17] op_sel_hi:[1,0,1]
	v_mov_b32_e32 v19, v84
	v_pk_fma_f32 v[0:1], v[26:27], v[82:83], v[0:1] op_sel:[0,1,0]
	v_pk_fma_f32 v[16:17], v[18:19], v[82:83], v[16:17] op_sel:[0,1,0]
	s_waitcnt vmcnt(16)
	v_xor_b32_e32 v18, 0x80000000, v87
	v_pk_fma_f32 v[20:21], v[86:87], v[82:83], v[20:21] op_sel_hi:[1,0,1]
	v_mov_b32_e32 v19, v86
	v_pk_fma_f32 v[18:19], v[18:19], v[82:83], v[20:21] op_sel:[0,1,0]
	s_waitcnt vmcnt(15)
	v_xor_b32_e32 v20, 0x80000000, v89
	v_mov_b32_e32 v21, v88
	s_waitcnt vmcnt(13)
	v_pk_fma_f32 v[0:1], v[88:89], v[92:93], v[0:1] op_sel_hi:[1,0,1]
	s_waitcnt vmcnt(12)
	v_pk_fma_f32 v[16:17], v[94:95], v[92:93], v[16:17] op_sel_hi:[1,0,1]
	v_pk_fma_f32 v[0:1], v[20:21], v[92:93], v[0:1] op_sel:[0,1,0]
	v_xor_b32_e32 v20, 0x80000000, v95
	v_mov_b32_e32 v21, v94
	v_xor_b32_e32 v22, 0x80000000, v91
	v_pk_fma_f32 v[2:3], v[90:91], v[82:83], v[2:3] op_sel_hi:[1,0,1]
	v_mov_b32_e32 v23, v90
	v_pk_fma_f32 v[16:17], v[20:21], v[92:93], v[16:17] op_sel:[0,1,0]
	s_waitcnt vmcnt(11)
	v_xor_b32_e32 v20, 0x80000000, v97
	v_pk_fma_f32 v[18:19], v[96:97], v[92:93], v[18:19] op_sel_hi:[1,0,1]
	v_mov_b32_e32 v21, v96
	v_pk_fma_f32 v[2:3], v[22:23], v[82:83], v[2:3] op_sel:[0,1,0]
	v_pk_fma_f32 v[18:19], v[20:21], v[92:93], v[18:19] op_sel:[0,1,0]
	s_waitcnt vmcnt(10)
	v_xor_b32_e32 v20, 0x80000000, v99
	v_mov_b32_e32 v21, v98
	s_waitcnt vmcnt(8)
	v_pk_fma_f32 v[0:1], v[98:99], v[102:103], v[0:1] op_sel_hi:[1,0,1]
	v_xor_b32_e32 v22, 0x80000000, v101
	v_pk_fma_f32 v[2:3], v[100:101], v[92:93], v[2:3] op_sel_hi:[1,0,1]
	v_mov_b32_e32 v23, v100
	v_pk_fma_f32 v[0:1], v[20:21], v[102:103], v[0:1] op_sel:[0,1,0]
	s_waitcnt vmcnt(7)
	v_xor_b32_e32 v20, 0x80000000, v35
	v_pk_fma_f32 v[16:17], v[34:35], v[102:103], v[16:17] op_sel_hi:[1,0,1]
	v_mov_b32_e32 v21, v34
	v_pk_fma_f32 v[2:3], v[22:23], v[92:93], v[2:3] op_sel:[0,1,0]
	v_pk_fma_f32 v[20:21], v[20:21], v[102:103], v[16:17] op_sel:[0,1,0]
	s_waitcnt vmcnt(6)
	v_xor_b32_e32 v16, 0x80000000, v37
	v_pk_fma_f32 v[18:19], v[36:37], v[102:103], v[18:19] op_sel_hi:[1,0,1]
	v_mov_b32_e32 v17, v36
	v_pk_fma_f32 v[18:19], v[16:17], v[102:103], v[18:19] op_sel:[0,1,0]
	s_waitcnt vmcnt(5)
	v_xor_b32_e32 v16, 0x80000000, v39
	v_mov_b32_e32 v17, v38
	s_waitcnt vmcnt(4)
	v_xor_b32_e32 v22, 0x80000000, v43
	v_pk_fma_f32 v[2:3], v[42:43], v[102:103], v[2:3] op_sel_hi:[1,0,1]
	v_mov_b32_e32 v23, v42
	s_waitcnt vmcnt(3)
	v_pk_fma_f32 v[0:1], v[38:39], v[44:45], v[0:1] op_sel_hi:[1,0,1]
	v_pk_fma_f32 v[2:3], v[22:23], v[102:103], v[2:3] op_sel:[0,1,0]
	v_pk_fma_f32 v[16:17], v[16:17], v[44:45], v[0:1] op_sel:[0,1,0]
	s_waitcnt vmcnt(2)
	v_xor_b32_e32 v0, 0x80000000, v29
	v_pk_fma_f32 v[20:21], v[28:29], v[44:45], v[20:21] op_sel_hi:[1,0,1]
	v_mov_b32_e32 v1, v28
	v_pk_fma_f32 v[22:23], v[0:1], v[44:45], v[20:21] op_sel:[0,1,0]
	v_add_u32_e32 v4, 0x70, v4
	s_waitcnt vmcnt(1)
	v_xor_b32_e32 v0, 0x80000000, v41
	v_pk_fma_f32 v[18:19], v[40:41], v[44:45], v[18:19] op_sel_hi:[1,0,1]
	v_mov_b32_e32 v1, v40
	s_waitcnt vmcnt(0)
	v_xor_b32_e32 v24, 0x80000000, v47
	v_pk_fma_f32 v[2:3], v[46:47], v[44:45], v[2:3] op_sel_hi:[1,0,1]
	v_mov_b32_e32 v25, v46
	v_pk_fma_f32 v[20:21], v[0:1], v[44:45], v[18:19] op_sel:[0,1,0]
	v_pk_fma_f32 v[18:19], v[24:25], v[44:45], v[2:3] op_sel:[0,1,0]
	s_andn2_b64 exec, exec, s[2:3]
	s_cbranch_execnz .LBB99_11
; %bb.12:
	s_or_b64 exec, exec, s[2:3]
.LBB99_13:
	s_or_b64 exec, exec, s[4:5]
.LBB99_14:
	v_mov_b32_dpp v6, v23 row_shr:1 row_mask:0xf bank_mask:0xf
	v_add_f32_e32 v7, v23, v6
	v_mov_b32_dpp v2, v17 row_shr:1 row_mask:0xf bank_mask:0xf
	v_mov_b32_dpp v6, v20 row_shr:1 row_mask:0xf bank_mask:0xf
	v_add_f32_e32 v15, v20, v6
	v_add_f32_e32 v2, v17, v2
	v_mov_b32_dpp v6, v21 row_shr:1 row_mask:0xf bank_mask:0xf
	v_mov_b32_dpp v4, v22 row_shr:1 row_mask:0xf bank_mask:0xf
	v_add_f32_e32 v17, v21, v6
	v_mov_b32_dpp v6, v18 row_shr:1 row_mask:0xf bank_mask:0xf
	v_mov_b32_dpp v0, v16 row_shr:1 row_mask:0xf bank_mask:0xf
	v_add_f32_e32 v4, v22, v4
	v_add_f32_e32 v22, v18, v6
	v_mov_b32_dpp v6, v19 row_shr:1 row_mask:0xf bank_mask:0xf
	v_add_f32_e32 v0, v16, v0
	v_add_f32_e32 v19, v19, v6
	v_mov_b32_dpp v3, v2 row_shr:2 row_mask:0xf bank_mask:0xf
	v_mov_b32_dpp v1, v0 row_shr:2 row_mask:0xf bank_mask:0xf
	v_mov_b32_dpp v5, v4 row_shr:2 row_mask:0xf bank_mask:0xf
	v_mov_b32_dpp v14, v7 row_shr:2 row_mask:0xf bank_mask:0xf
	v_mov_b32_dpp v16, v15 row_shr:2 row_mask:0xf bank_mask:0xf
	v_mov_b32_dpp v21, v17 row_shr:2 row_mask:0xf bank_mask:0xf
	v_mov_b32_dpp v23, v22 row_shr:2 row_mask:0xf bank_mask:0xf
	v_mov_b32_dpp v24, v19 row_shr:2 row_mask:0xf bank_mask:0xf
	v_cmp_eq_u32_e32 vcc, 3, v13
	s_and_b64 exec, exec, vcc
	s_cbranch_execz .LBB99_19
; %bb.15:
	s_load_dwordx2 s[2:3], s[0:1], 0x38
	v_cmp_eq_f32_e32 vcc, 0, v10
	v_cmp_eq_f32_e64 s[0:1], 0, v11
	v_add_f32_e32 v6, v0, v1
	v_add_f32_e32 v20, v2, v3
	;; [unrolled: 1-line block ×8, first 2 shown]
	s_and_b64 s[0:1], vcc, s[0:1]
	s_and_saveexec_b64 s[4:5], s[0:1]
	s_xor_b64 s[0:1], exec, s[4:5]
	s_cbranch_execz .LBB99_17
; %bb.16:
	v_lshlrev_b32_e32 v10, 2, v12
	v_xor_b32_e32 v22, 0x80000000, v9
	v_ashrrev_i32_e32 v11, 31, v10
	v_mov_b32_e32 v23, v8
	s_waitcnt lgkmcnt(0)
	v_lshl_add_u64 v[24:25], v[10:11], 3, s[2:3]
	v_pk_mul_f32 v[10:11], v[20:21], v[22:23] op_sel_hi:[0,1]
	v_pk_fma_f32 v[10:11], v[8:9], v[6:7], v[10:11] op_sel_hi:[1,0,1]
	v_pk_mul_f32 v[6:7], v[18:19], v[22:23] op_sel_hi:[0,1]
	v_pk_fma_f32 v[12:13], v[8:9], v[4:5], v[6:7] op_sel_hi:[1,0,1]
	;; [unrolled: 2-line block ×4, first 2 shown]
	global_store_dwordx4 v[24:25], v[10:13], off
	global_store_dwordx4 v[24:25], v[2:5], off offset:16
                                        ; implicit-def: $vgpr12
                                        ; implicit-def: $vgpr6
                                        ; implicit-def: $vgpr20
                                        ; implicit-def: $vgpr4
                                        ; implicit-def: $vgpr18
                                        ; implicit-def: $vgpr2
                                        ; implicit-def: $vgpr16
                                        ; implicit-def: $vgpr0
                                        ; implicit-def: $vgpr14
                                        ; implicit-def: $vgpr8_vgpr9
                                        ; implicit-def: $vgpr10_vgpr11
.LBB99_17:
	s_andn2_saveexec_b64 s[0:1], s[0:1]
	s_cbranch_execz .LBB99_19
; %bb.18:
	v_lshlrev_b32_e32 v12, 2, v12
	v_ashrrev_i32_e32 v13, 31, v12
	s_waitcnt lgkmcnt(0)
	v_lshl_add_u64 v[12:13], v[12:13], 3, s[2:3]
	global_load_dwordx4 v[22:25], v[12:13], off
	global_load_dwordx4 v[26:29], v[12:13], off offset:16
	v_xor_b32_e32 v30, 0x80000000, v9
	v_mov_b32_e32 v31, v8
	v_pk_mul_f32 v[20:21], v[20:21], v[30:31] op_sel_hi:[0,1]
	v_pk_mul_f32 v[18:19], v[18:19], v[30:31] op_sel_hi:[0,1]
	;; [unrolled: 1-line block ×4, first 2 shown]
	v_pk_fma_f32 v[6:7], v[8:9], v[6:7], v[20:21] op_sel_hi:[1,0,1]
	v_pk_fma_f32 v[4:5], v[8:9], v[4:5], v[18:19] op_sel_hi:[1,0,1]
	v_xor_b32_e32 v32, 0x80000000, v11
	v_mov_b32_e32 v33, v10
	v_pk_fma_f32 v[2:3], v[8:9], v[2:3], v[16:17] op_sel_hi:[1,0,1]
	v_pk_fma_f32 v[0:1], v[8:9], v[0:1], v[14:15] op_sel_hi:[1,0,1]
	s_waitcnt vmcnt(1)
	v_pk_fma_f32 v[6:7], v[10:11], v[22:23], v[6:7] op_sel_hi:[1,0,1]
	v_pk_fma_f32 v[4:5], v[10:11], v[24:25], v[4:5] op_sel_hi:[1,0,1]
	v_mov_b32_e32 v8, v25
	s_waitcnt vmcnt(0)
	v_pk_fma_f32 v[14:15], v[10:11], v[26:27], v[2:3] op_sel_hi:[1,0,1]
	v_pk_fma_f32 v[10:11], v[10:11], v[28:29], v[0:1] op_sel_hi:[1,0,1]
	v_mov_b32_e32 v16, v29
	v_pk_fma_f32 v[0:1], v[32:33], v[22:23], v[6:7] op_sel:[0,1,0]
	v_pk_fma_f32 v[2:3], v[32:33], v[8:9], v[4:5] op_sel_hi:[1,0,1]
	v_pk_fma_f32 v[4:5], v[32:33], v[26:27], v[14:15] op_sel:[0,1,0]
	v_pk_fma_f32 v[6:7], v[32:33], v[16:17], v[10:11] op_sel_hi:[1,0,1]
	global_store_dwordx4 v[12:13], v[0:3], off
	global_store_dwordx4 v[12:13], v[4:7], off offset:16
.LBB99_19:
	s_endpgm
	.section	.rodata,"a",@progbits
	.p2align	6, 0x0
	.amdhsa_kernel _ZN9rocsparseL19gebsrmvn_4xn_kernelILj128ELj7ELj4E21rocsparse_complex_numIfEEEvi20rocsparse_direction_NS_24const_host_device_scalarIT2_EEPKiS8_PKS5_SA_S6_PS5_21rocsparse_index_base_b
		.amdhsa_group_segment_fixed_size 0
		.amdhsa_private_segment_fixed_size 0
		.amdhsa_kernarg_size 72
		.amdhsa_user_sgpr_count 2
		.amdhsa_user_sgpr_dispatch_ptr 0
		.amdhsa_user_sgpr_queue_ptr 0
		.amdhsa_user_sgpr_kernarg_segment_ptr 1
		.amdhsa_user_sgpr_dispatch_id 0
		.amdhsa_user_sgpr_kernarg_preload_length 0
		.amdhsa_user_sgpr_kernarg_preload_offset 0
		.amdhsa_user_sgpr_private_segment_size 0
		.amdhsa_uses_dynamic_stack 0
		.amdhsa_enable_private_segment 0
		.amdhsa_system_sgpr_workgroup_id_x 1
		.amdhsa_system_sgpr_workgroup_id_y 0
		.amdhsa_system_sgpr_workgroup_id_z 0
		.amdhsa_system_sgpr_workgroup_info 0
		.amdhsa_system_vgpr_workitem_id 0
		.amdhsa_next_free_vgpr 104
		.amdhsa_next_free_sgpr 16
		.amdhsa_accum_offset 104
		.amdhsa_reserve_vcc 1
		.amdhsa_float_round_mode_32 0
		.amdhsa_float_round_mode_16_64 0
		.amdhsa_float_denorm_mode_32 3
		.amdhsa_float_denorm_mode_16_64 3
		.amdhsa_dx10_clamp 1
		.amdhsa_ieee_mode 1
		.amdhsa_fp16_overflow 0
		.amdhsa_tg_split 0
		.amdhsa_exception_fp_ieee_invalid_op 0
		.amdhsa_exception_fp_denorm_src 0
		.amdhsa_exception_fp_ieee_div_zero 0
		.amdhsa_exception_fp_ieee_overflow 0
		.amdhsa_exception_fp_ieee_underflow 0
		.amdhsa_exception_fp_ieee_inexact 0
		.amdhsa_exception_int_div_zero 0
	.end_amdhsa_kernel
	.section	.text._ZN9rocsparseL19gebsrmvn_4xn_kernelILj128ELj7ELj4E21rocsparse_complex_numIfEEEvi20rocsparse_direction_NS_24const_host_device_scalarIT2_EEPKiS8_PKS5_SA_S6_PS5_21rocsparse_index_base_b,"axG",@progbits,_ZN9rocsparseL19gebsrmvn_4xn_kernelILj128ELj7ELj4E21rocsparse_complex_numIfEEEvi20rocsparse_direction_NS_24const_host_device_scalarIT2_EEPKiS8_PKS5_SA_S6_PS5_21rocsparse_index_base_b,comdat
.Lfunc_end99:
	.size	_ZN9rocsparseL19gebsrmvn_4xn_kernelILj128ELj7ELj4E21rocsparse_complex_numIfEEEvi20rocsparse_direction_NS_24const_host_device_scalarIT2_EEPKiS8_PKS5_SA_S6_PS5_21rocsparse_index_base_b, .Lfunc_end99-_ZN9rocsparseL19gebsrmvn_4xn_kernelILj128ELj7ELj4E21rocsparse_complex_numIfEEEvi20rocsparse_direction_NS_24const_host_device_scalarIT2_EEPKiS8_PKS5_SA_S6_PS5_21rocsparse_index_base_b
                                        ; -- End function
	.set _ZN9rocsparseL19gebsrmvn_4xn_kernelILj128ELj7ELj4E21rocsparse_complex_numIfEEEvi20rocsparse_direction_NS_24const_host_device_scalarIT2_EEPKiS8_PKS5_SA_S6_PS5_21rocsparse_index_base_b.num_vgpr, 104
	.set _ZN9rocsparseL19gebsrmvn_4xn_kernelILj128ELj7ELj4E21rocsparse_complex_numIfEEEvi20rocsparse_direction_NS_24const_host_device_scalarIT2_EEPKiS8_PKS5_SA_S6_PS5_21rocsparse_index_base_b.num_agpr, 0
	.set _ZN9rocsparseL19gebsrmvn_4xn_kernelILj128ELj7ELj4E21rocsparse_complex_numIfEEEvi20rocsparse_direction_NS_24const_host_device_scalarIT2_EEPKiS8_PKS5_SA_S6_PS5_21rocsparse_index_base_b.numbered_sgpr, 16
	.set _ZN9rocsparseL19gebsrmvn_4xn_kernelILj128ELj7ELj4E21rocsparse_complex_numIfEEEvi20rocsparse_direction_NS_24const_host_device_scalarIT2_EEPKiS8_PKS5_SA_S6_PS5_21rocsparse_index_base_b.num_named_barrier, 0
	.set _ZN9rocsparseL19gebsrmvn_4xn_kernelILj128ELj7ELj4E21rocsparse_complex_numIfEEEvi20rocsparse_direction_NS_24const_host_device_scalarIT2_EEPKiS8_PKS5_SA_S6_PS5_21rocsparse_index_base_b.private_seg_size, 0
	.set _ZN9rocsparseL19gebsrmvn_4xn_kernelILj128ELj7ELj4E21rocsparse_complex_numIfEEEvi20rocsparse_direction_NS_24const_host_device_scalarIT2_EEPKiS8_PKS5_SA_S6_PS5_21rocsparse_index_base_b.uses_vcc, 1
	.set _ZN9rocsparseL19gebsrmvn_4xn_kernelILj128ELj7ELj4E21rocsparse_complex_numIfEEEvi20rocsparse_direction_NS_24const_host_device_scalarIT2_EEPKiS8_PKS5_SA_S6_PS5_21rocsparse_index_base_b.uses_flat_scratch, 0
	.set _ZN9rocsparseL19gebsrmvn_4xn_kernelILj128ELj7ELj4E21rocsparse_complex_numIfEEEvi20rocsparse_direction_NS_24const_host_device_scalarIT2_EEPKiS8_PKS5_SA_S6_PS5_21rocsparse_index_base_b.has_dyn_sized_stack, 0
	.set _ZN9rocsparseL19gebsrmvn_4xn_kernelILj128ELj7ELj4E21rocsparse_complex_numIfEEEvi20rocsparse_direction_NS_24const_host_device_scalarIT2_EEPKiS8_PKS5_SA_S6_PS5_21rocsparse_index_base_b.has_recursion, 0
	.set _ZN9rocsparseL19gebsrmvn_4xn_kernelILj128ELj7ELj4E21rocsparse_complex_numIfEEEvi20rocsparse_direction_NS_24const_host_device_scalarIT2_EEPKiS8_PKS5_SA_S6_PS5_21rocsparse_index_base_b.has_indirect_call, 0
	.section	.AMDGPU.csdata,"",@progbits
; Kernel info:
; codeLenInByte = 3744
; TotalNumSgprs: 22
; NumVgprs: 104
; NumAgprs: 0
; TotalNumVgprs: 104
; ScratchSize: 0
; MemoryBound: 0
; FloatMode: 240
; IeeeMode: 1
; LDSByteSize: 0 bytes/workgroup (compile time only)
; SGPRBlocks: 2
; VGPRBlocks: 12
; NumSGPRsForWavesPerEU: 22
; NumVGPRsForWavesPerEU: 104
; AccumOffset: 104
; Occupancy: 4
; WaveLimiterHint : 1
; COMPUTE_PGM_RSRC2:SCRATCH_EN: 0
; COMPUTE_PGM_RSRC2:USER_SGPR: 2
; COMPUTE_PGM_RSRC2:TRAP_HANDLER: 0
; COMPUTE_PGM_RSRC2:TGID_X_EN: 1
; COMPUTE_PGM_RSRC2:TGID_Y_EN: 0
; COMPUTE_PGM_RSRC2:TGID_Z_EN: 0
; COMPUTE_PGM_RSRC2:TIDIG_COMP_CNT: 0
; COMPUTE_PGM_RSRC3_GFX90A:ACCUM_OFFSET: 25
; COMPUTE_PGM_RSRC3_GFX90A:TG_SPLIT: 0
	.section	.text._ZN9rocsparseL19gebsrmvn_4xn_kernelILj128ELj7ELj8E21rocsparse_complex_numIfEEEvi20rocsparse_direction_NS_24const_host_device_scalarIT2_EEPKiS8_PKS5_SA_S6_PS5_21rocsparse_index_base_b,"axG",@progbits,_ZN9rocsparseL19gebsrmvn_4xn_kernelILj128ELj7ELj8E21rocsparse_complex_numIfEEEvi20rocsparse_direction_NS_24const_host_device_scalarIT2_EEPKiS8_PKS5_SA_S6_PS5_21rocsparse_index_base_b,comdat
	.globl	_ZN9rocsparseL19gebsrmvn_4xn_kernelILj128ELj7ELj8E21rocsparse_complex_numIfEEEvi20rocsparse_direction_NS_24const_host_device_scalarIT2_EEPKiS8_PKS5_SA_S6_PS5_21rocsparse_index_base_b ; -- Begin function _ZN9rocsparseL19gebsrmvn_4xn_kernelILj128ELj7ELj8E21rocsparse_complex_numIfEEEvi20rocsparse_direction_NS_24const_host_device_scalarIT2_EEPKiS8_PKS5_SA_S6_PS5_21rocsparse_index_base_b
	.p2align	8
	.type	_ZN9rocsparseL19gebsrmvn_4xn_kernelILj128ELj7ELj8E21rocsparse_complex_numIfEEEvi20rocsparse_direction_NS_24const_host_device_scalarIT2_EEPKiS8_PKS5_SA_S6_PS5_21rocsparse_index_base_b,@function
_ZN9rocsparseL19gebsrmvn_4xn_kernelILj128ELj7ELj8E21rocsparse_complex_numIfEEEvi20rocsparse_direction_NS_24const_host_device_scalarIT2_EEPKiS8_PKS5_SA_S6_PS5_21rocsparse_index_base_b: ; @_ZN9rocsparseL19gebsrmvn_4xn_kernelILj128ELj7ELj8E21rocsparse_complex_numIfEEEvi20rocsparse_direction_NS_24const_host_device_scalarIT2_EEPKiS8_PKS5_SA_S6_PS5_21rocsparse_index_base_b
; %bb.0:
	s_load_dwordx2 s[4:5], s[0:1], 0x8
	s_load_dwordx2 s[6:7], s[0:1], 0x30
	;; [unrolled: 1-line block ×3, first 2 shown]
	s_add_u32 s3, s0, 8
	s_addc_u32 s8, s1, 0
	s_add_u32 s9, s0, 48
	s_addc_u32 s10, s1, 0
	s_waitcnt lgkmcnt(0)
	s_bitcmp1_b32 s13, 0
	s_cselect_b32 s3, s3, s4
	s_cselect_b32 s5, s8, s5
	v_mov_b32_e32 v2, s3
	s_cselect_b32 s3, s10, s7
	s_cselect_b32 s4, s9, s6
	v_mov_b32_e32 v3, s5
	v_mov_b32_e32 v4, s4
	;; [unrolled: 1-line block ×3, first 2 shown]
	flat_load_dwordx2 v[8:9], v[2:3]
	flat_load_dwordx2 v[10:11], v[4:5]
	s_waitcnt vmcnt(0) lgkmcnt(0)
	v_cmp_eq_f32_e32 vcc, 0, v8
	v_cmp_eq_f32_e64 s[4:5], 0, v9
	v_cmp_eq_f32_e64 s[6:7], 1.0, v10
	v_cmp_eq_f32_e64 s[8:9], 0, v11
	s_and_b64 s[4:5], vcc, s[4:5]
	s_and_b64 s[6:7], s[6:7], s[8:9]
	s_and_b64 s[4:5], s[4:5], s[6:7]
	s_xor_b64 s[4:5], s[4:5], -1
	s_and_saveexec_b64 s[6:7], s[4:5]
	s_cbranch_execz .LBB100_19
; %bb.1:
	s_load_dwordx2 s[14:15], s[0:1], 0x0
	v_lshrrev_b32_e32 v1, 3, v0
	v_lshl_or_b32 v12, s2, 4, v1
	s_waitcnt lgkmcnt(0)
	v_cmp_gt_i32_e32 vcc, s14, v12
	s_and_b64 exec, exec, vcc
	s_cbranch_execz .LBB100_19
; %bb.2:
	s_load_dwordx8 s[4:11], s[0:1], 0x10
	v_ashrrev_i32_e32 v13, 31, v12
	s_cmp_lg_u32 s15, 0
	s_waitcnt lgkmcnt(0)
	v_lshl_add_u64 v[2:3], v[12:13], 2, s[4:5]
	global_load_dwordx2 v[2:3], v[2:3], off
	v_and_b32_e32 v13, 7, v0
	s_waitcnt vmcnt(0)
	v_subrev_u32_e32 v0, s12, v2
	v_subrev_u32_e32 v32, s12, v3
	v_add_u32_e32 v14, v0, v13
	v_cmp_lt_i32_e64 s[2:3], v14, v32
	s_cbranch_scc0 .LBB100_8
; %bb.3:
	v_mov_b32_e32 v19, 0
	v_mov_b32_e32 v18, v19
	;; [unrolled: 1-line block ×8, first 2 shown]
	s_and_saveexec_b64 s[4:5], s[2:3]
	s_cbranch_execz .LBB100_7
; %bb.4:
	v_mad_u64_u32 v[24:25], s[14:15], v14, 28, 24
	v_mov_b32_e32 v27, 0
	s_mov_b64 s[14:15], 0
	v_mov_b32_e32 v28, v14
	v_mov_b32_e32 v16, v27
	;; [unrolled: 1-line block ×9, first 2 shown]
.LBB100_5:                              ; =>This Inner Loop Header: Depth=1
	v_ashrrev_i32_e32 v29, 31, v28
	v_subrev_u32_e32 v26, 24, v24
	v_lshl_add_u64 v[0:1], v[28:29], 2, s[6:7]
	v_lshl_add_u64 v[2:3], v[26:27], 3, s[8:9]
	global_load_dword v15, v[0:1], off
	global_load_dwordx4 v[34:37], v[2:3], off
	global_load_dwordx4 v[38:41], v[2:3], off offset:16
	v_mov_b32_e32 v25, v27
	v_mov_b32_e32 v31, v27
	v_subrev_u32_e32 v26, 20, v24
	v_lshl_add_u64 v[50:51], v[24:25], 3, s[8:9]
	v_lshl_add_u64 v[52:53], v[26:27], 3, s[8:9]
	global_load_dwordx4 v[0:3], v[50:51], off offset:16
	global_load_dwordx4 v[4:7], v[50:51], off
	global_load_dwordx4 v[42:45], v[52:53], off
	global_load_dwordx4 v[46:49], v[52:53], off offset:16
	v_add_u32_e32 v28, 8, v28
	v_cmp_ge_i32_e32 vcc, v28, v32
	s_or_b64 s[14:15], vcc, s[14:15]
	s_waitcnt vmcnt(6)
	v_subrev_u32_e32 v15, s12, v15
	v_mul_lo_u32 v30, v15, 7
	v_lshl_add_u64 v[50:51], v[30:31], 3, s[10:11]
	global_load_dwordx2 v[78:79], v[50:51], off
	v_add_u32_e32 v26, 1, v30
	v_lshl_add_u64 v[50:51], v[26:27], 3, s[10:11]
	global_load_dwordx2 v[80:81], v[50:51], off
	v_add_u32_e32 v26, -16, v24
	v_lshl_add_u64 v[58:59], v[26:27], 3, s[8:9]
	v_add_u32_e32 v26, 2, v30
	v_lshl_add_u64 v[60:61], v[26:27], 3, s[10:11]
	v_add_u32_e32 v26, -12, v24
	global_load_dwordx4 v[50:53], v[58:59], off
	global_load_dwordx4 v[54:57], v[58:59], off offset:16
	global_load_dwordx2 v[82:83], v[60:61], off
	v_lshl_add_u64 v[84:85], v[26:27], 3, s[8:9]
	v_add_u32_e32 v26, 3, v30
	s_waitcnt vmcnt(10)
	v_xor_b32_e32 v66, 0x80000000, v37
	v_mov_b32_e32 v67, v36
	global_load_dwordx4 v[58:61], v[84:85], off offset:16
	global_load_dwordx4 v[62:65], v[84:85], off
	s_waitcnt vmcnt(11)
	v_xor_b32_e32 v68, 0x80000000, v41
	v_mov_b32_e32 v69, v40
	s_waitcnt vmcnt(8)
	v_xor_b32_e32 v72, 0x80000000, v45
	v_mov_b32_e32 v73, v44
	v_xor_b32_e32 v70, 0x80000000, v43
	s_waitcnt vmcnt(7)
	v_xor_b32_e32 v74, 0x80000000, v47
	v_xor_b32_e32 v76, 0x80000000, v49
	v_mov_b32_e32 v71, v42
	v_mov_b32_e32 v75, v46
	;; [unrolled: 1-line block ×3, first 2 shown]
	s_waitcnt vmcnt(6)
	v_pk_fma_f32 v[18:19], v[34:35], v[78:79], v[18:19] op_sel_hi:[1,0,1]
	s_nop 0
	v_pk_fma_f32 v[34:35], v[34:35], v[78:79], v[18:19] op_sel:[1,1,0] op_sel_hi:[0,1,1] neg_lo:[1,0,0]
	v_lshl_add_u64 v[18:19], v[26:27], 3, s[10:11]
	v_add_u32_e32 v26, -8, v24
	v_pk_fma_f32 v[22:23], v[36:37], v[78:79], v[22:23] op_sel_hi:[1,0,1]
	global_load_dwordx2 v[84:85], v[18:19], off
	v_lshl_add_u64 v[36:37], v[26:27], 3, s[8:9]
	v_add_u32_e32 v26, 4, v30
	v_pk_fma_f32 v[18:19], v[38:39], v[78:79], v[20:21] op_sel_hi:[1,0,1]
	v_pk_fma_f32 v[40:41], v[40:41], v[78:79], v[16:17] op_sel_hi:[1,0,1]
	v_pk_fma_f32 v[38:39], v[38:39], v[78:79], v[18:19] op_sel:[1,1,0] op_sel_hi:[0,1,1] neg_lo:[1,0,0]
	global_load_dwordx4 v[16:19], v[36:37], off
	v_pk_fma_f32 v[66:67], v[66:67], v[78:79], v[22:23] op_sel:[0,1,0]
	global_load_dwordx4 v[20:23], v[36:37], off offset:16
	v_lshl_add_u64 v[36:37], v[26:27], 3, s[10:11]
	v_add_u32_e32 v26, -4, v24
	v_pk_fma_f32 v[40:41], v[68:69], v[78:79], v[40:41] op_sel:[0,1,0]
	v_lshl_add_u64 v[68:69], v[26:27], 3, s[8:9]
	v_add_u32_e32 v26, 5, v30
	global_load_dwordx2 v[78:79], v[36:37], off
	s_waitcnt vmcnt(9)
	v_pk_fma_f32 v[44:45], v[44:45], v[80:81], v[66:67] op_sel_hi:[1,0,1]
	v_lshl_add_u64 v[66:67], v[26:27], 3, s[10:11]
	v_pk_fma_f32 v[42:43], v[42:43], v[80:81], v[34:35] op_sel_hi:[1,0,1]
	v_pk_fma_f32 v[46:47], v[46:47], v[80:81], v[38:39] op_sel_hi:[1,0,1]
	;; [unrolled: 1-line block ×3, first 2 shown]
	global_load_dwordx4 v[38:41], v[68:69], off offset:16
	v_add_u32_e32 v26, 6, v30
	global_load_dwordx2 v[30:31], v[66:67], off
	global_load_dwordx4 v[34:37], v[68:69], off
	v_lshl_add_u64 v[66:67], v[26:27], 3, s[10:11]
	global_load_dwordx2 v[66:67], v[66:67], off
	v_pk_fma_f32 v[42:43], v[70:71], v[80:81], v[42:43] op_sel:[0,1,0]
	v_pk_fma_f32 v[44:45], v[72:73], v[80:81], v[44:45] op_sel:[0,1,0]
	;; [unrolled: 1-line block ×4, first 2 shown]
	s_waitcnt vmcnt(12)
	v_xor_b32_e32 v72, 0x80000000, v53
	v_mov_b32_e32 v73, v52
	s_waitcnt vmcnt(11)
	v_xor_b32_e32 v74, 0x80000000, v57
	v_mov_b32_e32 v75, v56
	s_waitcnt vmcnt(10)
	v_pk_fma_f32 v[42:43], v[50:51], v[82:83], v[42:43] op_sel_hi:[1,0,1]
	v_pk_fma_f32 v[44:45], v[52:53], v[82:83], v[44:45] op_sel_hi:[1,0,1]
	;; [unrolled: 1-line block ×4, first 2 shown]
	v_pk_fma_f32 v[42:43], v[50:51], v[82:83], v[42:43] op_sel:[1,1,0] op_sel_hi:[0,1,1] neg_lo:[1,0,0]
	v_pk_fma_f32 v[46:47], v[54:55], v[82:83], v[46:47] op_sel:[1,1,0] op_sel_hi:[0,1,1] neg_lo:[1,0,0]
	v_pk_fma_f32 v[44:45], v[72:73], v[82:83], v[44:45] op_sel:[0,1,0]
	v_pk_fma_f32 v[48:49], v[74:75], v[82:83], v[48:49] op_sel:[0,1,0]
	s_waitcnt vmcnt(8)
	v_xor_b32_e32 v52, 0x80000000, v65
	v_mov_b32_e32 v53, v64
	v_xor_b32_e32 v50, 0x80000000, v61
	v_mov_b32_e32 v51, v60
	;; [unrolled: 2-line block ×4, first 2 shown]
	v_add_u32_e32 v24, 0xe0, v24
	s_waitcnt vmcnt(7)
	v_pk_fma_f32 v[42:43], v[62:63], v[84:85], v[42:43] op_sel_hi:[1,0,1]
	v_pk_fma_f32 v[44:45], v[64:65], v[84:85], v[44:45] op_sel_hi:[1,0,1]
	;; [unrolled: 1-line block ×4, first 2 shown]
	v_pk_fma_f32 v[42:43], v[62:63], v[84:85], v[42:43] op_sel:[1,1,0] op_sel_hi:[0,1,1] neg_lo:[1,0,0]
	v_pk_fma_f32 v[44:45], v[52:53], v[84:85], v[44:45] op_sel:[0,1,0]
	v_pk_fma_f32 v[46:47], v[58:59], v[84:85], v[46:47] op_sel:[1,1,0] op_sel_hi:[0,1,1] neg_lo:[1,0,0]
	v_pk_fma_f32 v[48:49], v[50:51], v[84:85], v[48:49] op_sel:[0,1,0]
	s_waitcnt vmcnt(6)
	v_xor_b32_e32 v54, 0x80000000, v19
	v_mov_b32_e32 v55, v18
	s_waitcnt vmcnt(5)
	v_xor_b32_e32 v56, 0x80000000, v23
	v_mov_b32_e32 v57, v22
	s_waitcnt vmcnt(4)
	v_pk_fma_f32 v[42:43], v[16:17], v[78:79], v[42:43] op_sel_hi:[1,0,1]
	v_pk_fma_f32 v[18:19], v[18:19], v[78:79], v[44:45] op_sel_hi:[1,0,1]
	;; [unrolled: 1-line block ×4, first 2 shown]
	v_pk_fma_f32 v[16:17], v[16:17], v[78:79], v[42:43] op_sel:[1,1,0] op_sel_hi:[0,1,1] neg_lo:[1,0,0]
	v_pk_fma_f32 v[18:19], v[54:55], v[78:79], v[18:19] op_sel:[0,1,0]
	v_pk_fma_f32 v[20:21], v[20:21], v[78:79], v[46:47] op_sel:[1,1,0] op_sel_hi:[0,1,1] neg_lo:[1,0,0]
	v_pk_fma_f32 v[22:23], v[56:57], v[78:79], v[22:23] op_sel:[0,1,0]
	s_waitcnt vmcnt(3)
	v_xor_b32_e32 v48, 0x80000000, v41
	s_waitcnt vmcnt(1)
	v_xor_b32_e32 v44, 0x80000000, v37
	v_mov_b32_e32 v45, v36
	v_mov_b32_e32 v49, v40
	v_pk_fma_f32 v[16:17], v[34:35], v[30:31], v[16:17] op_sel_hi:[1,0,1]
	v_pk_fma_f32 v[18:19], v[36:37], v[30:31], v[18:19] op_sel_hi:[1,0,1]
	;; [unrolled: 1-line block ×4, first 2 shown]
	v_pk_fma_f32 v[16:17], v[34:35], v[30:31], v[16:17] op_sel:[1,1,0] op_sel_hi:[0,1,1] neg_lo:[1,0,0]
	v_pk_fma_f32 v[18:19], v[44:45], v[30:31], v[18:19] op_sel:[0,1,0]
	v_pk_fma_f32 v[20:21], v[38:39], v[30:31], v[20:21] op_sel:[1,1,0] op_sel_hi:[0,1,1] neg_lo:[1,0,0]
	v_pk_fma_f32 v[22:23], v[48:49], v[30:31], v[22:23] op_sel:[0,1,0]
	s_waitcnt vmcnt(0)
	v_pk_fma_f32 v[16:17], v[4:5], v[66:67], v[16:17] op_sel_hi:[1,0,1]
	v_pk_fma_f32 v[6:7], v[6:7], v[66:67], v[18:19] op_sel_hi:[1,0,1]
	;; [unrolled: 1-line block ×4, first 2 shown]
	v_pk_fma_f32 v[18:19], v[4:5], v[66:67], v[16:17] op_sel:[1,1,0] op_sel_hi:[0,1,1] neg_lo:[1,0,0]
	v_pk_fma_f32 v[22:23], v[68:69], v[66:67], v[6:7] op_sel:[0,1,0]
	v_pk_fma_f32 v[20:21], v[0:1], v[66:67], v[20:21] op_sel:[1,1,0] op_sel_hi:[0,1,1] neg_lo:[1,0,0]
	v_pk_fma_f32 v[16:17], v[70:71], v[66:67], v[2:3] op_sel:[0,1,0]
	s_andn2_b64 exec, exec, s[14:15]
	s_cbranch_execnz .LBB100_5
; %bb.6:
	s_or_b64 exec, exec, s[14:15]
.LBB100_7:
	s_or_b64 exec, exec, s[4:5]
	s_cbranch_execz .LBB100_9
	s_branch .LBB100_14
.LBB100_8:
                                        ; implicit-def: $vgpr19
                                        ; implicit-def: $vgpr17
                                        ; implicit-def: $vgpr21
                                        ; implicit-def: $vgpr23
.LBB100_9:
	v_mov_b32_e32 v19, 0
	v_mov_b32_e32 v18, v19
	;; [unrolled: 1-line block ×8, first 2 shown]
	s_and_saveexec_b64 s[4:5], s[2:3]
	s_cbranch_execz .LBB100_13
; %bb.10:
	v_mad_u64_u32 v[4:5], s[2:3], v14, 28, 27
	v_mov_b32_e32 v7, 0
	s_mov_b64 s[2:3], 0
	v_mov_b32_e32 v16, v7
	v_mov_b32_e32 v17, v7
	;; [unrolled: 1-line block ×8, first 2 shown]
.LBB100_11:                             ; =>This Inner Loop Header: Depth=1
	v_ashrrev_i32_e32 v15, 31, v14
	v_subrev_u32_e32 v6, 27, v4
	v_subrev_u32_e32 v26, 20, v4
	v_add_u32_e32 v2, -13, v4
	v_add_u32_e32 v0, -6, v4
	v_mov_b32_e32 v27, v7
	v_mov_b32_e32 v3, v7
	;; [unrolled: 1-line block ×3, first 2 shown]
	v_lshl_add_u64 v[30:31], v[14:15], 2, s[6:7]
	v_lshl_add_u64 v[34:35], v[6:7], 3, s[8:9]
	;; [unrolled: 1-line block ×5, first 2 shown]
	global_load_dword v5, v[30:31], off
	global_load_dwordx4 v[26:29], v[34:35], off
	global_load_dwordx2 v[42:43], v[36:37], off
	global_load_dwordx2 v[44:45], v[38:39], off
	global_load_dwordx2 v[46:47], v[40:41], off
	global_load_dwordx4 v[0:3], v[34:35], off offset:16
	v_mov_b32_e32 v25, v7
	v_add_u32_e32 v14, 8, v14
	v_cmp_ge_i32_e32 vcc, v14, v32
	s_or_b64 s[2:3], vcc, s[2:3]
	s_waitcnt vmcnt(5)
	v_subrev_u32_e32 v5, s12, v5
	v_mul_lo_u32 v24, v5, 7
	v_lshl_add_u64 v[40:41], v[24:25], 3, s[10:11]
	global_load_dwordx2 v[40:41], v[40:41], off
	v_add_u32_e32 v6, 1, v24
	v_lshl_add_u64 v[48:49], v[6:7], 3, s[10:11]
	global_load_dwordx2 v[48:49], v[48:49], off
	v_subrev_u32_e32 v6, 19, v4
	v_lshl_add_u64 v[50:51], v[6:7], 3, s[8:9]
	v_add_u32_e32 v6, -12, v4
	v_lshl_add_u64 v[52:53], v[6:7], 3, s[8:9]
	v_add_u32_e32 v6, -5, v4
	v_lshl_add_u64 v[54:55], v[6:7], 3, s[8:9]
	v_add_u32_e32 v6, 2, v24
	v_lshl_add_u64 v[56:57], v[6:7], 3, s[10:11]
	v_subrev_u32_e32 v6, 18, v4
	v_lshl_add_u64 v[58:59], v[6:7], 3, s[8:9]
	v_add_u32_e32 v6, -11, v4
	v_lshl_add_u64 v[60:61], v[6:7], 3, s[8:9]
	v_add_u32_e32 v6, -4, v4
	v_lshl_add_u64 v[62:63], v[6:7], 3, s[8:9]
	v_add_u32_e32 v6, 3, v24
	v_lshl_add_u64 v[64:65], v[6:7], 3, s[10:11]
	v_subrev_u32_e32 v6, 17, v4
	v_lshl_add_u64 v[66:67], v[6:7], 3, s[8:9]
	v_add_u32_e32 v6, -10, v4
	v_lshl_add_u64 v[68:69], v[6:7], 3, s[8:9]
	v_add_u32_e32 v6, -3, v4
	v_lshl_add_u64 v[70:71], v[6:7], 3, s[8:9]
	v_subrev_u32_e32 v6, 23, v4
	v_lshl_add_u64 v[72:73], v[6:7], 3, s[8:9]
	v_add_u32_e32 v6, 4, v24
	s_waitcnt vmcnt(5)
	v_xor_b32_e32 v34, 0x80000000, v43
	v_mov_b32_e32 v35, v42
	s_waitcnt vmcnt(4)
	v_xor_b32_e32 v36, 0x80000000, v45
	v_mov_b32_e32 v37, v44
	;; [unrolled: 3-line block ×3, first 2 shown]
	v_xor_b32_e32 v30, 0x80000000, v29
	v_mov_b32_e32 v31, v28
	v_mov_b32_e32 v5, v7
	s_waitcnt vmcnt(1)
	v_pk_fma_f32 v[22:23], v[42:43], v[40:41], v[22:23] op_sel_hi:[1,0,1]
	v_lshl_add_u64 v[42:43], v[6:7], 3, s[10:11]
	v_add_u32_e32 v6, -16, v4
	v_pk_fma_f32 v[20:21], v[44:45], v[40:41], v[20:21] op_sel_hi:[1,0,1]
	v_lshl_add_u64 v[44:45], v[6:7], 3, s[8:9]
	v_add_u32_e32 v6, -9, v4
	;; [unrolled: 3-line block ×3, first 2 shown]
	v_pk_fma_f32 v[22:23], v[34:35], v[40:41], v[22:23] op_sel:[0,1,0]
	v_lshl_add_u64 v[34:35], v[6:7], 3, s[8:9]
	v_subrev_u32_e32 v6, 22, v4
	v_pk_fma_f32 v[20:21], v[36:37], v[40:41], v[20:21] op_sel:[0,1,0]
	v_lshl_add_u64 v[36:37], v[6:7], 3, s[8:9]
	v_add_u32_e32 v6, 5, v24
	v_pk_fma_f32 v[16:17], v[38:39], v[40:41], v[16:17] op_sel:[0,1,0]
	v_lshl_add_u64 v[38:39], v[6:7], 3, s[10:11]
	v_add_u32_e32 v6, -15, v4
	v_pk_fma_f32 v[18:19], v[26:27], v[40:41], v[18:19] op_sel_hi:[1,0,1]
	s_nop 0
	v_pk_fma_f32 v[18:19], v[26:27], v[40:41], v[18:19] op_sel:[1,1,0] op_sel_hi:[0,1,1] neg_lo:[1,0,0]
	v_lshl_add_u64 v[26:27], v[6:7], 3, s[8:9]
	v_add_u32_e32 v6, -8, v4
	s_waitcnt vmcnt(0)
	v_pk_fma_f32 v[18:19], v[28:29], v[48:49], v[18:19] op_sel_hi:[1,0,1]
	v_lshl_add_u64 v[28:29], v[6:7], 3, s[8:9]
	v_add_u32_e32 v6, -1, v4
	v_lshl_add_u64 v[40:41], v[6:7], 3, s[8:9]
	v_subrev_u32_e32 v6, 21, v4
	v_lshl_add_u64 v[74:75], v[6:7], 3, s[8:9]
	v_add_u32_e32 v6, 6, v24
	global_load_dwordx2 v[24:25], v[50:51], off
	global_load_dwordx2 v[76:77], v[52:53], off
	;; [unrolled: 1-line block ×3, first 2 shown]
	v_pk_fma_f32 v[18:19], v[30:31], v[48:49], v[18:19] op_sel:[0,1,0]
	global_load_dwordx2 v[30:31], v[56:57], off
	global_load_dwordx2 v[52:53], v[58:59], off
	;; [unrolled: 1-line block ×15, first 2 shown]
                                        ; kill: killed $vgpr44_vgpr45
                                        ; kill: killed $vgpr42_vgpr43
                                        ; kill: killed $vgpr34_vgpr35
                                        ; kill: killed $vgpr56_vgpr57
                                        ; kill: killed $vgpr36_vgpr37
                                        ; kill: killed $vgpr60_vgpr61
                                        ; kill: killed $vgpr66_vgpr67
                                        ; kill: killed $vgpr70_vgpr71
                                        ; kill: killed $vgpr72_vgpr73
                                        ; kill: killed $vgpr46_vgpr47
                                        ; kill: killed $vgpr58_vgpr59
                                        ; kill: killed $vgpr38_vgpr39
                                        ; kill: killed $vgpr62_vgpr63
                                        ; kill: killed $vgpr64_vgpr65
                                        ; kill: killed $vgpr68_vgpr69
	s_nop 0
	global_load_dwordx2 v[34:35], v[26:27], off
	global_load_dwordx2 v[36:37], v[28:29], off
	v_lshl_add_u64 v[28:29], v[6:7], 3, s[10:11]
	v_add_u32_e32 v6, -14, v4
	global_load_dwordx2 v[38:39], v[74:75], off
	global_load_dwordx2 v[42:43], v[40:41], off
	;; [unrolled: 1-line block ×3, first 2 shown]
	v_lshl_add_u64 v[28:29], v[6:7], 3, s[8:9]
	v_add_u32_e32 v6, -7, v4
	global_load_dwordx2 v[28:29], v[28:29], off
	s_waitcnt vmcnt(20)
	v_pk_fma_f32 v[18:19], v[0:1], v[30:31], v[18:19] op_sel_hi:[1,0,1]
	s_nop 0
	v_pk_fma_f32 v[0:1], v[0:1], v[30:31], v[18:19] op_sel:[1,1,0] op_sel_hi:[0,1,1] neg_lo:[1,0,0]
	s_waitcnt vmcnt(16)
	v_pk_fma_f32 v[0:1], v[2:3], v[82:83], v[0:1] op_sel_hi:[1,0,1]
	v_pk_fma_f32 v[22:23], v[24:25], v[48:49], v[22:23] op_sel_hi:[1,0,1]
	v_xor_b32_e32 v26, 0x80000000, v77
	v_pk_fma_f32 v[20:21], v[76:77], v[48:49], v[20:21] op_sel_hi:[1,0,1]
	v_mov_b32_e32 v27, v76
	v_pk_fma_f32 v[20:21], v[26:27], v[48:49], v[20:21] op_sel:[0,1,0]
	v_xor_b32_e32 v26, 0x80000000, v79
	v_pk_fma_f32 v[16:17], v[78:79], v[48:49], v[16:17] op_sel_hi:[1,0,1]
	v_mov_b32_e32 v27, v78
	v_pk_fma_f32 v[16:17], v[26:27], v[48:49], v[16:17] op_sel:[0,1,0]
	v_lshl_add_u64 v[26:27], v[6:7], 3, s[8:9]
	v_xor_b32_e32 v50, 0x80000000, v25
	v_mov_b32_e32 v51, v24
	v_lshl_add_u64 v[24:25], v[4:5], 3, s[8:9]
	global_load_dwordx2 v[40:41], v[26:27], off
	global_load_dwordx2 v[46:47], v[24:25], off
	v_pk_fma_f32 v[22:23], v[50:51], v[48:49], v[22:23] op_sel:[0,1,0]
	v_xor_b32_e32 v24, 0x80000000, v53
	v_pk_fma_f32 v[22:23], v[52:53], v[30:31], v[22:23] op_sel_hi:[1,0,1]
	v_mov_b32_e32 v25, v52
	v_pk_fma_f32 v[18:19], v[24:25], v[30:31], v[22:23] op_sel:[0,1,0]
	v_xor_b32_e32 v22, 0x80000000, v55
	v_pk_fma_f32 v[20:21], v[54:55], v[30:31], v[20:21] op_sel_hi:[1,0,1]
	v_mov_b32_e32 v23, v54
	;; [unrolled: 4-line block ×3, first 2 shown]
	v_xor_b32_e32 v26, 0x80000000, v3
	v_mov_b32_e32 v27, v2
	v_pk_fma_f32 v[2:3], v[22:23], v[30:31], v[16:17] op_sel:[0,1,0]
	s_waitcnt vmcnt(17)
	v_xor_b32_e32 v16, 0x80000000, v85
	v_pk_fma_f32 v[18:19], v[84:85], v[82:83], v[18:19] op_sel_hi:[1,0,1]
	v_mov_b32_e32 v17, v84
	v_pk_fma_f32 v[0:1], v[26:27], v[82:83], v[0:1] op_sel:[0,1,0]
	v_pk_fma_f32 v[16:17], v[16:17], v[82:83], v[18:19] op_sel:[0,1,0]
	s_waitcnt vmcnt(16)
	v_xor_b32_e32 v18, 0x80000000, v87
	v_pk_fma_f32 v[20:21], v[86:87], v[82:83], v[20:21] op_sel_hi:[1,0,1]
	v_mov_b32_e32 v19, v86
	v_pk_fma_f32 v[18:19], v[18:19], v[82:83], v[20:21] op_sel:[0,1,0]
	s_waitcnt vmcnt(15)
	v_xor_b32_e32 v20, 0x80000000, v89
	v_mov_b32_e32 v21, v88
	s_waitcnt vmcnt(13)
	v_pk_fma_f32 v[0:1], v[88:89], v[92:93], v[0:1] op_sel_hi:[1,0,1]
	s_waitcnt vmcnt(12)
	v_pk_fma_f32 v[16:17], v[94:95], v[92:93], v[16:17] op_sel_hi:[1,0,1]
	v_pk_fma_f32 v[0:1], v[20:21], v[92:93], v[0:1] op_sel:[0,1,0]
	v_xor_b32_e32 v20, 0x80000000, v95
	v_mov_b32_e32 v21, v94
	v_xor_b32_e32 v22, 0x80000000, v91
	v_pk_fma_f32 v[2:3], v[90:91], v[82:83], v[2:3] op_sel_hi:[1,0,1]
	v_mov_b32_e32 v23, v90
	v_pk_fma_f32 v[16:17], v[20:21], v[92:93], v[16:17] op_sel:[0,1,0]
	s_waitcnt vmcnt(11)
	v_xor_b32_e32 v20, 0x80000000, v97
	v_pk_fma_f32 v[18:19], v[96:97], v[92:93], v[18:19] op_sel_hi:[1,0,1]
	v_mov_b32_e32 v21, v96
	v_pk_fma_f32 v[2:3], v[22:23], v[82:83], v[2:3] op_sel:[0,1,0]
	v_pk_fma_f32 v[18:19], v[20:21], v[92:93], v[18:19] op_sel:[0,1,0]
	s_waitcnt vmcnt(10)
	v_xor_b32_e32 v20, 0x80000000, v99
	v_mov_b32_e32 v21, v98
	s_waitcnt vmcnt(8)
	v_pk_fma_f32 v[0:1], v[98:99], v[102:103], v[0:1] op_sel_hi:[1,0,1]
	v_xor_b32_e32 v22, 0x80000000, v101
	v_pk_fma_f32 v[2:3], v[100:101], v[92:93], v[2:3] op_sel_hi:[1,0,1]
	v_mov_b32_e32 v23, v100
	v_pk_fma_f32 v[0:1], v[20:21], v[102:103], v[0:1] op_sel:[0,1,0]
	s_waitcnt vmcnt(7)
	v_xor_b32_e32 v20, 0x80000000, v35
	v_pk_fma_f32 v[16:17], v[34:35], v[102:103], v[16:17] op_sel_hi:[1,0,1]
	v_mov_b32_e32 v21, v34
	v_pk_fma_f32 v[2:3], v[22:23], v[92:93], v[2:3] op_sel:[0,1,0]
	v_pk_fma_f32 v[16:17], v[20:21], v[102:103], v[16:17] op_sel:[0,1,0]
	s_waitcnt vmcnt(6)
	v_xor_b32_e32 v20, 0x80000000, v37
	v_pk_fma_f32 v[18:19], v[36:37], v[102:103], v[18:19] op_sel_hi:[1,0,1]
	v_mov_b32_e32 v21, v36
	v_pk_fma_f32 v[20:21], v[20:21], v[102:103], v[18:19] op_sel:[0,1,0]
	s_waitcnt vmcnt(5)
	v_xor_b32_e32 v18, 0x80000000, v39
	v_mov_b32_e32 v19, v38
	s_waitcnt vmcnt(4)
	v_xor_b32_e32 v22, 0x80000000, v43
	v_pk_fma_f32 v[2:3], v[42:43], v[102:103], v[2:3] op_sel_hi:[1,0,1]
	v_mov_b32_e32 v23, v42
	s_waitcnt vmcnt(3)
	v_pk_fma_f32 v[0:1], v[38:39], v[44:45], v[0:1] op_sel_hi:[1,0,1]
	v_pk_fma_f32 v[2:3], v[22:23], v[102:103], v[2:3] op_sel:[0,1,0]
	v_pk_fma_f32 v[18:19], v[18:19], v[44:45], v[0:1] op_sel:[0,1,0]
	s_waitcnt vmcnt(2)
	v_xor_b32_e32 v0, 0x80000000, v29
	v_pk_fma_f32 v[16:17], v[28:29], v[44:45], v[16:17] op_sel_hi:[1,0,1]
	v_mov_b32_e32 v1, v28
	v_pk_fma_f32 v[22:23], v[0:1], v[44:45], v[16:17] op_sel:[0,1,0]
	v_add_u32_e32 v4, 0xe0, v4
	s_waitcnt vmcnt(1)
	v_xor_b32_e32 v0, 0x80000000, v41
	v_pk_fma_f32 v[16:17], v[40:41], v[44:45], v[20:21] op_sel_hi:[1,0,1]
	v_mov_b32_e32 v1, v40
	s_waitcnt vmcnt(0)
	v_xor_b32_e32 v24, 0x80000000, v47
	v_pk_fma_f32 v[2:3], v[46:47], v[44:45], v[2:3] op_sel_hi:[1,0,1]
	v_mov_b32_e32 v25, v46
	v_pk_fma_f32 v[20:21], v[0:1], v[44:45], v[16:17] op_sel:[0,1,0]
	v_pk_fma_f32 v[16:17], v[24:25], v[44:45], v[2:3] op_sel:[0,1,0]
	s_andn2_b64 exec, exec, s[2:3]
	s_cbranch_execnz .LBB100_11
; %bb.12:
	s_or_b64 exec, exec, s[2:3]
.LBB100_13:
	s_or_b64 exec, exec, s[4:5]
.LBB100_14:
	v_mov_b32_dpp v6, v23 row_shr:1 row_mask:0xf bank_mask:0xf
	v_add_f32_e32 v6, v23, v6
	v_mov_b32_dpp v0, v18 row_shr:1 row_mask:0xf bank_mask:0xf
	v_add_f32_e32 v0, v18, v0
	;; [unrolled: 2-line block ×4, first 2 shown]
	v_mov_b32_dpp v2, v19 row_shr:1 row_mask:0xf bank_mask:0xf
	v_mov_b32_dpp v4, v22 row_shr:1 row_mask:0xf bank_mask:0xf
	;; [unrolled: 1-line block ×3, first 2 shown]
	v_add_f32_e32 v15, v6, v15
	v_mov_b32_dpp v6, v21 row_shr:1 row_mask:0xf bank_mask:0xf
	v_add_f32_e32 v6, v21, v6
	v_add_f32_e32 v2, v19, v2
	;; [unrolled: 1-line block ×3, first 2 shown]
	v_mov_b32_dpp v18, v6 row_shr:2 row_mask:0xf bank_mask:0xf
	v_add_f32_e32 v21, v6, v18
	v_mov_b32_dpp v6, v16 row_shr:1 row_mask:0xf bank_mask:0xf
	v_add_f32_e32 v6, v16, v6
	v_mov_b32_dpp v1, v0 row_shr:2 row_mask:0xf bank_mask:0xf
	v_mov_b32_dpp v3, v2 row_shr:2 row_mask:0xf bank_mask:0xf
	;; [unrolled: 1-line block ×3, first 2 shown]
	v_add_f32_e32 v23, v6, v16
	v_mov_b32_dpp v6, v17 row_shr:1 row_mask:0xf bank_mask:0xf
	v_add_f32_e32 v6, v17, v6
	v_mov_b32_dpp v5, v4 row_shr:2 row_mask:0xf bank_mask:0xf
	;; [unrolled: 2-line block ×3, first 2 shown]
	v_add_f32_e32 v2, v2, v3
	v_add_f32_e32 v4, v4, v5
	;; [unrolled: 1-line block ×3, first 2 shown]
	v_mov_b32_dpp v1, v0 row_shr:4 row_mask:0xf bank_mask:0xe
	v_mov_b32_dpp v3, v2 row_shr:4 row_mask:0xf bank_mask:0xe
	;; [unrolled: 1-line block ×8, first 2 shown]
	v_cmp_eq_u32_e32 vcc, 7, v13
	s_and_b64 exec, exec, vcc
	s_cbranch_execz .LBB100_19
; %bb.15:
	s_load_dwordx2 s[2:3], s[0:1], 0x38
	v_cmp_eq_f32_e32 vcc, 0, v10
	v_cmp_eq_f32_e64 s[0:1], 0, v11
	v_add_f32_e32 v6, v0, v1
	v_add_f32_e32 v20, v2, v3
	;; [unrolled: 1-line block ×8, first 2 shown]
	s_and_b64 s[0:1], vcc, s[0:1]
	s_and_saveexec_b64 s[4:5], s[0:1]
	s_xor_b64 s[0:1], exec, s[4:5]
	s_cbranch_execz .LBB100_17
; %bb.16:
	v_lshlrev_b32_e32 v10, 2, v12
	v_xor_b32_e32 v22, 0x80000000, v9
	v_ashrrev_i32_e32 v11, 31, v10
	v_mov_b32_e32 v23, v8
	s_waitcnt lgkmcnt(0)
	v_lshl_add_u64 v[24:25], v[10:11], 3, s[2:3]
	v_pk_mul_f32 v[10:11], v[20:21], v[22:23] op_sel_hi:[0,1]
	v_pk_fma_f32 v[10:11], v[8:9], v[6:7], v[10:11] op_sel_hi:[1,0,1]
	v_pk_mul_f32 v[6:7], v[18:19], v[22:23] op_sel_hi:[0,1]
	v_pk_fma_f32 v[12:13], v[8:9], v[4:5], v[6:7] op_sel_hi:[1,0,1]
	;; [unrolled: 2-line block ×4, first 2 shown]
	global_store_dwordx4 v[24:25], v[10:13], off
	global_store_dwordx4 v[24:25], v[2:5], off offset:16
                                        ; implicit-def: $vgpr12
                                        ; implicit-def: $vgpr6
                                        ; implicit-def: $vgpr20
                                        ; implicit-def: $vgpr4
                                        ; implicit-def: $vgpr18
                                        ; implicit-def: $vgpr2
                                        ; implicit-def: $vgpr16
                                        ; implicit-def: $vgpr0
                                        ; implicit-def: $vgpr14
                                        ; implicit-def: $vgpr8_vgpr9
                                        ; implicit-def: $vgpr10_vgpr11
.LBB100_17:
	s_andn2_saveexec_b64 s[0:1], s[0:1]
	s_cbranch_execz .LBB100_19
; %bb.18:
	v_lshlrev_b32_e32 v12, 2, v12
	v_ashrrev_i32_e32 v13, 31, v12
	s_waitcnt lgkmcnt(0)
	v_lshl_add_u64 v[12:13], v[12:13], 3, s[2:3]
	global_load_dwordx4 v[22:25], v[12:13], off
	global_load_dwordx4 v[26:29], v[12:13], off offset:16
	v_xor_b32_e32 v30, 0x80000000, v9
	v_mov_b32_e32 v31, v8
	v_pk_mul_f32 v[20:21], v[20:21], v[30:31] op_sel_hi:[0,1]
	v_pk_mul_f32 v[18:19], v[18:19], v[30:31] op_sel_hi:[0,1]
	;; [unrolled: 1-line block ×4, first 2 shown]
	v_pk_fma_f32 v[6:7], v[8:9], v[6:7], v[20:21] op_sel_hi:[1,0,1]
	v_pk_fma_f32 v[4:5], v[8:9], v[4:5], v[18:19] op_sel_hi:[1,0,1]
	v_xor_b32_e32 v32, 0x80000000, v11
	v_mov_b32_e32 v33, v10
	v_pk_fma_f32 v[2:3], v[8:9], v[2:3], v[16:17] op_sel_hi:[1,0,1]
	v_pk_fma_f32 v[0:1], v[8:9], v[0:1], v[14:15] op_sel_hi:[1,0,1]
	s_waitcnt vmcnt(1)
	v_pk_fma_f32 v[6:7], v[10:11], v[22:23], v[6:7] op_sel_hi:[1,0,1]
	v_pk_fma_f32 v[4:5], v[10:11], v[24:25], v[4:5] op_sel_hi:[1,0,1]
	v_mov_b32_e32 v8, v25
	s_waitcnt vmcnt(0)
	v_pk_fma_f32 v[14:15], v[10:11], v[26:27], v[2:3] op_sel_hi:[1,0,1]
	v_pk_fma_f32 v[10:11], v[10:11], v[28:29], v[0:1] op_sel_hi:[1,0,1]
	v_mov_b32_e32 v16, v29
	v_pk_fma_f32 v[0:1], v[32:33], v[22:23], v[6:7] op_sel:[0,1,0]
	v_pk_fma_f32 v[2:3], v[32:33], v[8:9], v[4:5] op_sel_hi:[1,0,1]
	v_pk_fma_f32 v[4:5], v[32:33], v[26:27], v[14:15] op_sel:[0,1,0]
	v_pk_fma_f32 v[6:7], v[32:33], v[16:17], v[10:11] op_sel_hi:[1,0,1]
	global_store_dwordx4 v[12:13], v[0:3], off
	global_store_dwordx4 v[12:13], v[4:7], off offset:16
.LBB100_19:
	s_endpgm
	.section	.rodata,"a",@progbits
	.p2align	6, 0x0
	.amdhsa_kernel _ZN9rocsparseL19gebsrmvn_4xn_kernelILj128ELj7ELj8E21rocsparse_complex_numIfEEEvi20rocsparse_direction_NS_24const_host_device_scalarIT2_EEPKiS8_PKS5_SA_S6_PS5_21rocsparse_index_base_b
		.amdhsa_group_segment_fixed_size 0
		.amdhsa_private_segment_fixed_size 0
		.amdhsa_kernarg_size 72
		.amdhsa_user_sgpr_count 2
		.amdhsa_user_sgpr_dispatch_ptr 0
		.amdhsa_user_sgpr_queue_ptr 0
		.amdhsa_user_sgpr_kernarg_segment_ptr 1
		.amdhsa_user_sgpr_dispatch_id 0
		.amdhsa_user_sgpr_kernarg_preload_length 0
		.amdhsa_user_sgpr_kernarg_preload_offset 0
		.amdhsa_user_sgpr_private_segment_size 0
		.amdhsa_uses_dynamic_stack 0
		.amdhsa_enable_private_segment 0
		.amdhsa_system_sgpr_workgroup_id_x 1
		.amdhsa_system_sgpr_workgroup_id_y 0
		.amdhsa_system_sgpr_workgroup_id_z 0
		.amdhsa_system_sgpr_workgroup_info 0
		.amdhsa_system_vgpr_workitem_id 0
		.amdhsa_next_free_vgpr 104
		.amdhsa_next_free_sgpr 16
		.amdhsa_accum_offset 104
		.amdhsa_reserve_vcc 1
		.amdhsa_float_round_mode_32 0
		.amdhsa_float_round_mode_16_64 0
		.amdhsa_float_denorm_mode_32 3
		.amdhsa_float_denorm_mode_16_64 3
		.amdhsa_dx10_clamp 1
		.amdhsa_ieee_mode 1
		.amdhsa_fp16_overflow 0
		.amdhsa_tg_split 0
		.amdhsa_exception_fp_ieee_invalid_op 0
		.amdhsa_exception_fp_denorm_src 0
		.amdhsa_exception_fp_ieee_div_zero 0
		.amdhsa_exception_fp_ieee_overflow 0
		.amdhsa_exception_fp_ieee_underflow 0
		.amdhsa_exception_fp_ieee_inexact 0
		.amdhsa_exception_int_div_zero 0
	.end_amdhsa_kernel
	.section	.text._ZN9rocsparseL19gebsrmvn_4xn_kernelILj128ELj7ELj8E21rocsparse_complex_numIfEEEvi20rocsparse_direction_NS_24const_host_device_scalarIT2_EEPKiS8_PKS5_SA_S6_PS5_21rocsparse_index_base_b,"axG",@progbits,_ZN9rocsparseL19gebsrmvn_4xn_kernelILj128ELj7ELj8E21rocsparse_complex_numIfEEEvi20rocsparse_direction_NS_24const_host_device_scalarIT2_EEPKiS8_PKS5_SA_S6_PS5_21rocsparse_index_base_b,comdat
.Lfunc_end100:
	.size	_ZN9rocsparseL19gebsrmvn_4xn_kernelILj128ELj7ELj8E21rocsparse_complex_numIfEEEvi20rocsparse_direction_NS_24const_host_device_scalarIT2_EEPKiS8_PKS5_SA_S6_PS5_21rocsparse_index_base_b, .Lfunc_end100-_ZN9rocsparseL19gebsrmvn_4xn_kernelILj128ELj7ELj8E21rocsparse_complex_numIfEEEvi20rocsparse_direction_NS_24const_host_device_scalarIT2_EEPKiS8_PKS5_SA_S6_PS5_21rocsparse_index_base_b
                                        ; -- End function
	.set _ZN9rocsparseL19gebsrmvn_4xn_kernelILj128ELj7ELj8E21rocsparse_complex_numIfEEEvi20rocsparse_direction_NS_24const_host_device_scalarIT2_EEPKiS8_PKS5_SA_S6_PS5_21rocsparse_index_base_b.num_vgpr, 104
	.set _ZN9rocsparseL19gebsrmvn_4xn_kernelILj128ELj7ELj8E21rocsparse_complex_numIfEEEvi20rocsparse_direction_NS_24const_host_device_scalarIT2_EEPKiS8_PKS5_SA_S6_PS5_21rocsparse_index_base_b.num_agpr, 0
	.set _ZN9rocsparseL19gebsrmvn_4xn_kernelILj128ELj7ELj8E21rocsparse_complex_numIfEEEvi20rocsparse_direction_NS_24const_host_device_scalarIT2_EEPKiS8_PKS5_SA_S6_PS5_21rocsparse_index_base_b.numbered_sgpr, 16
	.set _ZN9rocsparseL19gebsrmvn_4xn_kernelILj128ELj7ELj8E21rocsparse_complex_numIfEEEvi20rocsparse_direction_NS_24const_host_device_scalarIT2_EEPKiS8_PKS5_SA_S6_PS5_21rocsparse_index_base_b.num_named_barrier, 0
	.set _ZN9rocsparseL19gebsrmvn_4xn_kernelILj128ELj7ELj8E21rocsparse_complex_numIfEEEvi20rocsparse_direction_NS_24const_host_device_scalarIT2_EEPKiS8_PKS5_SA_S6_PS5_21rocsparse_index_base_b.private_seg_size, 0
	.set _ZN9rocsparseL19gebsrmvn_4xn_kernelILj128ELj7ELj8E21rocsparse_complex_numIfEEEvi20rocsparse_direction_NS_24const_host_device_scalarIT2_EEPKiS8_PKS5_SA_S6_PS5_21rocsparse_index_base_b.uses_vcc, 1
	.set _ZN9rocsparseL19gebsrmvn_4xn_kernelILj128ELj7ELj8E21rocsparse_complex_numIfEEEvi20rocsparse_direction_NS_24const_host_device_scalarIT2_EEPKiS8_PKS5_SA_S6_PS5_21rocsparse_index_base_b.uses_flat_scratch, 0
	.set _ZN9rocsparseL19gebsrmvn_4xn_kernelILj128ELj7ELj8E21rocsparse_complex_numIfEEEvi20rocsparse_direction_NS_24const_host_device_scalarIT2_EEPKiS8_PKS5_SA_S6_PS5_21rocsparse_index_base_b.has_dyn_sized_stack, 0
	.set _ZN9rocsparseL19gebsrmvn_4xn_kernelILj128ELj7ELj8E21rocsparse_complex_numIfEEEvi20rocsparse_direction_NS_24const_host_device_scalarIT2_EEPKiS8_PKS5_SA_S6_PS5_21rocsparse_index_base_b.has_recursion, 0
	.set _ZN9rocsparseL19gebsrmvn_4xn_kernelILj128ELj7ELj8E21rocsparse_complex_numIfEEEvi20rocsparse_direction_NS_24const_host_device_scalarIT2_EEPKiS8_PKS5_SA_S6_PS5_21rocsparse_index_base_b.has_indirect_call, 0
	.section	.AMDGPU.csdata,"",@progbits
; Kernel info:
; codeLenInByte = 3840
; TotalNumSgprs: 22
; NumVgprs: 104
; NumAgprs: 0
; TotalNumVgprs: 104
; ScratchSize: 0
; MemoryBound: 0
; FloatMode: 240
; IeeeMode: 1
; LDSByteSize: 0 bytes/workgroup (compile time only)
; SGPRBlocks: 2
; VGPRBlocks: 12
; NumSGPRsForWavesPerEU: 22
; NumVGPRsForWavesPerEU: 104
; AccumOffset: 104
; Occupancy: 4
; WaveLimiterHint : 1
; COMPUTE_PGM_RSRC2:SCRATCH_EN: 0
; COMPUTE_PGM_RSRC2:USER_SGPR: 2
; COMPUTE_PGM_RSRC2:TRAP_HANDLER: 0
; COMPUTE_PGM_RSRC2:TGID_X_EN: 1
; COMPUTE_PGM_RSRC2:TGID_Y_EN: 0
; COMPUTE_PGM_RSRC2:TGID_Z_EN: 0
; COMPUTE_PGM_RSRC2:TIDIG_COMP_CNT: 0
; COMPUTE_PGM_RSRC3_GFX90A:ACCUM_OFFSET: 25
; COMPUTE_PGM_RSRC3_GFX90A:TG_SPLIT: 0
	.section	.text._ZN9rocsparseL19gebsrmvn_4xn_kernelILj128ELj7ELj16E21rocsparse_complex_numIfEEEvi20rocsparse_direction_NS_24const_host_device_scalarIT2_EEPKiS8_PKS5_SA_S6_PS5_21rocsparse_index_base_b,"axG",@progbits,_ZN9rocsparseL19gebsrmvn_4xn_kernelILj128ELj7ELj16E21rocsparse_complex_numIfEEEvi20rocsparse_direction_NS_24const_host_device_scalarIT2_EEPKiS8_PKS5_SA_S6_PS5_21rocsparse_index_base_b,comdat
	.globl	_ZN9rocsparseL19gebsrmvn_4xn_kernelILj128ELj7ELj16E21rocsparse_complex_numIfEEEvi20rocsparse_direction_NS_24const_host_device_scalarIT2_EEPKiS8_PKS5_SA_S6_PS5_21rocsparse_index_base_b ; -- Begin function _ZN9rocsparseL19gebsrmvn_4xn_kernelILj128ELj7ELj16E21rocsparse_complex_numIfEEEvi20rocsparse_direction_NS_24const_host_device_scalarIT2_EEPKiS8_PKS5_SA_S6_PS5_21rocsparse_index_base_b
	.p2align	8
	.type	_ZN9rocsparseL19gebsrmvn_4xn_kernelILj128ELj7ELj16E21rocsparse_complex_numIfEEEvi20rocsparse_direction_NS_24const_host_device_scalarIT2_EEPKiS8_PKS5_SA_S6_PS5_21rocsparse_index_base_b,@function
_ZN9rocsparseL19gebsrmvn_4xn_kernelILj128ELj7ELj16E21rocsparse_complex_numIfEEEvi20rocsparse_direction_NS_24const_host_device_scalarIT2_EEPKiS8_PKS5_SA_S6_PS5_21rocsparse_index_base_b: ; @_ZN9rocsparseL19gebsrmvn_4xn_kernelILj128ELj7ELj16E21rocsparse_complex_numIfEEEvi20rocsparse_direction_NS_24const_host_device_scalarIT2_EEPKiS8_PKS5_SA_S6_PS5_21rocsparse_index_base_b
; %bb.0:
	s_load_dwordx2 s[4:5], s[0:1], 0x8
	s_load_dwordx2 s[6:7], s[0:1], 0x30
	;; [unrolled: 1-line block ×3, first 2 shown]
	s_add_u32 s3, s0, 8
	s_addc_u32 s8, s1, 0
	s_add_u32 s9, s0, 48
	s_addc_u32 s10, s1, 0
	s_waitcnt lgkmcnt(0)
	s_bitcmp1_b32 s13, 0
	s_cselect_b32 s3, s3, s4
	s_cselect_b32 s5, s8, s5
	v_mov_b32_e32 v2, s3
	s_cselect_b32 s3, s10, s7
	s_cselect_b32 s4, s9, s6
	v_mov_b32_e32 v3, s5
	v_mov_b32_e32 v4, s4
	;; [unrolled: 1-line block ×3, first 2 shown]
	flat_load_dwordx2 v[8:9], v[2:3]
	flat_load_dwordx2 v[10:11], v[4:5]
	s_waitcnt vmcnt(0) lgkmcnt(0)
	v_cmp_eq_f32_e32 vcc, 0, v8
	v_cmp_eq_f32_e64 s[4:5], 0, v9
	v_cmp_eq_f32_e64 s[6:7], 1.0, v10
	v_cmp_eq_f32_e64 s[8:9], 0, v11
	s_and_b64 s[4:5], vcc, s[4:5]
	s_and_b64 s[6:7], s[6:7], s[8:9]
	s_and_b64 s[4:5], s[4:5], s[6:7]
	s_xor_b64 s[4:5], s[4:5], -1
	s_and_saveexec_b64 s[6:7], s[4:5]
	s_cbranch_execz .LBB101_19
; %bb.1:
	s_load_dwordx2 s[14:15], s[0:1], 0x0
	v_lshrrev_b32_e32 v1, 4, v0
	v_lshl_or_b32 v12, s2, 3, v1
	s_waitcnt lgkmcnt(0)
	v_cmp_gt_i32_e32 vcc, s14, v12
	s_and_b64 exec, exec, vcc
	s_cbranch_execz .LBB101_19
; %bb.2:
	s_load_dwordx8 s[4:11], s[0:1], 0x10
	v_ashrrev_i32_e32 v13, 31, v12
	s_cmp_lg_u32 s15, 0
	s_waitcnt lgkmcnt(0)
	v_lshl_add_u64 v[2:3], v[12:13], 2, s[4:5]
	global_load_dwordx2 v[2:3], v[2:3], off
	v_and_b32_e32 v13, 15, v0
	s_waitcnt vmcnt(0)
	v_subrev_u32_e32 v0, s12, v2
	v_subrev_u32_e32 v32, s12, v3
	v_add_u32_e32 v14, v0, v13
	v_cmp_lt_i32_e64 s[2:3], v14, v32
	s_cbranch_scc0 .LBB101_8
; %bb.3:
	v_mov_b32_e32 v19, 0
	v_mov_b32_e32 v18, v19
	;; [unrolled: 1-line block ×8, first 2 shown]
	s_and_saveexec_b64 s[4:5], s[2:3]
	s_cbranch_execz .LBB101_7
; %bb.4:
	v_mad_u64_u32 v[24:25], s[14:15], v14, 28, 24
	v_mov_b32_e32 v27, 0
	s_mov_b64 s[14:15], 0
	v_mov_b32_e32 v28, v14
	v_mov_b32_e32 v16, v27
	;; [unrolled: 1-line block ×9, first 2 shown]
.LBB101_5:                              ; =>This Inner Loop Header: Depth=1
	v_ashrrev_i32_e32 v29, 31, v28
	v_subrev_u32_e32 v26, 24, v24
	v_lshl_add_u64 v[0:1], v[28:29], 2, s[6:7]
	v_lshl_add_u64 v[2:3], v[26:27], 3, s[8:9]
	global_load_dword v15, v[0:1], off
	global_load_dwordx4 v[34:37], v[2:3], off
	global_load_dwordx4 v[38:41], v[2:3], off offset:16
	v_mov_b32_e32 v25, v27
	v_mov_b32_e32 v31, v27
	v_subrev_u32_e32 v26, 20, v24
	v_lshl_add_u64 v[50:51], v[24:25], 3, s[8:9]
	v_lshl_add_u64 v[52:53], v[26:27], 3, s[8:9]
	global_load_dwordx4 v[0:3], v[50:51], off offset:16
	global_load_dwordx4 v[4:7], v[50:51], off
	global_load_dwordx4 v[42:45], v[52:53], off
	global_load_dwordx4 v[46:49], v[52:53], off offset:16
	v_add_u32_e32 v28, 16, v28
	v_cmp_ge_i32_e32 vcc, v28, v32
	s_or_b64 s[14:15], vcc, s[14:15]
	s_waitcnt vmcnt(6)
	v_subrev_u32_e32 v15, s12, v15
	v_mul_lo_u32 v30, v15, 7
	v_lshl_add_u64 v[50:51], v[30:31], 3, s[10:11]
	global_load_dwordx2 v[78:79], v[50:51], off
	v_add_u32_e32 v26, 1, v30
	v_lshl_add_u64 v[50:51], v[26:27], 3, s[10:11]
	global_load_dwordx2 v[80:81], v[50:51], off
	v_add_u32_e32 v26, -16, v24
	v_lshl_add_u64 v[58:59], v[26:27], 3, s[8:9]
	v_add_u32_e32 v26, 2, v30
	v_lshl_add_u64 v[60:61], v[26:27], 3, s[10:11]
	v_add_u32_e32 v26, -12, v24
	global_load_dwordx4 v[50:53], v[58:59], off
	global_load_dwordx4 v[54:57], v[58:59], off offset:16
	global_load_dwordx2 v[82:83], v[60:61], off
	v_lshl_add_u64 v[84:85], v[26:27], 3, s[8:9]
	v_add_u32_e32 v26, 3, v30
	s_waitcnt vmcnt(10)
	v_xor_b32_e32 v66, 0x80000000, v37
	v_mov_b32_e32 v67, v36
	global_load_dwordx4 v[58:61], v[84:85], off offset:16
	global_load_dwordx4 v[62:65], v[84:85], off
	s_waitcnt vmcnt(11)
	v_xor_b32_e32 v68, 0x80000000, v41
	v_mov_b32_e32 v69, v40
	s_waitcnt vmcnt(8)
	v_xor_b32_e32 v72, 0x80000000, v45
	v_mov_b32_e32 v73, v44
	v_xor_b32_e32 v70, 0x80000000, v43
	s_waitcnt vmcnt(7)
	v_xor_b32_e32 v74, 0x80000000, v47
	v_xor_b32_e32 v76, 0x80000000, v49
	v_mov_b32_e32 v71, v42
	v_mov_b32_e32 v75, v46
	;; [unrolled: 1-line block ×3, first 2 shown]
	s_waitcnt vmcnt(6)
	v_pk_fma_f32 v[18:19], v[34:35], v[78:79], v[18:19] op_sel_hi:[1,0,1]
	s_nop 0
	v_pk_fma_f32 v[34:35], v[34:35], v[78:79], v[18:19] op_sel:[1,1,0] op_sel_hi:[0,1,1] neg_lo:[1,0,0]
	v_lshl_add_u64 v[18:19], v[26:27], 3, s[10:11]
	v_add_u32_e32 v26, -8, v24
	v_pk_fma_f32 v[22:23], v[36:37], v[78:79], v[22:23] op_sel_hi:[1,0,1]
	global_load_dwordx2 v[84:85], v[18:19], off
	v_lshl_add_u64 v[36:37], v[26:27], 3, s[8:9]
	v_add_u32_e32 v26, 4, v30
	v_pk_fma_f32 v[18:19], v[38:39], v[78:79], v[20:21] op_sel_hi:[1,0,1]
	v_pk_fma_f32 v[40:41], v[40:41], v[78:79], v[16:17] op_sel_hi:[1,0,1]
	v_pk_fma_f32 v[38:39], v[38:39], v[78:79], v[18:19] op_sel:[1,1,0] op_sel_hi:[0,1,1] neg_lo:[1,0,0]
	global_load_dwordx4 v[16:19], v[36:37], off
	v_pk_fma_f32 v[66:67], v[66:67], v[78:79], v[22:23] op_sel:[0,1,0]
	global_load_dwordx4 v[20:23], v[36:37], off offset:16
	v_lshl_add_u64 v[36:37], v[26:27], 3, s[10:11]
	v_add_u32_e32 v26, -4, v24
	v_pk_fma_f32 v[40:41], v[68:69], v[78:79], v[40:41] op_sel:[0,1,0]
	v_lshl_add_u64 v[68:69], v[26:27], 3, s[8:9]
	v_add_u32_e32 v26, 5, v30
	global_load_dwordx2 v[78:79], v[36:37], off
	s_waitcnt vmcnt(9)
	v_pk_fma_f32 v[44:45], v[44:45], v[80:81], v[66:67] op_sel_hi:[1,0,1]
	v_lshl_add_u64 v[66:67], v[26:27], 3, s[10:11]
	v_pk_fma_f32 v[42:43], v[42:43], v[80:81], v[34:35] op_sel_hi:[1,0,1]
	v_pk_fma_f32 v[46:47], v[46:47], v[80:81], v[38:39] op_sel_hi:[1,0,1]
	;; [unrolled: 1-line block ×3, first 2 shown]
	global_load_dwordx4 v[38:41], v[68:69], off offset:16
	v_add_u32_e32 v26, 6, v30
	global_load_dwordx2 v[30:31], v[66:67], off
	global_load_dwordx4 v[34:37], v[68:69], off
	v_lshl_add_u64 v[66:67], v[26:27], 3, s[10:11]
	global_load_dwordx2 v[66:67], v[66:67], off
	v_pk_fma_f32 v[42:43], v[70:71], v[80:81], v[42:43] op_sel:[0,1,0]
	v_pk_fma_f32 v[44:45], v[72:73], v[80:81], v[44:45] op_sel:[0,1,0]
	;; [unrolled: 1-line block ×4, first 2 shown]
	s_waitcnt vmcnt(12)
	v_xor_b32_e32 v72, 0x80000000, v53
	v_mov_b32_e32 v73, v52
	s_waitcnt vmcnt(11)
	v_xor_b32_e32 v74, 0x80000000, v57
	v_mov_b32_e32 v75, v56
	s_waitcnt vmcnt(10)
	v_pk_fma_f32 v[42:43], v[50:51], v[82:83], v[42:43] op_sel_hi:[1,0,1]
	v_pk_fma_f32 v[44:45], v[52:53], v[82:83], v[44:45] op_sel_hi:[1,0,1]
	v_pk_fma_f32 v[46:47], v[54:55], v[82:83], v[46:47] op_sel_hi:[1,0,1]
	v_pk_fma_f32 v[48:49], v[56:57], v[82:83], v[48:49] op_sel_hi:[1,0,1]
	v_pk_fma_f32 v[42:43], v[50:51], v[82:83], v[42:43] op_sel:[1,1,0] op_sel_hi:[0,1,1] neg_lo:[1,0,0]
	v_pk_fma_f32 v[46:47], v[54:55], v[82:83], v[46:47] op_sel:[1,1,0] op_sel_hi:[0,1,1] neg_lo:[1,0,0]
	v_pk_fma_f32 v[44:45], v[72:73], v[82:83], v[44:45] op_sel:[0,1,0]
	v_pk_fma_f32 v[48:49], v[74:75], v[82:83], v[48:49] op_sel:[0,1,0]
	s_waitcnt vmcnt(8)
	v_xor_b32_e32 v52, 0x80000000, v65
	v_mov_b32_e32 v53, v64
	v_xor_b32_e32 v50, 0x80000000, v61
	v_mov_b32_e32 v51, v60
	;; [unrolled: 2-line block ×4, first 2 shown]
	v_add_u32_e32 v24, 0x1c0, v24
	s_waitcnt vmcnt(7)
	v_pk_fma_f32 v[42:43], v[62:63], v[84:85], v[42:43] op_sel_hi:[1,0,1]
	v_pk_fma_f32 v[44:45], v[64:65], v[84:85], v[44:45] op_sel_hi:[1,0,1]
	;; [unrolled: 1-line block ×4, first 2 shown]
	v_pk_fma_f32 v[42:43], v[62:63], v[84:85], v[42:43] op_sel:[1,1,0] op_sel_hi:[0,1,1] neg_lo:[1,0,0]
	v_pk_fma_f32 v[44:45], v[52:53], v[84:85], v[44:45] op_sel:[0,1,0]
	v_pk_fma_f32 v[46:47], v[58:59], v[84:85], v[46:47] op_sel:[1,1,0] op_sel_hi:[0,1,1] neg_lo:[1,0,0]
	v_pk_fma_f32 v[48:49], v[50:51], v[84:85], v[48:49] op_sel:[0,1,0]
	s_waitcnt vmcnt(6)
	v_xor_b32_e32 v54, 0x80000000, v19
	v_mov_b32_e32 v55, v18
	s_waitcnt vmcnt(5)
	v_xor_b32_e32 v56, 0x80000000, v23
	v_mov_b32_e32 v57, v22
	s_waitcnt vmcnt(4)
	v_pk_fma_f32 v[42:43], v[16:17], v[78:79], v[42:43] op_sel_hi:[1,0,1]
	v_pk_fma_f32 v[18:19], v[18:19], v[78:79], v[44:45] op_sel_hi:[1,0,1]
	;; [unrolled: 1-line block ×4, first 2 shown]
	v_pk_fma_f32 v[16:17], v[16:17], v[78:79], v[42:43] op_sel:[1,1,0] op_sel_hi:[0,1,1] neg_lo:[1,0,0]
	v_pk_fma_f32 v[18:19], v[54:55], v[78:79], v[18:19] op_sel:[0,1,0]
	v_pk_fma_f32 v[20:21], v[20:21], v[78:79], v[46:47] op_sel:[1,1,0] op_sel_hi:[0,1,1] neg_lo:[1,0,0]
	v_pk_fma_f32 v[22:23], v[56:57], v[78:79], v[22:23] op_sel:[0,1,0]
	s_waitcnt vmcnt(3)
	v_xor_b32_e32 v48, 0x80000000, v41
	s_waitcnt vmcnt(1)
	v_xor_b32_e32 v44, 0x80000000, v37
	v_mov_b32_e32 v45, v36
	v_mov_b32_e32 v49, v40
	v_pk_fma_f32 v[16:17], v[34:35], v[30:31], v[16:17] op_sel_hi:[1,0,1]
	v_pk_fma_f32 v[18:19], v[36:37], v[30:31], v[18:19] op_sel_hi:[1,0,1]
	;; [unrolled: 1-line block ×4, first 2 shown]
	v_pk_fma_f32 v[16:17], v[34:35], v[30:31], v[16:17] op_sel:[1,1,0] op_sel_hi:[0,1,1] neg_lo:[1,0,0]
	v_pk_fma_f32 v[18:19], v[44:45], v[30:31], v[18:19] op_sel:[0,1,0]
	v_pk_fma_f32 v[20:21], v[38:39], v[30:31], v[20:21] op_sel:[1,1,0] op_sel_hi:[0,1,1] neg_lo:[1,0,0]
	v_pk_fma_f32 v[22:23], v[48:49], v[30:31], v[22:23] op_sel:[0,1,0]
	s_waitcnt vmcnt(0)
	v_pk_fma_f32 v[16:17], v[4:5], v[66:67], v[16:17] op_sel_hi:[1,0,1]
	v_pk_fma_f32 v[6:7], v[6:7], v[66:67], v[18:19] op_sel_hi:[1,0,1]
	;; [unrolled: 1-line block ×4, first 2 shown]
	v_pk_fma_f32 v[18:19], v[4:5], v[66:67], v[16:17] op_sel:[1,1,0] op_sel_hi:[0,1,1] neg_lo:[1,0,0]
	v_pk_fma_f32 v[22:23], v[68:69], v[66:67], v[6:7] op_sel:[0,1,0]
	v_pk_fma_f32 v[20:21], v[0:1], v[66:67], v[20:21] op_sel:[1,1,0] op_sel_hi:[0,1,1] neg_lo:[1,0,0]
	v_pk_fma_f32 v[16:17], v[70:71], v[66:67], v[2:3] op_sel:[0,1,0]
	s_andn2_b64 exec, exec, s[14:15]
	s_cbranch_execnz .LBB101_5
; %bb.6:
	s_or_b64 exec, exec, s[14:15]
.LBB101_7:
	s_or_b64 exec, exec, s[4:5]
	s_cbranch_execz .LBB101_9
	s_branch .LBB101_14
.LBB101_8:
                                        ; implicit-def: $vgpr19
                                        ; implicit-def: $vgpr17
                                        ; implicit-def: $vgpr21
                                        ; implicit-def: $vgpr23
.LBB101_9:
	v_mov_b32_e32 v19, 0
	v_mov_b32_e32 v18, v19
	;; [unrolled: 1-line block ×8, first 2 shown]
	s_and_saveexec_b64 s[4:5], s[2:3]
	s_cbranch_execz .LBB101_13
; %bb.10:
	v_mad_u64_u32 v[4:5], s[2:3], v14, 28, 27
	v_mov_b32_e32 v7, 0
	s_mov_b64 s[2:3], 0
	v_mov_b32_e32 v16, v7
	v_mov_b32_e32 v17, v7
	;; [unrolled: 1-line block ×8, first 2 shown]
.LBB101_11:                             ; =>This Inner Loop Header: Depth=1
	v_ashrrev_i32_e32 v15, 31, v14
	v_subrev_u32_e32 v6, 27, v4
	v_subrev_u32_e32 v26, 20, v4
	v_add_u32_e32 v2, -13, v4
	v_add_u32_e32 v0, -6, v4
	v_mov_b32_e32 v27, v7
	v_mov_b32_e32 v3, v7
	;; [unrolled: 1-line block ×3, first 2 shown]
	v_lshl_add_u64 v[30:31], v[14:15], 2, s[6:7]
	v_lshl_add_u64 v[34:35], v[6:7], 3, s[8:9]
	;; [unrolled: 1-line block ×5, first 2 shown]
	global_load_dword v5, v[30:31], off
	global_load_dwordx4 v[26:29], v[34:35], off
	global_load_dwordx2 v[42:43], v[36:37], off
	global_load_dwordx2 v[44:45], v[38:39], off
	;; [unrolled: 1-line block ×3, first 2 shown]
	global_load_dwordx4 v[0:3], v[34:35], off offset:16
	v_mov_b32_e32 v25, v7
	v_add_u32_e32 v14, 16, v14
	v_cmp_ge_i32_e32 vcc, v14, v32
	s_or_b64 s[2:3], vcc, s[2:3]
	s_waitcnt vmcnt(5)
	v_subrev_u32_e32 v5, s12, v5
	v_mul_lo_u32 v24, v5, 7
	v_lshl_add_u64 v[40:41], v[24:25], 3, s[10:11]
	global_load_dwordx2 v[40:41], v[40:41], off
	v_add_u32_e32 v6, 1, v24
	v_lshl_add_u64 v[48:49], v[6:7], 3, s[10:11]
	global_load_dwordx2 v[48:49], v[48:49], off
	v_subrev_u32_e32 v6, 19, v4
	v_lshl_add_u64 v[50:51], v[6:7], 3, s[8:9]
	v_add_u32_e32 v6, -12, v4
	v_lshl_add_u64 v[52:53], v[6:7], 3, s[8:9]
	v_add_u32_e32 v6, -5, v4
	v_lshl_add_u64 v[54:55], v[6:7], 3, s[8:9]
	v_add_u32_e32 v6, 2, v24
	v_lshl_add_u64 v[56:57], v[6:7], 3, s[10:11]
	v_subrev_u32_e32 v6, 18, v4
	v_lshl_add_u64 v[58:59], v[6:7], 3, s[8:9]
	v_add_u32_e32 v6, -11, v4
	v_lshl_add_u64 v[60:61], v[6:7], 3, s[8:9]
	v_add_u32_e32 v6, -4, v4
	v_lshl_add_u64 v[62:63], v[6:7], 3, s[8:9]
	v_add_u32_e32 v6, 3, v24
	v_lshl_add_u64 v[64:65], v[6:7], 3, s[10:11]
	v_subrev_u32_e32 v6, 17, v4
	v_lshl_add_u64 v[66:67], v[6:7], 3, s[8:9]
	v_add_u32_e32 v6, -10, v4
	v_lshl_add_u64 v[68:69], v[6:7], 3, s[8:9]
	v_add_u32_e32 v6, -3, v4
	v_lshl_add_u64 v[70:71], v[6:7], 3, s[8:9]
	v_subrev_u32_e32 v6, 23, v4
	v_lshl_add_u64 v[72:73], v[6:7], 3, s[8:9]
	v_add_u32_e32 v6, 4, v24
	s_waitcnt vmcnt(5)
	v_xor_b32_e32 v34, 0x80000000, v43
	v_mov_b32_e32 v35, v42
	s_waitcnt vmcnt(4)
	v_xor_b32_e32 v36, 0x80000000, v45
	v_mov_b32_e32 v37, v44
	;; [unrolled: 3-line block ×3, first 2 shown]
	v_xor_b32_e32 v30, 0x80000000, v29
	v_mov_b32_e32 v31, v28
	v_mov_b32_e32 v5, v7
	s_waitcnt vmcnt(1)
	v_pk_fma_f32 v[22:23], v[42:43], v[40:41], v[22:23] op_sel_hi:[1,0,1]
	v_lshl_add_u64 v[42:43], v[6:7], 3, s[10:11]
	v_add_u32_e32 v6, -16, v4
	v_pk_fma_f32 v[20:21], v[44:45], v[40:41], v[20:21] op_sel_hi:[1,0,1]
	v_lshl_add_u64 v[44:45], v[6:7], 3, s[8:9]
	v_add_u32_e32 v6, -9, v4
	v_pk_fma_f32 v[16:17], v[46:47], v[40:41], v[16:17] op_sel_hi:[1,0,1]
	v_lshl_add_u64 v[46:47], v[6:7], 3, s[8:9]
	v_add_u32_e32 v6, -2, v4
	v_pk_fma_f32 v[22:23], v[34:35], v[40:41], v[22:23] op_sel:[0,1,0]
	v_lshl_add_u64 v[34:35], v[6:7], 3, s[8:9]
	v_subrev_u32_e32 v6, 22, v4
	v_pk_fma_f32 v[20:21], v[36:37], v[40:41], v[20:21] op_sel:[0,1,0]
	v_lshl_add_u64 v[36:37], v[6:7], 3, s[8:9]
	v_add_u32_e32 v6, 5, v24
	v_pk_fma_f32 v[16:17], v[38:39], v[40:41], v[16:17] op_sel:[0,1,0]
	v_lshl_add_u64 v[38:39], v[6:7], 3, s[10:11]
	v_add_u32_e32 v6, -15, v4
	v_pk_fma_f32 v[18:19], v[26:27], v[40:41], v[18:19] op_sel_hi:[1,0,1]
	s_nop 0
	v_pk_fma_f32 v[18:19], v[26:27], v[40:41], v[18:19] op_sel:[1,1,0] op_sel_hi:[0,1,1] neg_lo:[1,0,0]
	v_lshl_add_u64 v[26:27], v[6:7], 3, s[8:9]
	v_add_u32_e32 v6, -8, v4
	s_waitcnt vmcnt(0)
	v_pk_fma_f32 v[18:19], v[28:29], v[48:49], v[18:19] op_sel_hi:[1,0,1]
	v_lshl_add_u64 v[28:29], v[6:7], 3, s[8:9]
	v_add_u32_e32 v6, -1, v4
	v_lshl_add_u64 v[40:41], v[6:7], 3, s[8:9]
	v_subrev_u32_e32 v6, 21, v4
	v_lshl_add_u64 v[74:75], v[6:7], 3, s[8:9]
	v_add_u32_e32 v6, 6, v24
	global_load_dwordx2 v[24:25], v[50:51], off
	global_load_dwordx2 v[76:77], v[52:53], off
	;; [unrolled: 1-line block ×3, first 2 shown]
	v_pk_fma_f32 v[18:19], v[30:31], v[48:49], v[18:19] op_sel:[0,1,0]
	global_load_dwordx2 v[30:31], v[56:57], off
	global_load_dwordx2 v[52:53], v[58:59], off
	;; [unrolled: 1-line block ×15, first 2 shown]
                                        ; kill: killed $vgpr44_vgpr45
                                        ; kill: killed $vgpr42_vgpr43
                                        ; kill: killed $vgpr34_vgpr35
                                        ; kill: killed $vgpr56_vgpr57
                                        ; kill: killed $vgpr36_vgpr37
                                        ; kill: killed $vgpr60_vgpr61
                                        ; kill: killed $vgpr66_vgpr67
                                        ; kill: killed $vgpr70_vgpr71
                                        ; kill: killed $vgpr72_vgpr73
                                        ; kill: killed $vgpr46_vgpr47
                                        ; kill: killed $vgpr58_vgpr59
                                        ; kill: killed $vgpr38_vgpr39
                                        ; kill: killed $vgpr62_vgpr63
                                        ; kill: killed $vgpr64_vgpr65
                                        ; kill: killed $vgpr68_vgpr69
	s_nop 0
	global_load_dwordx2 v[34:35], v[26:27], off
	global_load_dwordx2 v[36:37], v[28:29], off
	v_lshl_add_u64 v[28:29], v[6:7], 3, s[10:11]
	v_add_u32_e32 v6, -14, v4
	global_load_dwordx2 v[38:39], v[74:75], off
	global_load_dwordx2 v[42:43], v[40:41], off
	;; [unrolled: 1-line block ×3, first 2 shown]
	v_lshl_add_u64 v[28:29], v[6:7], 3, s[8:9]
	v_add_u32_e32 v6, -7, v4
	global_load_dwordx2 v[28:29], v[28:29], off
	s_waitcnt vmcnt(20)
	v_pk_fma_f32 v[18:19], v[0:1], v[30:31], v[18:19] op_sel_hi:[1,0,1]
	s_nop 0
	v_pk_fma_f32 v[0:1], v[0:1], v[30:31], v[18:19] op_sel:[1,1,0] op_sel_hi:[0,1,1] neg_lo:[1,0,0]
	s_waitcnt vmcnt(16)
	v_pk_fma_f32 v[0:1], v[2:3], v[82:83], v[0:1] op_sel_hi:[1,0,1]
	v_pk_fma_f32 v[22:23], v[24:25], v[48:49], v[22:23] op_sel_hi:[1,0,1]
	v_xor_b32_e32 v26, 0x80000000, v77
	v_pk_fma_f32 v[20:21], v[76:77], v[48:49], v[20:21] op_sel_hi:[1,0,1]
	v_mov_b32_e32 v27, v76
	v_pk_fma_f32 v[20:21], v[26:27], v[48:49], v[20:21] op_sel:[0,1,0]
	v_xor_b32_e32 v26, 0x80000000, v79
	v_pk_fma_f32 v[16:17], v[78:79], v[48:49], v[16:17] op_sel_hi:[1,0,1]
	v_mov_b32_e32 v27, v78
	v_pk_fma_f32 v[16:17], v[26:27], v[48:49], v[16:17] op_sel:[0,1,0]
	v_lshl_add_u64 v[26:27], v[6:7], 3, s[8:9]
	v_xor_b32_e32 v50, 0x80000000, v25
	v_mov_b32_e32 v51, v24
	v_lshl_add_u64 v[24:25], v[4:5], 3, s[8:9]
	global_load_dwordx2 v[40:41], v[26:27], off
	global_load_dwordx2 v[46:47], v[24:25], off
	v_pk_fma_f32 v[22:23], v[50:51], v[48:49], v[22:23] op_sel:[0,1,0]
	v_xor_b32_e32 v24, 0x80000000, v53
	v_pk_fma_f32 v[22:23], v[52:53], v[30:31], v[22:23] op_sel_hi:[1,0,1]
	v_mov_b32_e32 v25, v52
	v_pk_fma_f32 v[18:19], v[24:25], v[30:31], v[22:23] op_sel:[0,1,0]
	v_xor_b32_e32 v22, 0x80000000, v55
	v_pk_fma_f32 v[20:21], v[54:55], v[30:31], v[20:21] op_sel_hi:[1,0,1]
	v_mov_b32_e32 v23, v54
	;; [unrolled: 4-line block ×3, first 2 shown]
	v_xor_b32_e32 v26, 0x80000000, v3
	v_mov_b32_e32 v27, v2
	v_pk_fma_f32 v[2:3], v[22:23], v[30:31], v[16:17] op_sel:[0,1,0]
	s_waitcnt vmcnt(17)
	v_xor_b32_e32 v16, 0x80000000, v85
	v_pk_fma_f32 v[18:19], v[84:85], v[82:83], v[18:19] op_sel_hi:[1,0,1]
	v_mov_b32_e32 v17, v84
	v_pk_fma_f32 v[0:1], v[26:27], v[82:83], v[0:1] op_sel:[0,1,0]
	v_pk_fma_f32 v[16:17], v[16:17], v[82:83], v[18:19] op_sel:[0,1,0]
	s_waitcnt vmcnt(16)
	v_xor_b32_e32 v18, 0x80000000, v87
	v_pk_fma_f32 v[20:21], v[86:87], v[82:83], v[20:21] op_sel_hi:[1,0,1]
	v_mov_b32_e32 v19, v86
	v_pk_fma_f32 v[18:19], v[18:19], v[82:83], v[20:21] op_sel:[0,1,0]
	s_waitcnt vmcnt(15)
	v_xor_b32_e32 v20, 0x80000000, v89
	v_mov_b32_e32 v21, v88
	s_waitcnt vmcnt(13)
	v_pk_fma_f32 v[0:1], v[88:89], v[92:93], v[0:1] op_sel_hi:[1,0,1]
	s_waitcnt vmcnt(12)
	v_pk_fma_f32 v[16:17], v[94:95], v[92:93], v[16:17] op_sel_hi:[1,0,1]
	v_pk_fma_f32 v[0:1], v[20:21], v[92:93], v[0:1] op_sel:[0,1,0]
	v_xor_b32_e32 v20, 0x80000000, v95
	v_mov_b32_e32 v21, v94
	v_xor_b32_e32 v22, 0x80000000, v91
	v_pk_fma_f32 v[2:3], v[90:91], v[82:83], v[2:3] op_sel_hi:[1,0,1]
	v_mov_b32_e32 v23, v90
	v_pk_fma_f32 v[16:17], v[20:21], v[92:93], v[16:17] op_sel:[0,1,0]
	s_waitcnt vmcnt(11)
	v_xor_b32_e32 v20, 0x80000000, v97
	v_pk_fma_f32 v[18:19], v[96:97], v[92:93], v[18:19] op_sel_hi:[1,0,1]
	v_mov_b32_e32 v21, v96
	v_pk_fma_f32 v[2:3], v[22:23], v[82:83], v[2:3] op_sel:[0,1,0]
	v_pk_fma_f32 v[18:19], v[20:21], v[92:93], v[18:19] op_sel:[0,1,0]
	s_waitcnt vmcnt(10)
	v_xor_b32_e32 v20, 0x80000000, v99
	v_mov_b32_e32 v21, v98
	s_waitcnt vmcnt(8)
	v_pk_fma_f32 v[0:1], v[98:99], v[102:103], v[0:1] op_sel_hi:[1,0,1]
	v_xor_b32_e32 v22, 0x80000000, v101
	v_pk_fma_f32 v[2:3], v[100:101], v[92:93], v[2:3] op_sel_hi:[1,0,1]
	v_mov_b32_e32 v23, v100
	v_pk_fma_f32 v[0:1], v[20:21], v[102:103], v[0:1] op_sel:[0,1,0]
	s_waitcnt vmcnt(7)
	v_xor_b32_e32 v20, 0x80000000, v35
	v_pk_fma_f32 v[16:17], v[34:35], v[102:103], v[16:17] op_sel_hi:[1,0,1]
	v_mov_b32_e32 v21, v34
	v_pk_fma_f32 v[2:3], v[22:23], v[92:93], v[2:3] op_sel:[0,1,0]
	v_pk_fma_f32 v[16:17], v[20:21], v[102:103], v[16:17] op_sel:[0,1,0]
	s_waitcnt vmcnt(6)
	v_xor_b32_e32 v20, 0x80000000, v37
	v_pk_fma_f32 v[18:19], v[36:37], v[102:103], v[18:19] op_sel_hi:[1,0,1]
	v_mov_b32_e32 v21, v36
	v_pk_fma_f32 v[20:21], v[20:21], v[102:103], v[18:19] op_sel:[0,1,0]
	s_waitcnt vmcnt(5)
	v_xor_b32_e32 v18, 0x80000000, v39
	v_mov_b32_e32 v19, v38
	s_waitcnt vmcnt(4)
	v_xor_b32_e32 v22, 0x80000000, v43
	v_pk_fma_f32 v[2:3], v[42:43], v[102:103], v[2:3] op_sel_hi:[1,0,1]
	v_mov_b32_e32 v23, v42
	s_waitcnt vmcnt(3)
	v_pk_fma_f32 v[0:1], v[38:39], v[44:45], v[0:1] op_sel_hi:[1,0,1]
	v_pk_fma_f32 v[2:3], v[22:23], v[102:103], v[2:3] op_sel:[0,1,0]
	v_pk_fma_f32 v[18:19], v[18:19], v[44:45], v[0:1] op_sel:[0,1,0]
	s_waitcnt vmcnt(2)
	v_xor_b32_e32 v0, 0x80000000, v29
	v_pk_fma_f32 v[16:17], v[28:29], v[44:45], v[16:17] op_sel_hi:[1,0,1]
	v_mov_b32_e32 v1, v28
	v_pk_fma_f32 v[22:23], v[0:1], v[44:45], v[16:17] op_sel:[0,1,0]
	v_add_u32_e32 v4, 0x1c0, v4
	s_waitcnt vmcnt(1)
	v_xor_b32_e32 v0, 0x80000000, v41
	v_pk_fma_f32 v[16:17], v[40:41], v[44:45], v[20:21] op_sel_hi:[1,0,1]
	v_mov_b32_e32 v1, v40
	s_waitcnt vmcnt(0)
	v_xor_b32_e32 v24, 0x80000000, v47
	v_pk_fma_f32 v[2:3], v[46:47], v[44:45], v[2:3] op_sel_hi:[1,0,1]
	v_mov_b32_e32 v25, v46
	v_pk_fma_f32 v[20:21], v[0:1], v[44:45], v[16:17] op_sel:[0,1,0]
	v_pk_fma_f32 v[16:17], v[24:25], v[44:45], v[2:3] op_sel:[0,1,0]
	s_andn2_b64 exec, exec, s[2:3]
	s_cbranch_execnz .LBB101_11
; %bb.12:
	s_or_b64 exec, exec, s[2:3]
.LBB101_13:
	s_or_b64 exec, exec, s[4:5]
.LBB101_14:
	v_mov_b32_dpp v6, v23 row_shr:1 row_mask:0xf bank_mask:0xf
	v_add_f32_e32 v6, v23, v6
	v_mov_b32_dpp v0, v18 row_shr:1 row_mask:0xf bank_mask:0xf
	v_add_f32_e32 v0, v18, v0
	;; [unrolled: 2-line block ×3, first 2 shown]
	v_mov_b32_dpp v2, v19 row_shr:1 row_mask:0xf bank_mask:0xf
	v_mov_b32_dpp v4, v22 row_shr:1 row_mask:0xf bank_mask:0xf
	;; [unrolled: 1-line block ×3, first 2 shown]
	v_add_f32_e32 v7, v6, v7
	v_mov_b32_dpp v6, v20 row_shr:1 row_mask:0xf bank_mask:0xf
	v_add_f32_e32 v6, v20, v6
	v_add_f32_e32 v2, v19, v2
	;; [unrolled: 1-line block ×3, first 2 shown]
	v_mov_b32_dpp v15, v6 row_shr:2 row_mask:0xf bank_mask:0xf
	v_add_f32_e32 v6, v6, v15
	v_mov_b32_dpp v1, v0 row_shr:2 row_mask:0xf bank_mask:0xf
	v_mov_b32_dpp v3, v2 row_shr:2 row_mask:0xf bank_mask:0xf
	;; [unrolled: 1-line block ×3, first 2 shown]
	v_add_f32_e32 v15, v6, v15
	v_mov_b32_dpp v6, v21 row_shr:1 row_mask:0xf bank_mask:0xf
	v_add_f32_e32 v6, v21, v6
	v_mov_b32_dpp v5, v4 row_shr:2 row_mask:0xf bank_mask:0xf
	;; [unrolled: 2-line block ×3, first 2 shown]
	v_add_f32_e32 v6, v6, v18
	v_add_f32_e32 v2, v2, v3
	;; [unrolled: 1-line block ×3, first 2 shown]
	v_mov_b32_dpp v18, v6 row_shr:4 row_mask:0xf bank_mask:0xe
	v_add_f32_e32 v21, v6, v18
	v_mov_b32_dpp v6, v16 row_shr:1 row_mask:0xf bank_mask:0xf
	v_add_f32_e32 v6, v16, v6
	v_mov_b32_dpp v1, v0 row_shr:4 row_mask:0xf bank_mask:0xe
	v_mov_b32_dpp v3, v2 row_shr:4 row_mask:0xf bank_mask:0xe
	v_mov_b32_dpp v16, v6 row_shr:2 row_mask:0xf bank_mask:0xf
	v_add_f32_e32 v6, v6, v16
	v_mov_b32_dpp v5, v4 row_shr:4 row_mask:0xf bank_mask:0xe
	v_add_f32_e32 v0, v0, v1
	v_mov_b32_dpp v16, v6 row_shr:4 row_mask:0xf bank_mask:0xe
	;; [unrolled: 2-line block ×3, first 2 shown]
	v_add_f32_e32 v6, v17, v6
	v_add_f32_e32 v2, v2, v3
	;; [unrolled: 1-line block ×3, first 2 shown]
	v_mov_b32_dpp v16, v6 row_shr:2 row_mask:0xf bank_mask:0xf
	v_add_f32_e32 v6, v6, v16
	v_mov_b32_dpp v1, v0 row_shr:8 row_mask:0xf bank_mask:0xc
	v_mov_b32_dpp v3, v2 row_shr:8 row_mask:0xf bank_mask:0xc
	;; [unrolled: 1-line block ×3, first 2 shown]
	v_add_f32_e32 v17, v6, v16
	v_mov_b32_dpp v5, v4 row_shr:8 row_mask:0xf bank_mask:0xc
	v_mov_b32_dpp v14, v7 row_shr:8 row_mask:0xf bank_mask:0xc
	;; [unrolled: 1-line block ×6, first 2 shown]
	v_cmp_eq_u32_e32 vcc, 15, v13
	s_and_b64 exec, exec, vcc
	s_cbranch_execz .LBB101_19
; %bb.15:
	s_load_dwordx2 s[2:3], s[0:1], 0x38
	v_cmp_eq_f32_e32 vcc, 0, v10
	v_cmp_eq_f32_e64 s[0:1], 0, v11
	v_add_f32_e32 v6, v0, v1
	v_add_f32_e32 v20, v2, v3
	;; [unrolled: 1-line block ×8, first 2 shown]
	s_and_b64 s[0:1], vcc, s[0:1]
	s_and_saveexec_b64 s[4:5], s[0:1]
	s_xor_b64 s[0:1], exec, s[4:5]
	s_cbranch_execz .LBB101_17
; %bb.16:
	v_lshlrev_b32_e32 v10, 2, v12
	v_xor_b32_e32 v22, 0x80000000, v9
	v_ashrrev_i32_e32 v11, 31, v10
	v_mov_b32_e32 v23, v8
	s_waitcnt lgkmcnt(0)
	v_lshl_add_u64 v[24:25], v[10:11], 3, s[2:3]
	v_pk_mul_f32 v[10:11], v[20:21], v[22:23] op_sel_hi:[0,1]
	v_pk_fma_f32 v[10:11], v[8:9], v[6:7], v[10:11] op_sel_hi:[1,0,1]
	v_pk_mul_f32 v[6:7], v[18:19], v[22:23] op_sel_hi:[0,1]
	v_pk_fma_f32 v[12:13], v[8:9], v[4:5], v[6:7] op_sel_hi:[1,0,1]
	;; [unrolled: 2-line block ×4, first 2 shown]
	global_store_dwordx4 v[24:25], v[10:13], off
	global_store_dwordx4 v[24:25], v[2:5], off offset:16
                                        ; implicit-def: $vgpr12
                                        ; implicit-def: $vgpr6
                                        ; implicit-def: $vgpr20
                                        ; implicit-def: $vgpr4
                                        ; implicit-def: $vgpr18
                                        ; implicit-def: $vgpr2
                                        ; implicit-def: $vgpr16
                                        ; implicit-def: $vgpr0
                                        ; implicit-def: $vgpr14
                                        ; implicit-def: $vgpr8_vgpr9
                                        ; implicit-def: $vgpr10_vgpr11
.LBB101_17:
	s_andn2_saveexec_b64 s[0:1], s[0:1]
	s_cbranch_execz .LBB101_19
; %bb.18:
	v_lshlrev_b32_e32 v12, 2, v12
	v_ashrrev_i32_e32 v13, 31, v12
	s_waitcnt lgkmcnt(0)
	v_lshl_add_u64 v[12:13], v[12:13], 3, s[2:3]
	global_load_dwordx4 v[22:25], v[12:13], off
	global_load_dwordx4 v[26:29], v[12:13], off offset:16
	v_xor_b32_e32 v30, 0x80000000, v9
	v_mov_b32_e32 v31, v8
	v_pk_mul_f32 v[20:21], v[20:21], v[30:31] op_sel_hi:[0,1]
	v_pk_mul_f32 v[18:19], v[18:19], v[30:31] op_sel_hi:[0,1]
	;; [unrolled: 1-line block ×4, first 2 shown]
	v_pk_fma_f32 v[6:7], v[8:9], v[6:7], v[20:21] op_sel_hi:[1,0,1]
	v_pk_fma_f32 v[4:5], v[8:9], v[4:5], v[18:19] op_sel_hi:[1,0,1]
	v_xor_b32_e32 v32, 0x80000000, v11
	v_mov_b32_e32 v33, v10
	v_pk_fma_f32 v[2:3], v[8:9], v[2:3], v[16:17] op_sel_hi:[1,0,1]
	v_pk_fma_f32 v[0:1], v[8:9], v[0:1], v[14:15] op_sel_hi:[1,0,1]
	s_waitcnt vmcnt(1)
	v_pk_fma_f32 v[6:7], v[10:11], v[22:23], v[6:7] op_sel_hi:[1,0,1]
	v_pk_fma_f32 v[4:5], v[10:11], v[24:25], v[4:5] op_sel_hi:[1,0,1]
	v_mov_b32_e32 v8, v25
	s_waitcnt vmcnt(0)
	v_pk_fma_f32 v[14:15], v[10:11], v[26:27], v[2:3] op_sel_hi:[1,0,1]
	v_pk_fma_f32 v[10:11], v[10:11], v[28:29], v[0:1] op_sel_hi:[1,0,1]
	v_mov_b32_e32 v16, v29
	v_pk_fma_f32 v[0:1], v[32:33], v[22:23], v[6:7] op_sel:[0,1,0]
	v_pk_fma_f32 v[2:3], v[32:33], v[8:9], v[4:5] op_sel_hi:[1,0,1]
	v_pk_fma_f32 v[4:5], v[32:33], v[26:27], v[14:15] op_sel:[0,1,0]
	v_pk_fma_f32 v[6:7], v[32:33], v[16:17], v[10:11] op_sel_hi:[1,0,1]
	global_store_dwordx4 v[12:13], v[0:3], off
	global_store_dwordx4 v[12:13], v[4:7], off offset:16
.LBB101_19:
	s_endpgm
	.section	.rodata,"a",@progbits
	.p2align	6, 0x0
	.amdhsa_kernel _ZN9rocsparseL19gebsrmvn_4xn_kernelILj128ELj7ELj16E21rocsparse_complex_numIfEEEvi20rocsparse_direction_NS_24const_host_device_scalarIT2_EEPKiS8_PKS5_SA_S6_PS5_21rocsparse_index_base_b
		.amdhsa_group_segment_fixed_size 0
		.amdhsa_private_segment_fixed_size 0
		.amdhsa_kernarg_size 72
		.amdhsa_user_sgpr_count 2
		.amdhsa_user_sgpr_dispatch_ptr 0
		.amdhsa_user_sgpr_queue_ptr 0
		.amdhsa_user_sgpr_kernarg_segment_ptr 1
		.amdhsa_user_sgpr_dispatch_id 0
		.amdhsa_user_sgpr_kernarg_preload_length 0
		.amdhsa_user_sgpr_kernarg_preload_offset 0
		.amdhsa_user_sgpr_private_segment_size 0
		.amdhsa_uses_dynamic_stack 0
		.amdhsa_enable_private_segment 0
		.amdhsa_system_sgpr_workgroup_id_x 1
		.amdhsa_system_sgpr_workgroup_id_y 0
		.amdhsa_system_sgpr_workgroup_id_z 0
		.amdhsa_system_sgpr_workgroup_info 0
		.amdhsa_system_vgpr_workitem_id 0
		.amdhsa_next_free_vgpr 104
		.amdhsa_next_free_sgpr 16
		.amdhsa_accum_offset 104
		.amdhsa_reserve_vcc 1
		.amdhsa_float_round_mode_32 0
		.amdhsa_float_round_mode_16_64 0
		.amdhsa_float_denorm_mode_32 3
		.amdhsa_float_denorm_mode_16_64 3
		.amdhsa_dx10_clamp 1
		.amdhsa_ieee_mode 1
		.amdhsa_fp16_overflow 0
		.amdhsa_tg_split 0
		.amdhsa_exception_fp_ieee_invalid_op 0
		.amdhsa_exception_fp_denorm_src 0
		.amdhsa_exception_fp_ieee_div_zero 0
		.amdhsa_exception_fp_ieee_overflow 0
		.amdhsa_exception_fp_ieee_underflow 0
		.amdhsa_exception_fp_ieee_inexact 0
		.amdhsa_exception_int_div_zero 0
	.end_amdhsa_kernel
	.section	.text._ZN9rocsparseL19gebsrmvn_4xn_kernelILj128ELj7ELj16E21rocsparse_complex_numIfEEEvi20rocsparse_direction_NS_24const_host_device_scalarIT2_EEPKiS8_PKS5_SA_S6_PS5_21rocsparse_index_base_b,"axG",@progbits,_ZN9rocsparseL19gebsrmvn_4xn_kernelILj128ELj7ELj16E21rocsparse_complex_numIfEEEvi20rocsparse_direction_NS_24const_host_device_scalarIT2_EEPKiS8_PKS5_SA_S6_PS5_21rocsparse_index_base_b,comdat
.Lfunc_end101:
	.size	_ZN9rocsparseL19gebsrmvn_4xn_kernelILj128ELj7ELj16E21rocsparse_complex_numIfEEEvi20rocsparse_direction_NS_24const_host_device_scalarIT2_EEPKiS8_PKS5_SA_S6_PS5_21rocsparse_index_base_b, .Lfunc_end101-_ZN9rocsparseL19gebsrmvn_4xn_kernelILj128ELj7ELj16E21rocsparse_complex_numIfEEEvi20rocsparse_direction_NS_24const_host_device_scalarIT2_EEPKiS8_PKS5_SA_S6_PS5_21rocsparse_index_base_b
                                        ; -- End function
	.set _ZN9rocsparseL19gebsrmvn_4xn_kernelILj128ELj7ELj16E21rocsparse_complex_numIfEEEvi20rocsparse_direction_NS_24const_host_device_scalarIT2_EEPKiS8_PKS5_SA_S6_PS5_21rocsparse_index_base_b.num_vgpr, 104
	.set _ZN9rocsparseL19gebsrmvn_4xn_kernelILj128ELj7ELj16E21rocsparse_complex_numIfEEEvi20rocsparse_direction_NS_24const_host_device_scalarIT2_EEPKiS8_PKS5_SA_S6_PS5_21rocsparse_index_base_b.num_agpr, 0
	.set _ZN9rocsparseL19gebsrmvn_4xn_kernelILj128ELj7ELj16E21rocsparse_complex_numIfEEEvi20rocsparse_direction_NS_24const_host_device_scalarIT2_EEPKiS8_PKS5_SA_S6_PS5_21rocsparse_index_base_b.numbered_sgpr, 16
	.set _ZN9rocsparseL19gebsrmvn_4xn_kernelILj128ELj7ELj16E21rocsparse_complex_numIfEEEvi20rocsparse_direction_NS_24const_host_device_scalarIT2_EEPKiS8_PKS5_SA_S6_PS5_21rocsparse_index_base_b.num_named_barrier, 0
	.set _ZN9rocsparseL19gebsrmvn_4xn_kernelILj128ELj7ELj16E21rocsparse_complex_numIfEEEvi20rocsparse_direction_NS_24const_host_device_scalarIT2_EEPKiS8_PKS5_SA_S6_PS5_21rocsparse_index_base_b.private_seg_size, 0
	.set _ZN9rocsparseL19gebsrmvn_4xn_kernelILj128ELj7ELj16E21rocsparse_complex_numIfEEEvi20rocsparse_direction_NS_24const_host_device_scalarIT2_EEPKiS8_PKS5_SA_S6_PS5_21rocsparse_index_base_b.uses_vcc, 1
	.set _ZN9rocsparseL19gebsrmvn_4xn_kernelILj128ELj7ELj16E21rocsparse_complex_numIfEEEvi20rocsparse_direction_NS_24const_host_device_scalarIT2_EEPKiS8_PKS5_SA_S6_PS5_21rocsparse_index_base_b.uses_flat_scratch, 0
	.set _ZN9rocsparseL19gebsrmvn_4xn_kernelILj128ELj7ELj16E21rocsparse_complex_numIfEEEvi20rocsparse_direction_NS_24const_host_device_scalarIT2_EEPKiS8_PKS5_SA_S6_PS5_21rocsparse_index_base_b.has_dyn_sized_stack, 0
	.set _ZN9rocsparseL19gebsrmvn_4xn_kernelILj128ELj7ELj16E21rocsparse_complex_numIfEEEvi20rocsparse_direction_NS_24const_host_device_scalarIT2_EEPKiS8_PKS5_SA_S6_PS5_21rocsparse_index_base_b.has_recursion, 0
	.set _ZN9rocsparseL19gebsrmvn_4xn_kernelILj128ELj7ELj16E21rocsparse_complex_numIfEEEvi20rocsparse_direction_NS_24const_host_device_scalarIT2_EEPKiS8_PKS5_SA_S6_PS5_21rocsparse_index_base_b.has_indirect_call, 0
	.section	.AMDGPU.csdata,"",@progbits
; Kernel info:
; codeLenInByte = 3936
; TotalNumSgprs: 22
; NumVgprs: 104
; NumAgprs: 0
; TotalNumVgprs: 104
; ScratchSize: 0
; MemoryBound: 0
; FloatMode: 240
; IeeeMode: 1
; LDSByteSize: 0 bytes/workgroup (compile time only)
; SGPRBlocks: 2
; VGPRBlocks: 12
; NumSGPRsForWavesPerEU: 22
; NumVGPRsForWavesPerEU: 104
; AccumOffset: 104
; Occupancy: 4
; WaveLimiterHint : 1
; COMPUTE_PGM_RSRC2:SCRATCH_EN: 0
; COMPUTE_PGM_RSRC2:USER_SGPR: 2
; COMPUTE_PGM_RSRC2:TRAP_HANDLER: 0
; COMPUTE_PGM_RSRC2:TGID_X_EN: 1
; COMPUTE_PGM_RSRC2:TGID_Y_EN: 0
; COMPUTE_PGM_RSRC2:TGID_Z_EN: 0
; COMPUTE_PGM_RSRC2:TIDIG_COMP_CNT: 0
; COMPUTE_PGM_RSRC3_GFX90A:ACCUM_OFFSET: 25
; COMPUTE_PGM_RSRC3_GFX90A:TG_SPLIT: 0
	.section	.text._ZN9rocsparseL19gebsrmvn_4xn_kernelILj128ELj7ELj32E21rocsparse_complex_numIfEEEvi20rocsparse_direction_NS_24const_host_device_scalarIT2_EEPKiS8_PKS5_SA_S6_PS5_21rocsparse_index_base_b,"axG",@progbits,_ZN9rocsparseL19gebsrmvn_4xn_kernelILj128ELj7ELj32E21rocsparse_complex_numIfEEEvi20rocsparse_direction_NS_24const_host_device_scalarIT2_EEPKiS8_PKS5_SA_S6_PS5_21rocsparse_index_base_b,comdat
	.globl	_ZN9rocsparseL19gebsrmvn_4xn_kernelILj128ELj7ELj32E21rocsparse_complex_numIfEEEvi20rocsparse_direction_NS_24const_host_device_scalarIT2_EEPKiS8_PKS5_SA_S6_PS5_21rocsparse_index_base_b ; -- Begin function _ZN9rocsparseL19gebsrmvn_4xn_kernelILj128ELj7ELj32E21rocsparse_complex_numIfEEEvi20rocsparse_direction_NS_24const_host_device_scalarIT2_EEPKiS8_PKS5_SA_S6_PS5_21rocsparse_index_base_b
	.p2align	8
	.type	_ZN9rocsparseL19gebsrmvn_4xn_kernelILj128ELj7ELj32E21rocsparse_complex_numIfEEEvi20rocsparse_direction_NS_24const_host_device_scalarIT2_EEPKiS8_PKS5_SA_S6_PS5_21rocsparse_index_base_b,@function
_ZN9rocsparseL19gebsrmvn_4xn_kernelILj128ELj7ELj32E21rocsparse_complex_numIfEEEvi20rocsparse_direction_NS_24const_host_device_scalarIT2_EEPKiS8_PKS5_SA_S6_PS5_21rocsparse_index_base_b: ; @_ZN9rocsparseL19gebsrmvn_4xn_kernelILj128ELj7ELj32E21rocsparse_complex_numIfEEEvi20rocsparse_direction_NS_24const_host_device_scalarIT2_EEPKiS8_PKS5_SA_S6_PS5_21rocsparse_index_base_b
; %bb.0:
	s_load_dwordx2 s[4:5], s[0:1], 0x8
	s_load_dwordx2 s[6:7], s[0:1], 0x30
	;; [unrolled: 1-line block ×3, first 2 shown]
	s_add_u32 s3, s0, 8
	s_addc_u32 s8, s1, 0
	s_add_u32 s9, s0, 48
	s_addc_u32 s10, s1, 0
	s_waitcnt lgkmcnt(0)
	s_bitcmp1_b32 s13, 0
	s_cselect_b32 s3, s3, s4
	s_cselect_b32 s5, s8, s5
	v_mov_b32_e32 v2, s3
	s_cselect_b32 s3, s10, s7
	s_cselect_b32 s4, s9, s6
	v_mov_b32_e32 v3, s5
	v_mov_b32_e32 v4, s4
	;; [unrolled: 1-line block ×3, first 2 shown]
	flat_load_dwordx2 v[8:9], v[2:3]
	flat_load_dwordx2 v[10:11], v[4:5]
	s_waitcnt vmcnt(0) lgkmcnt(0)
	v_cmp_eq_f32_e32 vcc, 0, v8
	v_cmp_eq_f32_e64 s[4:5], 0, v9
	v_cmp_eq_f32_e64 s[6:7], 1.0, v10
	v_cmp_eq_f32_e64 s[8:9], 0, v11
	s_and_b64 s[4:5], vcc, s[4:5]
	s_and_b64 s[6:7], s[6:7], s[8:9]
	s_and_b64 s[4:5], s[4:5], s[6:7]
	s_xor_b64 s[4:5], s[4:5], -1
	s_and_saveexec_b64 s[6:7], s[4:5]
	s_cbranch_execz .LBB102_19
; %bb.1:
	s_load_dwordx2 s[14:15], s[0:1], 0x0
	v_lshrrev_b32_e32 v1, 5, v0
	v_lshl_or_b32 v12, s2, 2, v1
	s_waitcnt lgkmcnt(0)
	v_cmp_gt_i32_e32 vcc, s14, v12
	s_and_b64 exec, exec, vcc
	s_cbranch_execz .LBB102_19
; %bb.2:
	s_load_dwordx8 s[4:11], s[0:1], 0x10
	v_ashrrev_i32_e32 v13, 31, v12
	s_cmp_lg_u32 s15, 0
	s_waitcnt lgkmcnt(0)
	v_lshl_add_u64 v[2:3], v[12:13], 2, s[4:5]
	global_load_dwordx2 v[2:3], v[2:3], off
	v_and_b32_e32 v13, 31, v0
	s_waitcnt vmcnt(0)
	v_subrev_u32_e32 v0, s12, v2
	v_subrev_u32_e32 v32, s12, v3
	v_add_u32_e32 v14, v0, v13
	v_cmp_lt_i32_e64 s[2:3], v14, v32
	s_cbranch_scc0 .LBB102_8
; %bb.3:
	v_mov_b32_e32 v19, 0
	v_mov_b32_e32 v18, v19
	;; [unrolled: 1-line block ×8, first 2 shown]
	s_and_saveexec_b64 s[4:5], s[2:3]
	s_cbranch_execz .LBB102_7
; %bb.4:
	v_mad_u64_u32 v[24:25], s[14:15], v14, 28, 24
	v_mov_b32_e32 v27, 0
	s_mov_b64 s[14:15], 0
	v_mov_b32_e32 v28, v14
	v_mov_b32_e32 v16, v27
	;; [unrolled: 1-line block ×9, first 2 shown]
.LBB102_5:                              ; =>This Inner Loop Header: Depth=1
	v_ashrrev_i32_e32 v29, 31, v28
	v_subrev_u32_e32 v26, 24, v24
	v_lshl_add_u64 v[0:1], v[28:29], 2, s[6:7]
	v_lshl_add_u64 v[2:3], v[26:27], 3, s[8:9]
	global_load_dword v15, v[0:1], off
	global_load_dwordx4 v[34:37], v[2:3], off
	global_load_dwordx4 v[38:41], v[2:3], off offset:16
	v_mov_b32_e32 v25, v27
	v_mov_b32_e32 v31, v27
	v_subrev_u32_e32 v26, 20, v24
	v_lshl_add_u64 v[50:51], v[24:25], 3, s[8:9]
	v_lshl_add_u64 v[52:53], v[26:27], 3, s[8:9]
	global_load_dwordx4 v[0:3], v[50:51], off offset:16
	global_load_dwordx4 v[4:7], v[50:51], off
	global_load_dwordx4 v[42:45], v[52:53], off
	global_load_dwordx4 v[46:49], v[52:53], off offset:16
	v_add_u32_e32 v28, 32, v28
	v_cmp_ge_i32_e32 vcc, v28, v32
	s_or_b64 s[14:15], vcc, s[14:15]
	s_waitcnt vmcnt(6)
	v_subrev_u32_e32 v15, s12, v15
	v_mul_lo_u32 v30, v15, 7
	v_lshl_add_u64 v[50:51], v[30:31], 3, s[10:11]
	global_load_dwordx2 v[78:79], v[50:51], off
	v_add_u32_e32 v26, 1, v30
	v_lshl_add_u64 v[50:51], v[26:27], 3, s[10:11]
	global_load_dwordx2 v[80:81], v[50:51], off
	v_add_u32_e32 v26, -16, v24
	v_lshl_add_u64 v[58:59], v[26:27], 3, s[8:9]
	v_add_u32_e32 v26, 2, v30
	v_lshl_add_u64 v[60:61], v[26:27], 3, s[10:11]
	v_add_u32_e32 v26, -12, v24
	global_load_dwordx4 v[50:53], v[58:59], off
	global_load_dwordx4 v[54:57], v[58:59], off offset:16
	global_load_dwordx2 v[82:83], v[60:61], off
	v_lshl_add_u64 v[84:85], v[26:27], 3, s[8:9]
	v_add_u32_e32 v26, 3, v30
	s_waitcnt vmcnt(10)
	v_xor_b32_e32 v66, 0x80000000, v37
	v_mov_b32_e32 v67, v36
	global_load_dwordx4 v[58:61], v[84:85], off offset:16
	global_load_dwordx4 v[62:65], v[84:85], off
	s_waitcnt vmcnt(11)
	v_xor_b32_e32 v68, 0x80000000, v41
	v_mov_b32_e32 v69, v40
	s_waitcnt vmcnt(8)
	v_xor_b32_e32 v72, 0x80000000, v45
	v_mov_b32_e32 v73, v44
	v_xor_b32_e32 v70, 0x80000000, v43
	s_waitcnt vmcnt(7)
	v_xor_b32_e32 v74, 0x80000000, v47
	v_xor_b32_e32 v76, 0x80000000, v49
	v_mov_b32_e32 v71, v42
	v_mov_b32_e32 v75, v46
	;; [unrolled: 1-line block ×3, first 2 shown]
	s_waitcnt vmcnt(6)
	v_pk_fma_f32 v[18:19], v[34:35], v[78:79], v[18:19] op_sel_hi:[1,0,1]
	s_nop 0
	v_pk_fma_f32 v[34:35], v[34:35], v[78:79], v[18:19] op_sel:[1,1,0] op_sel_hi:[0,1,1] neg_lo:[1,0,0]
	v_lshl_add_u64 v[18:19], v[26:27], 3, s[10:11]
	v_add_u32_e32 v26, -8, v24
	v_pk_fma_f32 v[22:23], v[36:37], v[78:79], v[22:23] op_sel_hi:[1,0,1]
	global_load_dwordx2 v[84:85], v[18:19], off
	v_lshl_add_u64 v[36:37], v[26:27], 3, s[8:9]
	v_add_u32_e32 v26, 4, v30
	v_pk_fma_f32 v[18:19], v[38:39], v[78:79], v[20:21] op_sel_hi:[1,0,1]
	v_pk_fma_f32 v[40:41], v[40:41], v[78:79], v[16:17] op_sel_hi:[1,0,1]
	v_pk_fma_f32 v[38:39], v[38:39], v[78:79], v[18:19] op_sel:[1,1,0] op_sel_hi:[0,1,1] neg_lo:[1,0,0]
	global_load_dwordx4 v[16:19], v[36:37], off
	v_pk_fma_f32 v[66:67], v[66:67], v[78:79], v[22:23] op_sel:[0,1,0]
	global_load_dwordx4 v[20:23], v[36:37], off offset:16
	v_lshl_add_u64 v[36:37], v[26:27], 3, s[10:11]
	v_add_u32_e32 v26, -4, v24
	v_pk_fma_f32 v[40:41], v[68:69], v[78:79], v[40:41] op_sel:[0,1,0]
	v_lshl_add_u64 v[68:69], v[26:27], 3, s[8:9]
	v_add_u32_e32 v26, 5, v30
	global_load_dwordx2 v[78:79], v[36:37], off
	s_waitcnt vmcnt(9)
	v_pk_fma_f32 v[44:45], v[44:45], v[80:81], v[66:67] op_sel_hi:[1,0,1]
	v_lshl_add_u64 v[66:67], v[26:27], 3, s[10:11]
	v_pk_fma_f32 v[42:43], v[42:43], v[80:81], v[34:35] op_sel_hi:[1,0,1]
	v_pk_fma_f32 v[46:47], v[46:47], v[80:81], v[38:39] op_sel_hi:[1,0,1]
	;; [unrolled: 1-line block ×3, first 2 shown]
	global_load_dwordx4 v[38:41], v[68:69], off offset:16
	v_add_u32_e32 v26, 6, v30
	global_load_dwordx2 v[30:31], v[66:67], off
	global_load_dwordx4 v[34:37], v[68:69], off
	v_lshl_add_u64 v[66:67], v[26:27], 3, s[10:11]
	global_load_dwordx2 v[66:67], v[66:67], off
	v_pk_fma_f32 v[42:43], v[70:71], v[80:81], v[42:43] op_sel:[0,1,0]
	v_pk_fma_f32 v[44:45], v[72:73], v[80:81], v[44:45] op_sel:[0,1,0]
	;; [unrolled: 1-line block ×4, first 2 shown]
	s_waitcnt vmcnt(12)
	v_xor_b32_e32 v72, 0x80000000, v53
	v_mov_b32_e32 v73, v52
	s_waitcnt vmcnt(11)
	v_xor_b32_e32 v74, 0x80000000, v57
	v_mov_b32_e32 v75, v56
	s_waitcnt vmcnt(10)
	v_pk_fma_f32 v[42:43], v[50:51], v[82:83], v[42:43] op_sel_hi:[1,0,1]
	v_pk_fma_f32 v[44:45], v[52:53], v[82:83], v[44:45] op_sel_hi:[1,0,1]
	;; [unrolled: 1-line block ×4, first 2 shown]
	v_pk_fma_f32 v[42:43], v[50:51], v[82:83], v[42:43] op_sel:[1,1,0] op_sel_hi:[0,1,1] neg_lo:[1,0,0]
	v_pk_fma_f32 v[46:47], v[54:55], v[82:83], v[46:47] op_sel:[1,1,0] op_sel_hi:[0,1,1] neg_lo:[1,0,0]
	v_pk_fma_f32 v[44:45], v[72:73], v[82:83], v[44:45] op_sel:[0,1,0]
	v_pk_fma_f32 v[48:49], v[74:75], v[82:83], v[48:49] op_sel:[0,1,0]
	s_waitcnt vmcnt(8)
	v_xor_b32_e32 v52, 0x80000000, v65
	v_mov_b32_e32 v53, v64
	v_xor_b32_e32 v50, 0x80000000, v61
	v_mov_b32_e32 v51, v60
	;; [unrolled: 2-line block ×4, first 2 shown]
	v_add_u32_e32 v24, 0x380, v24
	s_waitcnt vmcnt(7)
	v_pk_fma_f32 v[42:43], v[62:63], v[84:85], v[42:43] op_sel_hi:[1,0,1]
	v_pk_fma_f32 v[44:45], v[64:65], v[84:85], v[44:45] op_sel_hi:[1,0,1]
	;; [unrolled: 1-line block ×4, first 2 shown]
	v_pk_fma_f32 v[42:43], v[62:63], v[84:85], v[42:43] op_sel:[1,1,0] op_sel_hi:[0,1,1] neg_lo:[1,0,0]
	v_pk_fma_f32 v[44:45], v[52:53], v[84:85], v[44:45] op_sel:[0,1,0]
	v_pk_fma_f32 v[46:47], v[58:59], v[84:85], v[46:47] op_sel:[1,1,0] op_sel_hi:[0,1,1] neg_lo:[1,0,0]
	v_pk_fma_f32 v[48:49], v[50:51], v[84:85], v[48:49] op_sel:[0,1,0]
	s_waitcnt vmcnt(6)
	v_xor_b32_e32 v54, 0x80000000, v19
	v_mov_b32_e32 v55, v18
	s_waitcnt vmcnt(5)
	v_xor_b32_e32 v56, 0x80000000, v23
	v_mov_b32_e32 v57, v22
	s_waitcnt vmcnt(4)
	v_pk_fma_f32 v[42:43], v[16:17], v[78:79], v[42:43] op_sel_hi:[1,0,1]
	v_pk_fma_f32 v[18:19], v[18:19], v[78:79], v[44:45] op_sel_hi:[1,0,1]
	v_pk_fma_f32 v[46:47], v[20:21], v[78:79], v[46:47] op_sel_hi:[1,0,1]
	v_pk_fma_f32 v[22:23], v[22:23], v[78:79], v[48:49] op_sel_hi:[1,0,1]
	v_pk_fma_f32 v[16:17], v[16:17], v[78:79], v[42:43] op_sel:[1,1,0] op_sel_hi:[0,1,1] neg_lo:[1,0,0]
	v_pk_fma_f32 v[18:19], v[54:55], v[78:79], v[18:19] op_sel:[0,1,0]
	v_pk_fma_f32 v[20:21], v[20:21], v[78:79], v[46:47] op_sel:[1,1,0] op_sel_hi:[0,1,1] neg_lo:[1,0,0]
	v_pk_fma_f32 v[22:23], v[56:57], v[78:79], v[22:23] op_sel:[0,1,0]
	s_waitcnt vmcnt(3)
	v_xor_b32_e32 v48, 0x80000000, v41
	s_waitcnt vmcnt(1)
	v_xor_b32_e32 v44, 0x80000000, v37
	v_mov_b32_e32 v45, v36
	v_mov_b32_e32 v49, v40
	v_pk_fma_f32 v[16:17], v[34:35], v[30:31], v[16:17] op_sel_hi:[1,0,1]
	v_pk_fma_f32 v[18:19], v[36:37], v[30:31], v[18:19] op_sel_hi:[1,0,1]
	;; [unrolled: 1-line block ×4, first 2 shown]
	v_pk_fma_f32 v[16:17], v[34:35], v[30:31], v[16:17] op_sel:[1,1,0] op_sel_hi:[0,1,1] neg_lo:[1,0,0]
	v_pk_fma_f32 v[18:19], v[44:45], v[30:31], v[18:19] op_sel:[0,1,0]
	v_pk_fma_f32 v[20:21], v[38:39], v[30:31], v[20:21] op_sel:[1,1,0] op_sel_hi:[0,1,1] neg_lo:[1,0,0]
	v_pk_fma_f32 v[22:23], v[48:49], v[30:31], v[22:23] op_sel:[0,1,0]
	s_waitcnt vmcnt(0)
	v_pk_fma_f32 v[16:17], v[4:5], v[66:67], v[16:17] op_sel_hi:[1,0,1]
	v_pk_fma_f32 v[6:7], v[6:7], v[66:67], v[18:19] op_sel_hi:[1,0,1]
	;; [unrolled: 1-line block ×4, first 2 shown]
	v_pk_fma_f32 v[18:19], v[4:5], v[66:67], v[16:17] op_sel:[1,1,0] op_sel_hi:[0,1,1] neg_lo:[1,0,0]
	v_pk_fma_f32 v[22:23], v[68:69], v[66:67], v[6:7] op_sel:[0,1,0]
	v_pk_fma_f32 v[20:21], v[0:1], v[66:67], v[20:21] op_sel:[1,1,0] op_sel_hi:[0,1,1] neg_lo:[1,0,0]
	v_pk_fma_f32 v[16:17], v[70:71], v[66:67], v[2:3] op_sel:[0,1,0]
	s_andn2_b64 exec, exec, s[14:15]
	s_cbranch_execnz .LBB102_5
; %bb.6:
	s_or_b64 exec, exec, s[14:15]
.LBB102_7:
	s_or_b64 exec, exec, s[4:5]
	s_cbranch_execz .LBB102_9
	s_branch .LBB102_14
.LBB102_8:
                                        ; implicit-def: $vgpr19
                                        ; implicit-def: $vgpr17
                                        ; implicit-def: $vgpr21
                                        ; implicit-def: $vgpr23
.LBB102_9:
	v_mov_b32_e32 v19, 0
	v_mov_b32_e32 v18, v19
	;; [unrolled: 1-line block ×8, first 2 shown]
	s_and_saveexec_b64 s[4:5], s[2:3]
	s_cbranch_execz .LBB102_13
; %bb.10:
	v_mad_u64_u32 v[4:5], s[2:3], v14, 28, 27
	v_mov_b32_e32 v7, 0
	s_mov_b64 s[2:3], 0
	v_mov_b32_e32 v16, v7
	v_mov_b32_e32 v17, v7
	;; [unrolled: 1-line block ×8, first 2 shown]
.LBB102_11:                             ; =>This Inner Loop Header: Depth=1
	v_ashrrev_i32_e32 v15, 31, v14
	v_subrev_u32_e32 v6, 27, v4
	v_subrev_u32_e32 v26, 20, v4
	v_add_u32_e32 v2, -13, v4
	v_add_u32_e32 v0, -6, v4
	v_mov_b32_e32 v27, v7
	v_mov_b32_e32 v3, v7
	;; [unrolled: 1-line block ×3, first 2 shown]
	v_lshl_add_u64 v[30:31], v[14:15], 2, s[6:7]
	v_lshl_add_u64 v[34:35], v[6:7], 3, s[8:9]
	;; [unrolled: 1-line block ×5, first 2 shown]
	global_load_dword v5, v[30:31], off
	global_load_dwordx4 v[26:29], v[34:35], off
	global_load_dwordx2 v[42:43], v[36:37], off
	global_load_dwordx2 v[44:45], v[38:39], off
	;; [unrolled: 1-line block ×3, first 2 shown]
	global_load_dwordx4 v[0:3], v[34:35], off offset:16
	v_mov_b32_e32 v25, v7
	v_add_u32_e32 v14, 32, v14
	v_cmp_ge_i32_e32 vcc, v14, v32
	s_or_b64 s[2:3], vcc, s[2:3]
	s_waitcnt vmcnt(5)
	v_subrev_u32_e32 v5, s12, v5
	v_mul_lo_u32 v24, v5, 7
	v_lshl_add_u64 v[40:41], v[24:25], 3, s[10:11]
	global_load_dwordx2 v[40:41], v[40:41], off
	v_add_u32_e32 v6, 1, v24
	v_lshl_add_u64 v[48:49], v[6:7], 3, s[10:11]
	global_load_dwordx2 v[48:49], v[48:49], off
	v_subrev_u32_e32 v6, 19, v4
	v_lshl_add_u64 v[50:51], v[6:7], 3, s[8:9]
	v_add_u32_e32 v6, -12, v4
	v_lshl_add_u64 v[52:53], v[6:7], 3, s[8:9]
	v_add_u32_e32 v6, -5, v4
	v_lshl_add_u64 v[54:55], v[6:7], 3, s[8:9]
	v_add_u32_e32 v6, 2, v24
	v_lshl_add_u64 v[56:57], v[6:7], 3, s[10:11]
	v_subrev_u32_e32 v6, 18, v4
	v_lshl_add_u64 v[58:59], v[6:7], 3, s[8:9]
	v_add_u32_e32 v6, -11, v4
	v_lshl_add_u64 v[60:61], v[6:7], 3, s[8:9]
	v_add_u32_e32 v6, -4, v4
	v_lshl_add_u64 v[62:63], v[6:7], 3, s[8:9]
	v_add_u32_e32 v6, 3, v24
	v_lshl_add_u64 v[64:65], v[6:7], 3, s[10:11]
	v_subrev_u32_e32 v6, 17, v4
	v_lshl_add_u64 v[66:67], v[6:7], 3, s[8:9]
	v_add_u32_e32 v6, -10, v4
	v_lshl_add_u64 v[68:69], v[6:7], 3, s[8:9]
	v_add_u32_e32 v6, -3, v4
	v_lshl_add_u64 v[70:71], v[6:7], 3, s[8:9]
	v_subrev_u32_e32 v6, 23, v4
	v_lshl_add_u64 v[72:73], v[6:7], 3, s[8:9]
	v_add_u32_e32 v6, 4, v24
	s_waitcnt vmcnt(5)
	v_xor_b32_e32 v34, 0x80000000, v43
	v_mov_b32_e32 v35, v42
	s_waitcnt vmcnt(4)
	v_xor_b32_e32 v36, 0x80000000, v45
	v_mov_b32_e32 v37, v44
	s_waitcnt vmcnt(3)
	v_xor_b32_e32 v38, 0x80000000, v47
	v_mov_b32_e32 v39, v46
	v_xor_b32_e32 v30, 0x80000000, v29
	v_mov_b32_e32 v31, v28
	v_mov_b32_e32 v5, v7
	s_waitcnt vmcnt(1)
	v_pk_fma_f32 v[22:23], v[42:43], v[40:41], v[22:23] op_sel_hi:[1,0,1]
	v_lshl_add_u64 v[42:43], v[6:7], 3, s[10:11]
	v_add_u32_e32 v6, -16, v4
	v_pk_fma_f32 v[20:21], v[44:45], v[40:41], v[20:21] op_sel_hi:[1,0,1]
	v_lshl_add_u64 v[44:45], v[6:7], 3, s[8:9]
	v_add_u32_e32 v6, -9, v4
	;; [unrolled: 3-line block ×3, first 2 shown]
	v_pk_fma_f32 v[22:23], v[34:35], v[40:41], v[22:23] op_sel:[0,1,0]
	v_lshl_add_u64 v[34:35], v[6:7], 3, s[8:9]
	v_subrev_u32_e32 v6, 22, v4
	v_pk_fma_f32 v[20:21], v[36:37], v[40:41], v[20:21] op_sel:[0,1,0]
	v_lshl_add_u64 v[36:37], v[6:7], 3, s[8:9]
	v_add_u32_e32 v6, 5, v24
	v_pk_fma_f32 v[16:17], v[38:39], v[40:41], v[16:17] op_sel:[0,1,0]
	v_lshl_add_u64 v[38:39], v[6:7], 3, s[10:11]
	v_add_u32_e32 v6, -15, v4
	v_pk_fma_f32 v[18:19], v[26:27], v[40:41], v[18:19] op_sel_hi:[1,0,1]
	s_nop 0
	v_pk_fma_f32 v[18:19], v[26:27], v[40:41], v[18:19] op_sel:[1,1,0] op_sel_hi:[0,1,1] neg_lo:[1,0,0]
	v_lshl_add_u64 v[26:27], v[6:7], 3, s[8:9]
	v_add_u32_e32 v6, -8, v4
	s_waitcnt vmcnt(0)
	v_pk_fma_f32 v[18:19], v[28:29], v[48:49], v[18:19] op_sel_hi:[1,0,1]
	v_lshl_add_u64 v[28:29], v[6:7], 3, s[8:9]
	v_add_u32_e32 v6, -1, v4
	v_lshl_add_u64 v[40:41], v[6:7], 3, s[8:9]
	v_subrev_u32_e32 v6, 21, v4
	v_lshl_add_u64 v[74:75], v[6:7], 3, s[8:9]
	v_add_u32_e32 v6, 6, v24
	global_load_dwordx2 v[24:25], v[50:51], off
	global_load_dwordx2 v[76:77], v[52:53], off
	;; [unrolled: 1-line block ×3, first 2 shown]
	v_pk_fma_f32 v[18:19], v[30:31], v[48:49], v[18:19] op_sel:[0,1,0]
	global_load_dwordx2 v[30:31], v[56:57], off
	global_load_dwordx2 v[52:53], v[58:59], off
	;; [unrolled: 1-line block ×15, first 2 shown]
                                        ; kill: killed $vgpr44_vgpr45
                                        ; kill: killed $vgpr42_vgpr43
                                        ; kill: killed $vgpr34_vgpr35
                                        ; kill: killed $vgpr56_vgpr57
                                        ; kill: killed $vgpr36_vgpr37
                                        ; kill: killed $vgpr60_vgpr61
                                        ; kill: killed $vgpr66_vgpr67
                                        ; kill: killed $vgpr70_vgpr71
                                        ; kill: killed $vgpr72_vgpr73
                                        ; kill: killed $vgpr46_vgpr47
                                        ; kill: killed $vgpr58_vgpr59
                                        ; kill: killed $vgpr38_vgpr39
                                        ; kill: killed $vgpr62_vgpr63
                                        ; kill: killed $vgpr64_vgpr65
                                        ; kill: killed $vgpr68_vgpr69
	s_nop 0
	global_load_dwordx2 v[34:35], v[26:27], off
	global_load_dwordx2 v[36:37], v[28:29], off
	v_lshl_add_u64 v[28:29], v[6:7], 3, s[10:11]
	v_add_u32_e32 v6, -14, v4
	global_load_dwordx2 v[38:39], v[74:75], off
	global_load_dwordx2 v[42:43], v[40:41], off
	;; [unrolled: 1-line block ×3, first 2 shown]
	v_lshl_add_u64 v[28:29], v[6:7], 3, s[8:9]
	v_add_u32_e32 v6, -7, v4
	global_load_dwordx2 v[28:29], v[28:29], off
	s_waitcnt vmcnt(20)
	v_pk_fma_f32 v[18:19], v[0:1], v[30:31], v[18:19] op_sel_hi:[1,0,1]
	s_nop 0
	v_pk_fma_f32 v[0:1], v[0:1], v[30:31], v[18:19] op_sel:[1,1,0] op_sel_hi:[0,1,1] neg_lo:[1,0,0]
	s_waitcnt vmcnt(16)
	v_pk_fma_f32 v[0:1], v[2:3], v[82:83], v[0:1] op_sel_hi:[1,0,1]
	v_pk_fma_f32 v[22:23], v[24:25], v[48:49], v[22:23] op_sel_hi:[1,0,1]
	v_xor_b32_e32 v26, 0x80000000, v77
	v_pk_fma_f32 v[20:21], v[76:77], v[48:49], v[20:21] op_sel_hi:[1,0,1]
	v_mov_b32_e32 v27, v76
	v_pk_fma_f32 v[20:21], v[26:27], v[48:49], v[20:21] op_sel:[0,1,0]
	v_xor_b32_e32 v26, 0x80000000, v79
	v_pk_fma_f32 v[16:17], v[78:79], v[48:49], v[16:17] op_sel_hi:[1,0,1]
	v_mov_b32_e32 v27, v78
	v_pk_fma_f32 v[16:17], v[26:27], v[48:49], v[16:17] op_sel:[0,1,0]
	v_lshl_add_u64 v[26:27], v[6:7], 3, s[8:9]
	v_xor_b32_e32 v50, 0x80000000, v25
	v_mov_b32_e32 v51, v24
	v_lshl_add_u64 v[24:25], v[4:5], 3, s[8:9]
	global_load_dwordx2 v[40:41], v[26:27], off
	global_load_dwordx2 v[46:47], v[24:25], off
	v_pk_fma_f32 v[22:23], v[50:51], v[48:49], v[22:23] op_sel:[0,1,0]
	v_xor_b32_e32 v24, 0x80000000, v53
	v_pk_fma_f32 v[22:23], v[52:53], v[30:31], v[22:23] op_sel_hi:[1,0,1]
	v_mov_b32_e32 v25, v52
	v_pk_fma_f32 v[18:19], v[24:25], v[30:31], v[22:23] op_sel:[0,1,0]
	v_xor_b32_e32 v22, 0x80000000, v55
	v_pk_fma_f32 v[20:21], v[54:55], v[30:31], v[20:21] op_sel_hi:[1,0,1]
	v_mov_b32_e32 v23, v54
	;; [unrolled: 4-line block ×3, first 2 shown]
	v_xor_b32_e32 v26, 0x80000000, v3
	v_mov_b32_e32 v27, v2
	v_pk_fma_f32 v[2:3], v[22:23], v[30:31], v[16:17] op_sel:[0,1,0]
	s_waitcnt vmcnt(17)
	v_xor_b32_e32 v16, 0x80000000, v85
	v_pk_fma_f32 v[18:19], v[84:85], v[82:83], v[18:19] op_sel_hi:[1,0,1]
	v_mov_b32_e32 v17, v84
	v_pk_fma_f32 v[0:1], v[26:27], v[82:83], v[0:1] op_sel:[0,1,0]
	v_pk_fma_f32 v[16:17], v[16:17], v[82:83], v[18:19] op_sel:[0,1,0]
	s_waitcnt vmcnt(16)
	v_xor_b32_e32 v18, 0x80000000, v87
	v_pk_fma_f32 v[20:21], v[86:87], v[82:83], v[20:21] op_sel_hi:[1,0,1]
	v_mov_b32_e32 v19, v86
	v_pk_fma_f32 v[18:19], v[18:19], v[82:83], v[20:21] op_sel:[0,1,0]
	s_waitcnt vmcnt(15)
	v_xor_b32_e32 v20, 0x80000000, v89
	v_mov_b32_e32 v21, v88
	s_waitcnt vmcnt(13)
	v_pk_fma_f32 v[0:1], v[88:89], v[92:93], v[0:1] op_sel_hi:[1,0,1]
	s_waitcnt vmcnt(12)
	v_pk_fma_f32 v[16:17], v[94:95], v[92:93], v[16:17] op_sel_hi:[1,0,1]
	v_pk_fma_f32 v[0:1], v[20:21], v[92:93], v[0:1] op_sel:[0,1,0]
	v_xor_b32_e32 v20, 0x80000000, v95
	v_mov_b32_e32 v21, v94
	v_xor_b32_e32 v22, 0x80000000, v91
	v_pk_fma_f32 v[2:3], v[90:91], v[82:83], v[2:3] op_sel_hi:[1,0,1]
	v_mov_b32_e32 v23, v90
	v_pk_fma_f32 v[16:17], v[20:21], v[92:93], v[16:17] op_sel:[0,1,0]
	s_waitcnt vmcnt(11)
	v_xor_b32_e32 v20, 0x80000000, v97
	v_pk_fma_f32 v[18:19], v[96:97], v[92:93], v[18:19] op_sel_hi:[1,0,1]
	v_mov_b32_e32 v21, v96
	v_pk_fma_f32 v[2:3], v[22:23], v[82:83], v[2:3] op_sel:[0,1,0]
	v_pk_fma_f32 v[18:19], v[20:21], v[92:93], v[18:19] op_sel:[0,1,0]
	s_waitcnt vmcnt(10)
	v_xor_b32_e32 v20, 0x80000000, v99
	v_mov_b32_e32 v21, v98
	s_waitcnt vmcnt(8)
	v_pk_fma_f32 v[0:1], v[98:99], v[102:103], v[0:1] op_sel_hi:[1,0,1]
	v_xor_b32_e32 v22, 0x80000000, v101
	v_pk_fma_f32 v[2:3], v[100:101], v[92:93], v[2:3] op_sel_hi:[1,0,1]
	v_mov_b32_e32 v23, v100
	v_pk_fma_f32 v[0:1], v[20:21], v[102:103], v[0:1] op_sel:[0,1,0]
	s_waitcnt vmcnt(7)
	v_xor_b32_e32 v20, 0x80000000, v35
	v_pk_fma_f32 v[16:17], v[34:35], v[102:103], v[16:17] op_sel_hi:[1,0,1]
	v_mov_b32_e32 v21, v34
	v_pk_fma_f32 v[2:3], v[22:23], v[92:93], v[2:3] op_sel:[0,1,0]
	v_pk_fma_f32 v[16:17], v[20:21], v[102:103], v[16:17] op_sel:[0,1,0]
	s_waitcnt vmcnt(6)
	v_xor_b32_e32 v20, 0x80000000, v37
	v_pk_fma_f32 v[18:19], v[36:37], v[102:103], v[18:19] op_sel_hi:[1,0,1]
	v_mov_b32_e32 v21, v36
	v_pk_fma_f32 v[20:21], v[20:21], v[102:103], v[18:19] op_sel:[0,1,0]
	s_waitcnt vmcnt(5)
	v_xor_b32_e32 v18, 0x80000000, v39
	v_mov_b32_e32 v19, v38
	s_waitcnt vmcnt(4)
	v_xor_b32_e32 v22, 0x80000000, v43
	v_pk_fma_f32 v[2:3], v[42:43], v[102:103], v[2:3] op_sel_hi:[1,0,1]
	v_mov_b32_e32 v23, v42
	s_waitcnt vmcnt(3)
	v_pk_fma_f32 v[0:1], v[38:39], v[44:45], v[0:1] op_sel_hi:[1,0,1]
	v_pk_fma_f32 v[2:3], v[22:23], v[102:103], v[2:3] op_sel:[0,1,0]
	v_pk_fma_f32 v[18:19], v[18:19], v[44:45], v[0:1] op_sel:[0,1,0]
	s_waitcnt vmcnt(2)
	v_xor_b32_e32 v0, 0x80000000, v29
	v_pk_fma_f32 v[16:17], v[28:29], v[44:45], v[16:17] op_sel_hi:[1,0,1]
	v_mov_b32_e32 v1, v28
	v_pk_fma_f32 v[22:23], v[0:1], v[44:45], v[16:17] op_sel:[0,1,0]
	v_add_u32_e32 v4, 0x380, v4
	s_waitcnt vmcnt(1)
	v_xor_b32_e32 v0, 0x80000000, v41
	v_pk_fma_f32 v[16:17], v[40:41], v[44:45], v[20:21] op_sel_hi:[1,0,1]
	v_mov_b32_e32 v1, v40
	s_waitcnt vmcnt(0)
	v_xor_b32_e32 v24, 0x80000000, v47
	v_pk_fma_f32 v[2:3], v[46:47], v[44:45], v[2:3] op_sel_hi:[1,0,1]
	v_mov_b32_e32 v25, v46
	v_pk_fma_f32 v[20:21], v[0:1], v[44:45], v[16:17] op_sel:[0,1,0]
	v_pk_fma_f32 v[16:17], v[24:25], v[44:45], v[2:3] op_sel:[0,1,0]
	s_andn2_b64 exec, exec, s[2:3]
	s_cbranch_execnz .LBB102_11
; %bb.12:
	s_or_b64 exec, exec, s[2:3]
.LBB102_13:
	s_or_b64 exec, exec, s[4:5]
.LBB102_14:
	v_mov_b32_dpp v6, v23 row_shr:1 row_mask:0xf bank_mask:0xf
	v_add_f32_e32 v6, v23, v6
	v_mov_b32_dpp v0, v18 row_shr:1 row_mask:0xf bank_mask:0xf
	v_add_f32_e32 v0, v18, v0
	;; [unrolled: 2-line block ×3, first 2 shown]
	v_mov_b32_dpp v2, v19 row_shr:1 row_mask:0xf bank_mask:0xf
	v_mov_b32_dpp v4, v22 row_shr:1 row_mask:0xf bank_mask:0xf
	;; [unrolled: 1-line block ×3, first 2 shown]
	v_add_f32_e32 v6, v6, v7
	v_add_f32_e32 v2, v19, v2
	v_add_f32_e32 v4, v22, v4
	v_mov_b32_dpp v7, v6 row_shr:8 row_mask:0xf bank_mask:0xc
	v_add_f32_e32 v7, v6, v7
	v_mov_b32_dpp v6, v20 row_shr:1 row_mask:0xf bank_mask:0xf
	v_add_f32_e32 v6, v20, v6
	v_mov_b32_dpp v1, v0 row_shr:2 row_mask:0xf bank_mask:0xf
	v_mov_b32_dpp v3, v2 row_shr:2 row_mask:0xf bank_mask:0xf
	v_mov_b32_dpp v15, v6 row_shr:2 row_mask:0xf bank_mask:0xf
	v_add_f32_e32 v6, v6, v15
	v_mov_b32_dpp v5, v4 row_shr:2 row_mask:0xf bank_mask:0xf
	v_add_f32_e32 v0, v0, v1
	v_mov_b32_dpp v15, v6 row_shr:4 row_mask:0xf bank_mask:0xe
	v_add_f32_e32 v6, v6, v15
	v_add_f32_e32 v2, v2, v3
	v_add_f32_e32 v4, v4, v5
	v_mov_b32_dpp v15, v6 row_shr:8 row_mask:0xf bank_mask:0xc
	v_add_f32_e32 v15, v6, v15
	v_mov_b32_dpp v6, v21 row_shr:1 row_mask:0xf bank_mask:0xf
	v_add_f32_e32 v6, v21, v6
	v_mov_b32_dpp v1, v0 row_shr:4 row_mask:0xf bank_mask:0xe
	v_mov_b32_dpp v3, v2 row_shr:4 row_mask:0xf bank_mask:0xe
	v_mov_b32_dpp v18, v6 row_shr:2 row_mask:0xf bank_mask:0xf
	v_add_f32_e32 v6, v6, v18
	v_mov_b32_dpp v5, v4 row_shr:4 row_mask:0xf bank_mask:0xe
	v_add_f32_e32 v0, v0, v1
	v_mov_b32_dpp v18, v6 row_shr:4 row_mask:0xf bank_mask:0xe
	;; [unrolled: 14-line block ×3, first 2 shown]
	v_add_f32_e32 v6, v6, v16
	v_add_f32_e32 v2, v2, v3
	;; [unrolled: 1-line block ×3, first 2 shown]
	v_mov_b32_dpp v16, v6 row_shr:8 row_mask:0xf bank_mask:0xc
	v_add_f32_e32 v23, v6, v16
	v_mov_b32_dpp v6, v17 row_shr:1 row_mask:0xf bank_mask:0xf
	v_add_f32_e32 v6, v17, v6
	v_mov_b32_dpp v1, v0 row_bcast:15 row_mask:0xa bank_mask:0xf
	v_mov_b32_dpp v3, v2 row_bcast:15 row_mask:0xa bank_mask:0xf
	v_mov_b32_dpp v16, v6 row_shr:2 row_mask:0xf bank_mask:0xf
	v_add_f32_e32 v6, v6, v16
	v_mov_b32_dpp v5, v4 row_bcast:15 row_mask:0xa bank_mask:0xf
	v_mov_b32_dpp v14, v7 row_bcast:15 row_mask:0xa bank_mask:0xf
	v_mov_b32_dpp v16, v6 row_shr:4 row_mask:0xf bank_mask:0xe
	v_add_f32_e32 v6, v6, v16
	v_mov_b32_dpp v19, v15 row_bcast:15 row_mask:0xa bank_mask:0xf
	v_mov_b32_dpp v22, v21 row_bcast:15 row_mask:0xa bank_mask:0xf
	v_mov_b32_dpp v16, v6 row_shr:8 row_mask:0xf bank_mask:0xc
	v_add_f32_e32 v17, v6, v16
	v_mov_b32_dpp v24, v23 row_bcast:15 row_mask:0xa bank_mask:0xf
	v_cmp_eq_u32_e32 vcc, 31, v13
	v_mov_b32_dpp v25, v17 row_bcast:15 row_mask:0xa bank_mask:0xf
	s_and_b64 exec, exec, vcc
	s_cbranch_execz .LBB102_19
; %bb.15:
	s_load_dwordx2 s[2:3], s[0:1], 0x38
	v_cmp_eq_f32_e32 vcc, 0, v10
	v_cmp_eq_f32_e64 s[0:1], 0, v11
	v_add_f32_e32 v6, v0, v1
	v_add_f32_e32 v20, v2, v3
	;; [unrolled: 1-line block ×8, first 2 shown]
	s_and_b64 s[0:1], vcc, s[0:1]
	s_and_saveexec_b64 s[4:5], s[0:1]
	s_xor_b64 s[0:1], exec, s[4:5]
	s_cbranch_execz .LBB102_17
; %bb.16:
	v_lshlrev_b32_e32 v10, 2, v12
	v_xor_b32_e32 v22, 0x80000000, v9
	v_ashrrev_i32_e32 v11, 31, v10
	v_mov_b32_e32 v23, v8
	s_waitcnt lgkmcnt(0)
	v_lshl_add_u64 v[24:25], v[10:11], 3, s[2:3]
	v_pk_mul_f32 v[10:11], v[20:21], v[22:23] op_sel_hi:[0,1]
	v_pk_fma_f32 v[10:11], v[8:9], v[6:7], v[10:11] op_sel_hi:[1,0,1]
	v_pk_mul_f32 v[6:7], v[18:19], v[22:23] op_sel_hi:[0,1]
	v_pk_fma_f32 v[12:13], v[8:9], v[4:5], v[6:7] op_sel_hi:[1,0,1]
	;; [unrolled: 2-line block ×4, first 2 shown]
	global_store_dwordx4 v[24:25], v[10:13], off
	global_store_dwordx4 v[24:25], v[2:5], off offset:16
                                        ; implicit-def: $vgpr12
                                        ; implicit-def: $vgpr6
                                        ; implicit-def: $vgpr20
                                        ; implicit-def: $vgpr4
                                        ; implicit-def: $vgpr18
                                        ; implicit-def: $vgpr2
                                        ; implicit-def: $vgpr16
                                        ; implicit-def: $vgpr0
                                        ; implicit-def: $vgpr14
                                        ; implicit-def: $vgpr8_vgpr9
                                        ; implicit-def: $vgpr10_vgpr11
.LBB102_17:
	s_andn2_saveexec_b64 s[0:1], s[0:1]
	s_cbranch_execz .LBB102_19
; %bb.18:
	v_lshlrev_b32_e32 v12, 2, v12
	v_ashrrev_i32_e32 v13, 31, v12
	s_waitcnt lgkmcnt(0)
	v_lshl_add_u64 v[12:13], v[12:13], 3, s[2:3]
	global_load_dwordx4 v[22:25], v[12:13], off
	global_load_dwordx4 v[26:29], v[12:13], off offset:16
	v_xor_b32_e32 v30, 0x80000000, v9
	v_mov_b32_e32 v31, v8
	v_pk_mul_f32 v[20:21], v[20:21], v[30:31] op_sel_hi:[0,1]
	v_pk_mul_f32 v[18:19], v[18:19], v[30:31] op_sel_hi:[0,1]
	;; [unrolled: 1-line block ×4, first 2 shown]
	v_pk_fma_f32 v[6:7], v[8:9], v[6:7], v[20:21] op_sel_hi:[1,0,1]
	v_pk_fma_f32 v[4:5], v[8:9], v[4:5], v[18:19] op_sel_hi:[1,0,1]
	v_xor_b32_e32 v32, 0x80000000, v11
	v_mov_b32_e32 v33, v10
	v_pk_fma_f32 v[2:3], v[8:9], v[2:3], v[16:17] op_sel_hi:[1,0,1]
	v_pk_fma_f32 v[0:1], v[8:9], v[0:1], v[14:15] op_sel_hi:[1,0,1]
	s_waitcnt vmcnt(1)
	v_pk_fma_f32 v[6:7], v[10:11], v[22:23], v[6:7] op_sel_hi:[1,0,1]
	v_pk_fma_f32 v[4:5], v[10:11], v[24:25], v[4:5] op_sel_hi:[1,0,1]
	v_mov_b32_e32 v8, v25
	s_waitcnt vmcnt(0)
	v_pk_fma_f32 v[14:15], v[10:11], v[26:27], v[2:3] op_sel_hi:[1,0,1]
	v_pk_fma_f32 v[10:11], v[10:11], v[28:29], v[0:1] op_sel_hi:[1,0,1]
	v_mov_b32_e32 v16, v29
	v_pk_fma_f32 v[0:1], v[32:33], v[22:23], v[6:7] op_sel:[0,1,0]
	v_pk_fma_f32 v[2:3], v[32:33], v[8:9], v[4:5] op_sel_hi:[1,0,1]
	v_pk_fma_f32 v[4:5], v[32:33], v[26:27], v[14:15] op_sel:[0,1,0]
	v_pk_fma_f32 v[6:7], v[32:33], v[16:17], v[10:11] op_sel_hi:[1,0,1]
	global_store_dwordx4 v[12:13], v[0:3], off
	global_store_dwordx4 v[12:13], v[4:7], off offset:16
.LBB102_19:
	s_endpgm
	.section	.rodata,"a",@progbits
	.p2align	6, 0x0
	.amdhsa_kernel _ZN9rocsparseL19gebsrmvn_4xn_kernelILj128ELj7ELj32E21rocsparse_complex_numIfEEEvi20rocsparse_direction_NS_24const_host_device_scalarIT2_EEPKiS8_PKS5_SA_S6_PS5_21rocsparse_index_base_b
		.amdhsa_group_segment_fixed_size 0
		.amdhsa_private_segment_fixed_size 0
		.amdhsa_kernarg_size 72
		.amdhsa_user_sgpr_count 2
		.amdhsa_user_sgpr_dispatch_ptr 0
		.amdhsa_user_sgpr_queue_ptr 0
		.amdhsa_user_sgpr_kernarg_segment_ptr 1
		.amdhsa_user_sgpr_dispatch_id 0
		.amdhsa_user_sgpr_kernarg_preload_length 0
		.amdhsa_user_sgpr_kernarg_preload_offset 0
		.amdhsa_user_sgpr_private_segment_size 0
		.amdhsa_uses_dynamic_stack 0
		.amdhsa_enable_private_segment 0
		.amdhsa_system_sgpr_workgroup_id_x 1
		.amdhsa_system_sgpr_workgroup_id_y 0
		.amdhsa_system_sgpr_workgroup_id_z 0
		.amdhsa_system_sgpr_workgroup_info 0
		.amdhsa_system_vgpr_workitem_id 0
		.amdhsa_next_free_vgpr 104
		.amdhsa_next_free_sgpr 16
		.amdhsa_accum_offset 104
		.amdhsa_reserve_vcc 1
		.amdhsa_float_round_mode_32 0
		.amdhsa_float_round_mode_16_64 0
		.amdhsa_float_denorm_mode_32 3
		.amdhsa_float_denorm_mode_16_64 3
		.amdhsa_dx10_clamp 1
		.amdhsa_ieee_mode 1
		.amdhsa_fp16_overflow 0
		.amdhsa_tg_split 0
		.amdhsa_exception_fp_ieee_invalid_op 0
		.amdhsa_exception_fp_denorm_src 0
		.amdhsa_exception_fp_ieee_div_zero 0
		.amdhsa_exception_fp_ieee_overflow 0
		.amdhsa_exception_fp_ieee_underflow 0
		.amdhsa_exception_fp_ieee_inexact 0
		.amdhsa_exception_int_div_zero 0
	.end_amdhsa_kernel
	.section	.text._ZN9rocsparseL19gebsrmvn_4xn_kernelILj128ELj7ELj32E21rocsparse_complex_numIfEEEvi20rocsparse_direction_NS_24const_host_device_scalarIT2_EEPKiS8_PKS5_SA_S6_PS5_21rocsparse_index_base_b,"axG",@progbits,_ZN9rocsparseL19gebsrmvn_4xn_kernelILj128ELj7ELj32E21rocsparse_complex_numIfEEEvi20rocsparse_direction_NS_24const_host_device_scalarIT2_EEPKiS8_PKS5_SA_S6_PS5_21rocsparse_index_base_b,comdat
.Lfunc_end102:
	.size	_ZN9rocsparseL19gebsrmvn_4xn_kernelILj128ELj7ELj32E21rocsparse_complex_numIfEEEvi20rocsparse_direction_NS_24const_host_device_scalarIT2_EEPKiS8_PKS5_SA_S6_PS5_21rocsparse_index_base_b, .Lfunc_end102-_ZN9rocsparseL19gebsrmvn_4xn_kernelILj128ELj7ELj32E21rocsparse_complex_numIfEEEvi20rocsparse_direction_NS_24const_host_device_scalarIT2_EEPKiS8_PKS5_SA_S6_PS5_21rocsparse_index_base_b
                                        ; -- End function
	.set _ZN9rocsparseL19gebsrmvn_4xn_kernelILj128ELj7ELj32E21rocsparse_complex_numIfEEEvi20rocsparse_direction_NS_24const_host_device_scalarIT2_EEPKiS8_PKS5_SA_S6_PS5_21rocsparse_index_base_b.num_vgpr, 104
	.set _ZN9rocsparseL19gebsrmvn_4xn_kernelILj128ELj7ELj32E21rocsparse_complex_numIfEEEvi20rocsparse_direction_NS_24const_host_device_scalarIT2_EEPKiS8_PKS5_SA_S6_PS5_21rocsparse_index_base_b.num_agpr, 0
	.set _ZN9rocsparseL19gebsrmvn_4xn_kernelILj128ELj7ELj32E21rocsparse_complex_numIfEEEvi20rocsparse_direction_NS_24const_host_device_scalarIT2_EEPKiS8_PKS5_SA_S6_PS5_21rocsparse_index_base_b.numbered_sgpr, 16
	.set _ZN9rocsparseL19gebsrmvn_4xn_kernelILj128ELj7ELj32E21rocsparse_complex_numIfEEEvi20rocsparse_direction_NS_24const_host_device_scalarIT2_EEPKiS8_PKS5_SA_S6_PS5_21rocsparse_index_base_b.num_named_barrier, 0
	.set _ZN9rocsparseL19gebsrmvn_4xn_kernelILj128ELj7ELj32E21rocsparse_complex_numIfEEEvi20rocsparse_direction_NS_24const_host_device_scalarIT2_EEPKiS8_PKS5_SA_S6_PS5_21rocsparse_index_base_b.private_seg_size, 0
	.set _ZN9rocsparseL19gebsrmvn_4xn_kernelILj128ELj7ELj32E21rocsparse_complex_numIfEEEvi20rocsparse_direction_NS_24const_host_device_scalarIT2_EEPKiS8_PKS5_SA_S6_PS5_21rocsparse_index_base_b.uses_vcc, 1
	.set _ZN9rocsparseL19gebsrmvn_4xn_kernelILj128ELj7ELj32E21rocsparse_complex_numIfEEEvi20rocsparse_direction_NS_24const_host_device_scalarIT2_EEPKiS8_PKS5_SA_S6_PS5_21rocsparse_index_base_b.uses_flat_scratch, 0
	.set _ZN9rocsparseL19gebsrmvn_4xn_kernelILj128ELj7ELj32E21rocsparse_complex_numIfEEEvi20rocsparse_direction_NS_24const_host_device_scalarIT2_EEPKiS8_PKS5_SA_S6_PS5_21rocsparse_index_base_b.has_dyn_sized_stack, 0
	.set _ZN9rocsparseL19gebsrmvn_4xn_kernelILj128ELj7ELj32E21rocsparse_complex_numIfEEEvi20rocsparse_direction_NS_24const_host_device_scalarIT2_EEPKiS8_PKS5_SA_S6_PS5_21rocsparse_index_base_b.has_recursion, 0
	.set _ZN9rocsparseL19gebsrmvn_4xn_kernelILj128ELj7ELj32E21rocsparse_complex_numIfEEEvi20rocsparse_direction_NS_24const_host_device_scalarIT2_EEPKiS8_PKS5_SA_S6_PS5_21rocsparse_index_base_b.has_indirect_call, 0
	.section	.AMDGPU.csdata,"",@progbits
; Kernel info:
; codeLenInByte = 4032
; TotalNumSgprs: 22
; NumVgprs: 104
; NumAgprs: 0
; TotalNumVgprs: 104
; ScratchSize: 0
; MemoryBound: 0
; FloatMode: 240
; IeeeMode: 1
; LDSByteSize: 0 bytes/workgroup (compile time only)
; SGPRBlocks: 2
; VGPRBlocks: 12
; NumSGPRsForWavesPerEU: 22
; NumVGPRsForWavesPerEU: 104
; AccumOffset: 104
; Occupancy: 4
; WaveLimiterHint : 1
; COMPUTE_PGM_RSRC2:SCRATCH_EN: 0
; COMPUTE_PGM_RSRC2:USER_SGPR: 2
; COMPUTE_PGM_RSRC2:TRAP_HANDLER: 0
; COMPUTE_PGM_RSRC2:TGID_X_EN: 1
; COMPUTE_PGM_RSRC2:TGID_Y_EN: 0
; COMPUTE_PGM_RSRC2:TGID_Z_EN: 0
; COMPUTE_PGM_RSRC2:TIDIG_COMP_CNT: 0
; COMPUTE_PGM_RSRC3_GFX90A:ACCUM_OFFSET: 25
; COMPUTE_PGM_RSRC3_GFX90A:TG_SPLIT: 0
	.section	.text._ZN9rocsparseL19gebsrmvn_4xn_kernelILj128ELj7ELj64E21rocsparse_complex_numIfEEEvi20rocsparse_direction_NS_24const_host_device_scalarIT2_EEPKiS8_PKS5_SA_S6_PS5_21rocsparse_index_base_b,"axG",@progbits,_ZN9rocsparseL19gebsrmvn_4xn_kernelILj128ELj7ELj64E21rocsparse_complex_numIfEEEvi20rocsparse_direction_NS_24const_host_device_scalarIT2_EEPKiS8_PKS5_SA_S6_PS5_21rocsparse_index_base_b,comdat
	.globl	_ZN9rocsparseL19gebsrmvn_4xn_kernelILj128ELj7ELj64E21rocsparse_complex_numIfEEEvi20rocsparse_direction_NS_24const_host_device_scalarIT2_EEPKiS8_PKS5_SA_S6_PS5_21rocsparse_index_base_b ; -- Begin function _ZN9rocsparseL19gebsrmvn_4xn_kernelILj128ELj7ELj64E21rocsparse_complex_numIfEEEvi20rocsparse_direction_NS_24const_host_device_scalarIT2_EEPKiS8_PKS5_SA_S6_PS5_21rocsparse_index_base_b
	.p2align	8
	.type	_ZN9rocsparseL19gebsrmvn_4xn_kernelILj128ELj7ELj64E21rocsparse_complex_numIfEEEvi20rocsparse_direction_NS_24const_host_device_scalarIT2_EEPKiS8_PKS5_SA_S6_PS5_21rocsparse_index_base_b,@function
_ZN9rocsparseL19gebsrmvn_4xn_kernelILj128ELj7ELj64E21rocsparse_complex_numIfEEEvi20rocsparse_direction_NS_24const_host_device_scalarIT2_EEPKiS8_PKS5_SA_S6_PS5_21rocsparse_index_base_b: ; @_ZN9rocsparseL19gebsrmvn_4xn_kernelILj128ELj7ELj64E21rocsparse_complex_numIfEEEvi20rocsparse_direction_NS_24const_host_device_scalarIT2_EEPKiS8_PKS5_SA_S6_PS5_21rocsparse_index_base_b
; %bb.0:
	s_load_dwordx2 s[4:5], s[0:1], 0x8
	s_load_dwordx2 s[6:7], s[0:1], 0x30
	;; [unrolled: 1-line block ×3, first 2 shown]
	s_add_u32 s3, s0, 8
	s_addc_u32 s8, s1, 0
	s_add_u32 s9, s0, 48
	s_addc_u32 s10, s1, 0
	s_waitcnt lgkmcnt(0)
	s_bitcmp1_b32 s13, 0
	s_cselect_b32 s3, s3, s4
	s_cselect_b32 s5, s8, s5
	v_mov_b32_e32 v2, s3
	s_cselect_b32 s3, s10, s7
	s_cselect_b32 s4, s9, s6
	v_mov_b32_e32 v3, s5
	v_mov_b32_e32 v4, s4
	;; [unrolled: 1-line block ×3, first 2 shown]
	flat_load_dwordx2 v[8:9], v[2:3]
	flat_load_dwordx2 v[10:11], v[4:5]
	s_waitcnt vmcnt(0) lgkmcnt(0)
	v_cmp_eq_f32_e32 vcc, 0, v8
	v_cmp_eq_f32_e64 s[4:5], 0, v9
	v_cmp_eq_f32_e64 s[6:7], 1.0, v10
	v_cmp_eq_f32_e64 s[8:9], 0, v11
	s_and_b64 s[4:5], vcc, s[4:5]
	s_and_b64 s[6:7], s[6:7], s[8:9]
	s_and_b64 s[4:5], s[4:5], s[6:7]
	s_xor_b64 s[4:5], s[4:5], -1
	s_and_saveexec_b64 s[6:7], s[4:5]
	s_cbranch_execz .LBB103_19
; %bb.1:
	s_load_dwordx2 s[14:15], s[0:1], 0x0
	v_lshrrev_b32_e32 v1, 6, v0
	v_lshl_or_b32 v12, s2, 1, v1
	s_waitcnt lgkmcnt(0)
	v_cmp_gt_i32_e32 vcc, s14, v12
	s_and_b64 exec, exec, vcc
	s_cbranch_execz .LBB103_19
; %bb.2:
	s_load_dwordx8 s[4:11], s[0:1], 0x10
	v_ashrrev_i32_e32 v13, 31, v12
	s_cmp_lg_u32 s15, 0
	s_waitcnt lgkmcnt(0)
	v_lshl_add_u64 v[2:3], v[12:13], 2, s[4:5]
	global_load_dwordx2 v[2:3], v[2:3], off
	v_and_b32_e32 v13, 63, v0
	s_waitcnt vmcnt(0)
	v_subrev_u32_e32 v0, s12, v2
	v_subrev_u32_e32 v32, s12, v3
	v_add_u32_e32 v14, v0, v13
	v_cmp_lt_i32_e64 s[2:3], v14, v32
	s_cbranch_scc0 .LBB103_8
; %bb.3:
	v_mov_b32_e32 v19, 0
	v_mov_b32_e32 v18, v19
	;; [unrolled: 1-line block ×8, first 2 shown]
	s_and_saveexec_b64 s[4:5], s[2:3]
	s_cbranch_execz .LBB103_7
; %bb.4:
	v_mad_u64_u32 v[24:25], s[14:15], v14, 28, 24
	v_mov_b32_e32 v27, 0
	s_mov_b64 s[14:15], 0
	v_mov_b32_e32 v28, v14
	v_mov_b32_e32 v16, v27
	v_mov_b32_e32 v17, v27
	v_mov_b32_e32 v20, v27
	v_mov_b32_e32 v21, v27
	v_mov_b32_e32 v22, v27
	v_mov_b32_e32 v23, v27
	v_mov_b32_e32 v18, v27
	v_mov_b32_e32 v19, v27
.LBB103_5:                              ; =>This Inner Loop Header: Depth=1
	v_ashrrev_i32_e32 v29, 31, v28
	v_subrev_u32_e32 v26, 24, v24
	v_lshl_add_u64 v[0:1], v[28:29], 2, s[6:7]
	v_lshl_add_u64 v[2:3], v[26:27], 3, s[8:9]
	global_load_dword v15, v[0:1], off
	global_load_dwordx4 v[34:37], v[2:3], off
	global_load_dwordx4 v[38:41], v[2:3], off offset:16
	v_mov_b32_e32 v25, v27
	v_mov_b32_e32 v31, v27
	v_subrev_u32_e32 v26, 20, v24
	v_lshl_add_u64 v[50:51], v[24:25], 3, s[8:9]
	v_lshl_add_u64 v[52:53], v[26:27], 3, s[8:9]
	global_load_dwordx4 v[0:3], v[50:51], off offset:16
	global_load_dwordx4 v[4:7], v[50:51], off
	global_load_dwordx4 v[42:45], v[52:53], off
	global_load_dwordx4 v[46:49], v[52:53], off offset:16
	v_add_u32_e32 v28, 64, v28
	v_cmp_ge_i32_e32 vcc, v28, v32
	s_or_b64 s[14:15], vcc, s[14:15]
	s_waitcnt vmcnt(6)
	v_subrev_u32_e32 v15, s12, v15
	v_mul_lo_u32 v30, v15, 7
	v_lshl_add_u64 v[50:51], v[30:31], 3, s[10:11]
	global_load_dwordx2 v[78:79], v[50:51], off
	v_add_u32_e32 v26, 1, v30
	v_lshl_add_u64 v[50:51], v[26:27], 3, s[10:11]
	global_load_dwordx2 v[80:81], v[50:51], off
	v_add_u32_e32 v26, -16, v24
	v_lshl_add_u64 v[58:59], v[26:27], 3, s[8:9]
	v_add_u32_e32 v26, 2, v30
	v_lshl_add_u64 v[60:61], v[26:27], 3, s[10:11]
	v_add_u32_e32 v26, -12, v24
	global_load_dwordx4 v[50:53], v[58:59], off
	global_load_dwordx4 v[54:57], v[58:59], off offset:16
	global_load_dwordx2 v[82:83], v[60:61], off
	v_lshl_add_u64 v[84:85], v[26:27], 3, s[8:9]
	v_add_u32_e32 v26, 3, v30
	s_waitcnt vmcnt(10)
	v_xor_b32_e32 v66, 0x80000000, v37
	v_mov_b32_e32 v67, v36
	global_load_dwordx4 v[58:61], v[84:85], off offset:16
	global_load_dwordx4 v[62:65], v[84:85], off
	s_waitcnt vmcnt(11)
	v_xor_b32_e32 v68, 0x80000000, v41
	v_mov_b32_e32 v69, v40
	s_waitcnt vmcnt(8)
	v_xor_b32_e32 v72, 0x80000000, v45
	v_mov_b32_e32 v73, v44
	v_xor_b32_e32 v70, 0x80000000, v43
	s_waitcnt vmcnt(7)
	v_xor_b32_e32 v74, 0x80000000, v47
	v_xor_b32_e32 v76, 0x80000000, v49
	v_mov_b32_e32 v71, v42
	v_mov_b32_e32 v75, v46
	;; [unrolled: 1-line block ×3, first 2 shown]
	s_waitcnt vmcnt(6)
	v_pk_fma_f32 v[18:19], v[34:35], v[78:79], v[18:19] op_sel_hi:[1,0,1]
	s_nop 0
	v_pk_fma_f32 v[34:35], v[34:35], v[78:79], v[18:19] op_sel:[1,1,0] op_sel_hi:[0,1,1] neg_lo:[1,0,0]
	v_lshl_add_u64 v[18:19], v[26:27], 3, s[10:11]
	v_add_u32_e32 v26, -8, v24
	v_pk_fma_f32 v[22:23], v[36:37], v[78:79], v[22:23] op_sel_hi:[1,0,1]
	global_load_dwordx2 v[84:85], v[18:19], off
	v_lshl_add_u64 v[36:37], v[26:27], 3, s[8:9]
	v_add_u32_e32 v26, 4, v30
	v_pk_fma_f32 v[18:19], v[38:39], v[78:79], v[20:21] op_sel_hi:[1,0,1]
	v_pk_fma_f32 v[40:41], v[40:41], v[78:79], v[16:17] op_sel_hi:[1,0,1]
	v_pk_fma_f32 v[38:39], v[38:39], v[78:79], v[18:19] op_sel:[1,1,0] op_sel_hi:[0,1,1] neg_lo:[1,0,0]
	global_load_dwordx4 v[16:19], v[36:37], off
	v_pk_fma_f32 v[66:67], v[66:67], v[78:79], v[22:23] op_sel:[0,1,0]
	global_load_dwordx4 v[20:23], v[36:37], off offset:16
	v_lshl_add_u64 v[36:37], v[26:27], 3, s[10:11]
	v_add_u32_e32 v26, -4, v24
	v_pk_fma_f32 v[40:41], v[68:69], v[78:79], v[40:41] op_sel:[0,1,0]
	v_lshl_add_u64 v[68:69], v[26:27], 3, s[8:9]
	v_add_u32_e32 v26, 5, v30
	global_load_dwordx2 v[78:79], v[36:37], off
	s_waitcnt vmcnt(9)
	v_pk_fma_f32 v[44:45], v[44:45], v[80:81], v[66:67] op_sel_hi:[1,0,1]
	v_lshl_add_u64 v[66:67], v[26:27], 3, s[10:11]
	v_pk_fma_f32 v[42:43], v[42:43], v[80:81], v[34:35] op_sel_hi:[1,0,1]
	v_pk_fma_f32 v[46:47], v[46:47], v[80:81], v[38:39] op_sel_hi:[1,0,1]
	;; [unrolled: 1-line block ×3, first 2 shown]
	global_load_dwordx4 v[38:41], v[68:69], off offset:16
	v_add_u32_e32 v26, 6, v30
	global_load_dwordx2 v[30:31], v[66:67], off
	global_load_dwordx4 v[34:37], v[68:69], off
	v_lshl_add_u64 v[66:67], v[26:27], 3, s[10:11]
	global_load_dwordx2 v[66:67], v[66:67], off
	v_pk_fma_f32 v[42:43], v[70:71], v[80:81], v[42:43] op_sel:[0,1,0]
	v_pk_fma_f32 v[44:45], v[72:73], v[80:81], v[44:45] op_sel:[0,1,0]
	;; [unrolled: 1-line block ×4, first 2 shown]
	s_waitcnt vmcnt(12)
	v_xor_b32_e32 v72, 0x80000000, v53
	v_mov_b32_e32 v73, v52
	s_waitcnt vmcnt(11)
	v_xor_b32_e32 v74, 0x80000000, v57
	v_mov_b32_e32 v75, v56
	s_waitcnt vmcnt(10)
	v_pk_fma_f32 v[42:43], v[50:51], v[82:83], v[42:43] op_sel_hi:[1,0,1]
	v_pk_fma_f32 v[44:45], v[52:53], v[82:83], v[44:45] op_sel_hi:[1,0,1]
	;; [unrolled: 1-line block ×4, first 2 shown]
	v_pk_fma_f32 v[42:43], v[50:51], v[82:83], v[42:43] op_sel:[1,1,0] op_sel_hi:[0,1,1] neg_lo:[1,0,0]
	v_pk_fma_f32 v[46:47], v[54:55], v[82:83], v[46:47] op_sel:[1,1,0] op_sel_hi:[0,1,1] neg_lo:[1,0,0]
	v_pk_fma_f32 v[44:45], v[72:73], v[82:83], v[44:45] op_sel:[0,1,0]
	v_pk_fma_f32 v[48:49], v[74:75], v[82:83], v[48:49] op_sel:[0,1,0]
	s_waitcnt vmcnt(8)
	v_xor_b32_e32 v52, 0x80000000, v65
	v_mov_b32_e32 v53, v64
	v_xor_b32_e32 v50, 0x80000000, v61
	v_mov_b32_e32 v51, v60
	;; [unrolled: 2-line block ×4, first 2 shown]
	v_add_u32_e32 v24, 0x700, v24
	s_waitcnt vmcnt(7)
	v_pk_fma_f32 v[42:43], v[62:63], v[84:85], v[42:43] op_sel_hi:[1,0,1]
	v_pk_fma_f32 v[44:45], v[64:65], v[84:85], v[44:45] op_sel_hi:[1,0,1]
	;; [unrolled: 1-line block ×4, first 2 shown]
	v_pk_fma_f32 v[42:43], v[62:63], v[84:85], v[42:43] op_sel:[1,1,0] op_sel_hi:[0,1,1] neg_lo:[1,0,0]
	v_pk_fma_f32 v[44:45], v[52:53], v[84:85], v[44:45] op_sel:[0,1,0]
	v_pk_fma_f32 v[46:47], v[58:59], v[84:85], v[46:47] op_sel:[1,1,0] op_sel_hi:[0,1,1] neg_lo:[1,0,0]
	v_pk_fma_f32 v[48:49], v[50:51], v[84:85], v[48:49] op_sel:[0,1,0]
	s_waitcnt vmcnt(6)
	v_xor_b32_e32 v54, 0x80000000, v19
	v_mov_b32_e32 v55, v18
	s_waitcnt vmcnt(5)
	v_xor_b32_e32 v56, 0x80000000, v23
	v_mov_b32_e32 v57, v22
	s_waitcnt vmcnt(4)
	v_pk_fma_f32 v[42:43], v[16:17], v[78:79], v[42:43] op_sel_hi:[1,0,1]
	v_pk_fma_f32 v[18:19], v[18:19], v[78:79], v[44:45] op_sel_hi:[1,0,1]
	;; [unrolled: 1-line block ×4, first 2 shown]
	v_pk_fma_f32 v[16:17], v[16:17], v[78:79], v[42:43] op_sel:[1,1,0] op_sel_hi:[0,1,1] neg_lo:[1,0,0]
	v_pk_fma_f32 v[18:19], v[54:55], v[78:79], v[18:19] op_sel:[0,1,0]
	v_pk_fma_f32 v[20:21], v[20:21], v[78:79], v[46:47] op_sel:[1,1,0] op_sel_hi:[0,1,1] neg_lo:[1,0,0]
	v_pk_fma_f32 v[22:23], v[56:57], v[78:79], v[22:23] op_sel:[0,1,0]
	s_waitcnt vmcnt(3)
	v_xor_b32_e32 v48, 0x80000000, v41
	s_waitcnt vmcnt(1)
	v_xor_b32_e32 v44, 0x80000000, v37
	v_mov_b32_e32 v45, v36
	v_mov_b32_e32 v49, v40
	v_pk_fma_f32 v[16:17], v[34:35], v[30:31], v[16:17] op_sel_hi:[1,0,1]
	v_pk_fma_f32 v[18:19], v[36:37], v[30:31], v[18:19] op_sel_hi:[1,0,1]
	;; [unrolled: 1-line block ×4, first 2 shown]
	v_pk_fma_f32 v[16:17], v[34:35], v[30:31], v[16:17] op_sel:[1,1,0] op_sel_hi:[0,1,1] neg_lo:[1,0,0]
	v_pk_fma_f32 v[18:19], v[44:45], v[30:31], v[18:19] op_sel:[0,1,0]
	v_pk_fma_f32 v[20:21], v[38:39], v[30:31], v[20:21] op_sel:[1,1,0] op_sel_hi:[0,1,1] neg_lo:[1,0,0]
	v_pk_fma_f32 v[22:23], v[48:49], v[30:31], v[22:23] op_sel:[0,1,0]
	s_waitcnt vmcnt(0)
	v_pk_fma_f32 v[16:17], v[4:5], v[66:67], v[16:17] op_sel_hi:[1,0,1]
	v_pk_fma_f32 v[6:7], v[6:7], v[66:67], v[18:19] op_sel_hi:[1,0,1]
	;; [unrolled: 1-line block ×4, first 2 shown]
	v_pk_fma_f32 v[18:19], v[4:5], v[66:67], v[16:17] op_sel:[1,1,0] op_sel_hi:[0,1,1] neg_lo:[1,0,0]
	v_pk_fma_f32 v[22:23], v[68:69], v[66:67], v[6:7] op_sel:[0,1,0]
	v_pk_fma_f32 v[20:21], v[0:1], v[66:67], v[20:21] op_sel:[1,1,0] op_sel_hi:[0,1,1] neg_lo:[1,0,0]
	v_pk_fma_f32 v[16:17], v[70:71], v[66:67], v[2:3] op_sel:[0,1,0]
	s_andn2_b64 exec, exec, s[14:15]
	s_cbranch_execnz .LBB103_5
; %bb.6:
	s_or_b64 exec, exec, s[14:15]
.LBB103_7:
	s_or_b64 exec, exec, s[4:5]
	s_cbranch_execz .LBB103_9
	s_branch .LBB103_14
.LBB103_8:
                                        ; implicit-def: $vgpr19
                                        ; implicit-def: $vgpr17
                                        ; implicit-def: $vgpr21
                                        ; implicit-def: $vgpr23
.LBB103_9:
	v_mov_b32_e32 v19, 0
	v_mov_b32_e32 v18, v19
	;; [unrolled: 1-line block ×8, first 2 shown]
	s_and_saveexec_b64 s[4:5], s[2:3]
	s_cbranch_execz .LBB103_13
; %bb.10:
	v_mad_u64_u32 v[4:5], s[2:3], v14, 28, 27
	v_mov_b32_e32 v7, 0
	s_mov_b64 s[2:3], 0
	v_mov_b32_e32 v16, v7
	v_mov_b32_e32 v17, v7
	;; [unrolled: 1-line block ×8, first 2 shown]
.LBB103_11:                             ; =>This Inner Loop Header: Depth=1
	v_ashrrev_i32_e32 v15, 31, v14
	v_subrev_u32_e32 v6, 27, v4
	v_subrev_u32_e32 v26, 20, v4
	v_add_u32_e32 v2, -13, v4
	v_add_u32_e32 v0, -6, v4
	v_mov_b32_e32 v27, v7
	v_mov_b32_e32 v3, v7
	;; [unrolled: 1-line block ×3, first 2 shown]
	v_lshl_add_u64 v[30:31], v[14:15], 2, s[6:7]
	v_lshl_add_u64 v[34:35], v[6:7], 3, s[8:9]
	v_lshl_add_u64 v[36:37], v[26:27], 3, s[8:9]
	v_lshl_add_u64 v[38:39], v[2:3], 3, s[8:9]
	v_lshl_add_u64 v[40:41], v[0:1], 3, s[8:9]
	global_load_dword v5, v[30:31], off
	global_load_dwordx4 v[26:29], v[34:35], off
	global_load_dwordx2 v[42:43], v[36:37], off
	global_load_dwordx2 v[44:45], v[38:39], off
	;; [unrolled: 1-line block ×3, first 2 shown]
	global_load_dwordx4 v[0:3], v[34:35], off offset:16
	v_mov_b32_e32 v25, v7
	v_add_u32_e32 v14, 64, v14
	v_cmp_ge_i32_e32 vcc, v14, v32
	s_or_b64 s[2:3], vcc, s[2:3]
	s_waitcnt vmcnt(5)
	v_subrev_u32_e32 v5, s12, v5
	v_mul_lo_u32 v24, v5, 7
	v_lshl_add_u64 v[40:41], v[24:25], 3, s[10:11]
	global_load_dwordx2 v[40:41], v[40:41], off
	v_add_u32_e32 v6, 1, v24
	v_lshl_add_u64 v[48:49], v[6:7], 3, s[10:11]
	global_load_dwordx2 v[48:49], v[48:49], off
	v_subrev_u32_e32 v6, 19, v4
	v_lshl_add_u64 v[50:51], v[6:7], 3, s[8:9]
	v_add_u32_e32 v6, -12, v4
	v_lshl_add_u64 v[52:53], v[6:7], 3, s[8:9]
	v_add_u32_e32 v6, -5, v4
	v_lshl_add_u64 v[54:55], v[6:7], 3, s[8:9]
	v_add_u32_e32 v6, 2, v24
	v_lshl_add_u64 v[56:57], v[6:7], 3, s[10:11]
	v_subrev_u32_e32 v6, 18, v4
	v_lshl_add_u64 v[58:59], v[6:7], 3, s[8:9]
	v_add_u32_e32 v6, -11, v4
	v_lshl_add_u64 v[60:61], v[6:7], 3, s[8:9]
	v_add_u32_e32 v6, -4, v4
	v_lshl_add_u64 v[62:63], v[6:7], 3, s[8:9]
	v_add_u32_e32 v6, 3, v24
	v_lshl_add_u64 v[64:65], v[6:7], 3, s[10:11]
	v_subrev_u32_e32 v6, 17, v4
	v_lshl_add_u64 v[66:67], v[6:7], 3, s[8:9]
	v_add_u32_e32 v6, -10, v4
	v_lshl_add_u64 v[68:69], v[6:7], 3, s[8:9]
	v_add_u32_e32 v6, -3, v4
	v_lshl_add_u64 v[70:71], v[6:7], 3, s[8:9]
	v_subrev_u32_e32 v6, 23, v4
	v_lshl_add_u64 v[72:73], v[6:7], 3, s[8:9]
	v_add_u32_e32 v6, 4, v24
	s_waitcnt vmcnt(5)
	v_xor_b32_e32 v34, 0x80000000, v43
	v_mov_b32_e32 v35, v42
	s_waitcnt vmcnt(4)
	v_xor_b32_e32 v36, 0x80000000, v45
	v_mov_b32_e32 v37, v44
	;; [unrolled: 3-line block ×3, first 2 shown]
	v_xor_b32_e32 v30, 0x80000000, v29
	v_mov_b32_e32 v31, v28
	v_mov_b32_e32 v5, v7
	s_waitcnt vmcnt(1)
	v_pk_fma_f32 v[22:23], v[42:43], v[40:41], v[22:23] op_sel_hi:[1,0,1]
	v_lshl_add_u64 v[42:43], v[6:7], 3, s[10:11]
	v_add_u32_e32 v6, -16, v4
	v_pk_fma_f32 v[20:21], v[44:45], v[40:41], v[20:21] op_sel_hi:[1,0,1]
	v_lshl_add_u64 v[44:45], v[6:7], 3, s[8:9]
	v_add_u32_e32 v6, -9, v4
	;; [unrolled: 3-line block ×3, first 2 shown]
	v_pk_fma_f32 v[22:23], v[34:35], v[40:41], v[22:23] op_sel:[0,1,0]
	v_lshl_add_u64 v[34:35], v[6:7], 3, s[8:9]
	v_subrev_u32_e32 v6, 22, v4
	v_pk_fma_f32 v[20:21], v[36:37], v[40:41], v[20:21] op_sel:[0,1,0]
	v_lshl_add_u64 v[36:37], v[6:7], 3, s[8:9]
	v_add_u32_e32 v6, 5, v24
	v_pk_fma_f32 v[16:17], v[38:39], v[40:41], v[16:17] op_sel:[0,1,0]
	v_lshl_add_u64 v[38:39], v[6:7], 3, s[10:11]
	v_add_u32_e32 v6, -15, v4
	v_pk_fma_f32 v[18:19], v[26:27], v[40:41], v[18:19] op_sel_hi:[1,0,1]
	s_nop 0
	v_pk_fma_f32 v[18:19], v[26:27], v[40:41], v[18:19] op_sel:[1,1,0] op_sel_hi:[0,1,1] neg_lo:[1,0,0]
	v_lshl_add_u64 v[26:27], v[6:7], 3, s[8:9]
	v_add_u32_e32 v6, -8, v4
	s_waitcnt vmcnt(0)
	v_pk_fma_f32 v[18:19], v[28:29], v[48:49], v[18:19] op_sel_hi:[1,0,1]
	v_lshl_add_u64 v[28:29], v[6:7], 3, s[8:9]
	v_add_u32_e32 v6, -1, v4
	v_lshl_add_u64 v[40:41], v[6:7], 3, s[8:9]
	v_subrev_u32_e32 v6, 21, v4
	v_lshl_add_u64 v[74:75], v[6:7], 3, s[8:9]
	v_add_u32_e32 v6, 6, v24
	global_load_dwordx2 v[24:25], v[50:51], off
	global_load_dwordx2 v[76:77], v[52:53], off
	;; [unrolled: 1-line block ×3, first 2 shown]
	v_pk_fma_f32 v[18:19], v[30:31], v[48:49], v[18:19] op_sel:[0,1,0]
	global_load_dwordx2 v[30:31], v[56:57], off
	global_load_dwordx2 v[52:53], v[58:59], off
	;; [unrolled: 1-line block ×15, first 2 shown]
                                        ; kill: killed $vgpr44_vgpr45
                                        ; kill: killed $vgpr42_vgpr43
                                        ; kill: killed $vgpr34_vgpr35
                                        ; kill: killed $vgpr56_vgpr57
                                        ; kill: killed $vgpr36_vgpr37
                                        ; kill: killed $vgpr60_vgpr61
                                        ; kill: killed $vgpr66_vgpr67
                                        ; kill: killed $vgpr70_vgpr71
                                        ; kill: killed $vgpr72_vgpr73
                                        ; kill: killed $vgpr46_vgpr47
                                        ; kill: killed $vgpr58_vgpr59
                                        ; kill: killed $vgpr38_vgpr39
                                        ; kill: killed $vgpr62_vgpr63
                                        ; kill: killed $vgpr64_vgpr65
                                        ; kill: killed $vgpr68_vgpr69
	s_nop 0
	global_load_dwordx2 v[34:35], v[26:27], off
	global_load_dwordx2 v[36:37], v[28:29], off
	v_lshl_add_u64 v[28:29], v[6:7], 3, s[10:11]
	v_add_u32_e32 v6, -14, v4
	global_load_dwordx2 v[38:39], v[74:75], off
	global_load_dwordx2 v[42:43], v[40:41], off
	;; [unrolled: 1-line block ×3, first 2 shown]
	v_lshl_add_u64 v[28:29], v[6:7], 3, s[8:9]
	v_add_u32_e32 v6, -7, v4
	global_load_dwordx2 v[28:29], v[28:29], off
	s_waitcnt vmcnt(20)
	v_pk_fma_f32 v[18:19], v[0:1], v[30:31], v[18:19] op_sel_hi:[1,0,1]
	s_nop 0
	v_pk_fma_f32 v[0:1], v[0:1], v[30:31], v[18:19] op_sel:[1,1,0] op_sel_hi:[0,1,1] neg_lo:[1,0,0]
	s_waitcnt vmcnt(16)
	v_pk_fma_f32 v[0:1], v[2:3], v[82:83], v[0:1] op_sel_hi:[1,0,1]
	v_pk_fma_f32 v[22:23], v[24:25], v[48:49], v[22:23] op_sel_hi:[1,0,1]
	v_xor_b32_e32 v26, 0x80000000, v77
	v_pk_fma_f32 v[20:21], v[76:77], v[48:49], v[20:21] op_sel_hi:[1,0,1]
	v_mov_b32_e32 v27, v76
	v_pk_fma_f32 v[20:21], v[26:27], v[48:49], v[20:21] op_sel:[0,1,0]
	v_xor_b32_e32 v26, 0x80000000, v79
	v_pk_fma_f32 v[16:17], v[78:79], v[48:49], v[16:17] op_sel_hi:[1,0,1]
	v_mov_b32_e32 v27, v78
	v_pk_fma_f32 v[16:17], v[26:27], v[48:49], v[16:17] op_sel:[0,1,0]
	v_lshl_add_u64 v[26:27], v[6:7], 3, s[8:9]
	v_xor_b32_e32 v50, 0x80000000, v25
	v_mov_b32_e32 v51, v24
	v_lshl_add_u64 v[24:25], v[4:5], 3, s[8:9]
	global_load_dwordx2 v[40:41], v[26:27], off
	global_load_dwordx2 v[46:47], v[24:25], off
	v_pk_fma_f32 v[22:23], v[50:51], v[48:49], v[22:23] op_sel:[0,1,0]
	v_xor_b32_e32 v24, 0x80000000, v53
	v_pk_fma_f32 v[22:23], v[52:53], v[30:31], v[22:23] op_sel_hi:[1,0,1]
	v_mov_b32_e32 v25, v52
	v_pk_fma_f32 v[18:19], v[24:25], v[30:31], v[22:23] op_sel:[0,1,0]
	v_xor_b32_e32 v22, 0x80000000, v55
	v_pk_fma_f32 v[20:21], v[54:55], v[30:31], v[20:21] op_sel_hi:[1,0,1]
	v_mov_b32_e32 v23, v54
	;; [unrolled: 4-line block ×3, first 2 shown]
	v_xor_b32_e32 v26, 0x80000000, v3
	v_mov_b32_e32 v27, v2
	v_pk_fma_f32 v[2:3], v[22:23], v[30:31], v[16:17] op_sel:[0,1,0]
	s_waitcnt vmcnt(17)
	v_xor_b32_e32 v16, 0x80000000, v85
	v_pk_fma_f32 v[18:19], v[84:85], v[82:83], v[18:19] op_sel_hi:[1,0,1]
	v_mov_b32_e32 v17, v84
	v_pk_fma_f32 v[0:1], v[26:27], v[82:83], v[0:1] op_sel:[0,1,0]
	v_pk_fma_f32 v[16:17], v[16:17], v[82:83], v[18:19] op_sel:[0,1,0]
	s_waitcnt vmcnt(16)
	v_xor_b32_e32 v18, 0x80000000, v87
	v_pk_fma_f32 v[20:21], v[86:87], v[82:83], v[20:21] op_sel_hi:[1,0,1]
	v_mov_b32_e32 v19, v86
	v_pk_fma_f32 v[18:19], v[18:19], v[82:83], v[20:21] op_sel:[0,1,0]
	s_waitcnt vmcnt(15)
	v_xor_b32_e32 v20, 0x80000000, v89
	v_mov_b32_e32 v21, v88
	s_waitcnt vmcnt(13)
	v_pk_fma_f32 v[0:1], v[88:89], v[92:93], v[0:1] op_sel_hi:[1,0,1]
	s_waitcnt vmcnt(12)
	v_pk_fma_f32 v[16:17], v[94:95], v[92:93], v[16:17] op_sel_hi:[1,0,1]
	v_pk_fma_f32 v[0:1], v[20:21], v[92:93], v[0:1] op_sel:[0,1,0]
	v_xor_b32_e32 v20, 0x80000000, v95
	v_mov_b32_e32 v21, v94
	v_xor_b32_e32 v22, 0x80000000, v91
	v_pk_fma_f32 v[2:3], v[90:91], v[82:83], v[2:3] op_sel_hi:[1,0,1]
	v_mov_b32_e32 v23, v90
	v_pk_fma_f32 v[16:17], v[20:21], v[92:93], v[16:17] op_sel:[0,1,0]
	s_waitcnt vmcnt(11)
	v_xor_b32_e32 v20, 0x80000000, v97
	v_pk_fma_f32 v[18:19], v[96:97], v[92:93], v[18:19] op_sel_hi:[1,0,1]
	v_mov_b32_e32 v21, v96
	v_pk_fma_f32 v[2:3], v[22:23], v[82:83], v[2:3] op_sel:[0,1,0]
	v_pk_fma_f32 v[18:19], v[20:21], v[92:93], v[18:19] op_sel:[0,1,0]
	s_waitcnt vmcnt(10)
	v_xor_b32_e32 v20, 0x80000000, v99
	v_mov_b32_e32 v21, v98
	s_waitcnt vmcnt(8)
	v_pk_fma_f32 v[0:1], v[98:99], v[102:103], v[0:1] op_sel_hi:[1,0,1]
	v_xor_b32_e32 v22, 0x80000000, v101
	v_pk_fma_f32 v[2:3], v[100:101], v[92:93], v[2:3] op_sel_hi:[1,0,1]
	v_mov_b32_e32 v23, v100
	v_pk_fma_f32 v[0:1], v[20:21], v[102:103], v[0:1] op_sel:[0,1,0]
	s_waitcnt vmcnt(7)
	v_xor_b32_e32 v20, 0x80000000, v35
	v_pk_fma_f32 v[16:17], v[34:35], v[102:103], v[16:17] op_sel_hi:[1,0,1]
	v_mov_b32_e32 v21, v34
	v_pk_fma_f32 v[2:3], v[22:23], v[92:93], v[2:3] op_sel:[0,1,0]
	v_pk_fma_f32 v[16:17], v[20:21], v[102:103], v[16:17] op_sel:[0,1,0]
	s_waitcnt vmcnt(6)
	v_xor_b32_e32 v20, 0x80000000, v37
	v_pk_fma_f32 v[18:19], v[36:37], v[102:103], v[18:19] op_sel_hi:[1,0,1]
	v_mov_b32_e32 v21, v36
	v_pk_fma_f32 v[20:21], v[20:21], v[102:103], v[18:19] op_sel:[0,1,0]
	s_waitcnt vmcnt(5)
	v_xor_b32_e32 v18, 0x80000000, v39
	v_mov_b32_e32 v19, v38
	s_waitcnt vmcnt(4)
	v_xor_b32_e32 v22, 0x80000000, v43
	v_pk_fma_f32 v[2:3], v[42:43], v[102:103], v[2:3] op_sel_hi:[1,0,1]
	v_mov_b32_e32 v23, v42
	s_waitcnt vmcnt(3)
	v_pk_fma_f32 v[0:1], v[38:39], v[44:45], v[0:1] op_sel_hi:[1,0,1]
	v_pk_fma_f32 v[2:3], v[22:23], v[102:103], v[2:3] op_sel:[0,1,0]
	v_pk_fma_f32 v[18:19], v[18:19], v[44:45], v[0:1] op_sel:[0,1,0]
	s_waitcnt vmcnt(2)
	v_xor_b32_e32 v0, 0x80000000, v29
	v_pk_fma_f32 v[16:17], v[28:29], v[44:45], v[16:17] op_sel_hi:[1,0,1]
	v_mov_b32_e32 v1, v28
	v_pk_fma_f32 v[22:23], v[0:1], v[44:45], v[16:17] op_sel:[0,1,0]
	v_add_u32_e32 v4, 0x700, v4
	s_waitcnt vmcnt(1)
	v_xor_b32_e32 v0, 0x80000000, v41
	v_pk_fma_f32 v[16:17], v[40:41], v[44:45], v[20:21] op_sel_hi:[1,0,1]
	v_mov_b32_e32 v1, v40
	s_waitcnt vmcnt(0)
	v_xor_b32_e32 v24, 0x80000000, v47
	v_pk_fma_f32 v[2:3], v[46:47], v[44:45], v[2:3] op_sel_hi:[1,0,1]
	v_mov_b32_e32 v25, v46
	v_pk_fma_f32 v[20:21], v[0:1], v[44:45], v[16:17] op_sel:[0,1,0]
	v_pk_fma_f32 v[16:17], v[24:25], v[44:45], v[2:3] op_sel:[0,1,0]
	s_andn2_b64 exec, exec, s[2:3]
	s_cbranch_execnz .LBB103_11
; %bb.12:
	s_or_b64 exec, exec, s[2:3]
.LBB103_13:
	s_or_b64 exec, exec, s[4:5]
.LBB103_14:
	v_mov_b32_dpp v6, v23 row_shr:1 row_mask:0xf bank_mask:0xf
	v_add_f32_e32 v6, v23, v6
	v_mov_b32_dpp v0, v18 row_shr:1 row_mask:0xf bank_mask:0xf
	v_add_f32_e32 v0, v18, v0
	;; [unrolled: 2-line block ×3, first 2 shown]
	v_mov_b32_dpp v2, v19 row_shr:1 row_mask:0xf bank_mask:0xf
	v_mov_b32_dpp v4, v22 row_shr:1 row_mask:0xf bank_mask:0xf
	;; [unrolled: 1-line block ×3, first 2 shown]
	v_add_f32_e32 v6, v6, v7
	v_add_f32_e32 v2, v19, v2
	;; [unrolled: 1-line block ×3, first 2 shown]
	v_mov_b32_dpp v7, v6 row_shr:8 row_mask:0xf bank_mask:0xc
	v_add_f32_e32 v6, v6, v7
	v_mov_b32_dpp v1, v0 row_shr:2 row_mask:0xf bank_mask:0xf
	v_mov_b32_dpp v3, v2 row_shr:2 row_mask:0xf bank_mask:0xf
	v_mov_b32_dpp v7, v6 row_bcast:15 row_mask:0xa bank_mask:0xf
	v_add_f32_e32 v7, v6, v7
	v_mov_b32_dpp v6, v20 row_shr:1 row_mask:0xf bank_mask:0xf
	v_add_f32_e32 v6, v20, v6
	v_mov_b32_dpp v5, v4 row_shr:2 row_mask:0xf bank_mask:0xf
	;; [unrolled: 2-line block ×3, first 2 shown]
	v_add_f32_e32 v6, v6, v15
	v_add_f32_e32 v2, v2, v3
	;; [unrolled: 1-line block ×3, first 2 shown]
	v_mov_b32_dpp v15, v6 row_shr:4 row_mask:0xf bank_mask:0xe
	v_add_f32_e32 v6, v6, v15
	v_mov_b32_dpp v1, v0 row_shr:4 row_mask:0xf bank_mask:0xe
	v_mov_b32_dpp v3, v2 row_shr:4 row_mask:0xf bank_mask:0xe
	;; [unrolled: 1-line block ×3, first 2 shown]
	v_add_f32_e32 v6, v6, v15
	v_mov_b32_dpp v5, v4 row_shr:4 row_mask:0xf bank_mask:0xe
	v_add_f32_e32 v0, v0, v1
	v_mov_b32_dpp v15, v6 row_bcast:15 row_mask:0xa bank_mask:0xf
	v_add_f32_e32 v15, v6, v15
	v_mov_b32_dpp v6, v21 row_shr:1 row_mask:0xf bank_mask:0xf
	v_add_f32_e32 v6, v21, v6
	v_add_f32_e32 v2, v2, v3
	;; [unrolled: 1-line block ×3, first 2 shown]
	v_mov_b32_dpp v18, v6 row_shr:2 row_mask:0xf bank_mask:0xf
	v_add_f32_e32 v6, v6, v18
	v_mov_b32_dpp v1, v0 row_shr:8 row_mask:0xf bank_mask:0xc
	v_mov_b32_dpp v3, v2 row_shr:8 row_mask:0xf bank_mask:0xc
	;; [unrolled: 1-line block ×3, first 2 shown]
	v_add_f32_e32 v6, v6, v18
	v_mov_b32_dpp v5, v4 row_shr:8 row_mask:0xf bank_mask:0xc
	v_add_f32_e32 v0, v0, v1
	v_mov_b32_dpp v18, v6 row_shr:8 row_mask:0xf bank_mask:0xc
	v_add_f32_e32 v6, v6, v18
	v_add_f32_e32 v2, v2, v3
	;; [unrolled: 1-line block ×3, first 2 shown]
	v_mov_b32_dpp v18, v6 row_bcast:15 row_mask:0xa bank_mask:0xf
	v_add_f32_e32 v21, v6, v18
	v_mov_b32_dpp v6, v16 row_shr:1 row_mask:0xf bank_mask:0xf
	v_add_f32_e32 v6, v16, v6
	v_mov_b32_dpp v1, v0 row_bcast:15 row_mask:0xa bank_mask:0xf
	v_mov_b32_dpp v3, v2 row_bcast:15 row_mask:0xa bank_mask:0xf
	v_mov_b32_dpp v16, v6 row_shr:2 row_mask:0xf bank_mask:0xf
	v_add_f32_e32 v6, v6, v16
	v_mov_b32_dpp v5, v4 row_bcast:15 row_mask:0xa bank_mask:0xf
	v_add_f32_e32 v0, v0, v1
	v_mov_b32_dpp v16, v6 row_shr:4 row_mask:0xf bank_mask:0xe
	v_add_f32_e32 v6, v6, v16
	v_add_f32_e32 v2, v2, v3
	;; [unrolled: 1-line block ×3, first 2 shown]
	v_mov_b32_dpp v16, v6 row_shr:8 row_mask:0xf bank_mask:0xc
	v_add_f32_e32 v6, v6, v16
	v_mov_b32_dpp v1, v0 row_bcast:31 row_mask:0xc bank_mask:0xf
	v_mov_b32_dpp v3, v2 row_bcast:31 row_mask:0xc bank_mask:0xf
	;; [unrolled: 1-line block ×3, first 2 shown]
	v_add_f32_e32 v23, v6, v16
	v_mov_b32_dpp v6, v17 row_shr:1 row_mask:0xf bank_mask:0xf
	v_add_f32_e32 v6, v17, v6
	v_mov_b32_dpp v5, v4 row_bcast:31 row_mask:0xc bank_mask:0xf
	v_mov_b32_dpp v14, v7 row_bcast:31 row_mask:0xc bank_mask:0xf
	v_mov_b32_dpp v16, v6 row_shr:2 row_mask:0xf bank_mask:0xf
	v_add_f32_e32 v6, v6, v16
	v_mov_b32_dpp v19, v15 row_bcast:31 row_mask:0xc bank_mask:0xf
	v_mov_b32_dpp v22, v21 row_bcast:31 row_mask:0xc bank_mask:0xf
	v_mov_b32_dpp v16, v6 row_shr:4 row_mask:0xf bank_mask:0xe
	v_add_f32_e32 v6, v6, v16
	v_mov_b32_dpp v24, v23 row_bcast:31 row_mask:0xc bank_mask:0xf
	v_cmp_eq_u32_e32 vcc, 63, v13
	v_mov_b32_dpp v16, v6 row_shr:8 row_mask:0xf bank_mask:0xc
	v_add_f32_e32 v6, v6, v16
	s_nop 1
	v_mov_b32_dpp v16, v6 row_bcast:15 row_mask:0xa bank_mask:0xf
	v_add_f32_e32 v17, v6, v16
	s_nop 1
	v_mov_b32_dpp v25, v17 row_bcast:31 row_mask:0xc bank_mask:0xf
	s_and_b64 exec, exec, vcc
	s_cbranch_execz .LBB103_19
; %bb.15:
	s_load_dwordx2 s[2:3], s[0:1], 0x38
	v_cmp_eq_f32_e32 vcc, 0, v10
	v_cmp_eq_f32_e64 s[0:1], 0, v11
	v_add_f32_e32 v6, v0, v1
	v_add_f32_e32 v20, v2, v3
	;; [unrolled: 1-line block ×8, first 2 shown]
	s_and_b64 s[0:1], vcc, s[0:1]
	s_and_saveexec_b64 s[4:5], s[0:1]
	s_xor_b64 s[0:1], exec, s[4:5]
	s_cbranch_execz .LBB103_17
; %bb.16:
	v_lshlrev_b32_e32 v10, 2, v12
	v_xor_b32_e32 v22, 0x80000000, v9
	v_ashrrev_i32_e32 v11, 31, v10
	v_mov_b32_e32 v23, v8
	s_waitcnt lgkmcnt(0)
	v_lshl_add_u64 v[24:25], v[10:11], 3, s[2:3]
	v_pk_mul_f32 v[10:11], v[20:21], v[22:23] op_sel_hi:[0,1]
	v_pk_fma_f32 v[10:11], v[8:9], v[6:7], v[10:11] op_sel_hi:[1,0,1]
	v_pk_mul_f32 v[6:7], v[18:19], v[22:23] op_sel_hi:[0,1]
	v_pk_fma_f32 v[12:13], v[8:9], v[4:5], v[6:7] op_sel_hi:[1,0,1]
	v_pk_mul_f32 v[4:5], v[16:17], v[22:23] op_sel_hi:[0,1]
	v_pk_fma_f32 v[2:3], v[8:9], v[2:3], v[4:5] op_sel_hi:[1,0,1]
	v_pk_mul_f32 v[4:5], v[14:15], v[22:23] op_sel_hi:[0,1]
	v_pk_fma_f32 v[4:5], v[8:9], v[0:1], v[4:5] op_sel_hi:[1,0,1]
	global_store_dwordx4 v[24:25], v[10:13], off
	global_store_dwordx4 v[24:25], v[2:5], off offset:16
                                        ; implicit-def: $vgpr12
                                        ; implicit-def: $vgpr6
                                        ; implicit-def: $vgpr20
                                        ; implicit-def: $vgpr4
                                        ; implicit-def: $vgpr18
                                        ; implicit-def: $vgpr2
                                        ; implicit-def: $vgpr16
                                        ; implicit-def: $vgpr0
                                        ; implicit-def: $vgpr14
                                        ; implicit-def: $vgpr8_vgpr9
                                        ; implicit-def: $vgpr10_vgpr11
.LBB103_17:
	s_andn2_saveexec_b64 s[0:1], s[0:1]
	s_cbranch_execz .LBB103_19
; %bb.18:
	v_lshlrev_b32_e32 v12, 2, v12
	v_ashrrev_i32_e32 v13, 31, v12
	s_waitcnt lgkmcnt(0)
	v_lshl_add_u64 v[12:13], v[12:13], 3, s[2:3]
	global_load_dwordx4 v[22:25], v[12:13], off
	global_load_dwordx4 v[26:29], v[12:13], off offset:16
	v_xor_b32_e32 v30, 0x80000000, v9
	v_mov_b32_e32 v31, v8
	v_pk_mul_f32 v[20:21], v[20:21], v[30:31] op_sel_hi:[0,1]
	v_pk_mul_f32 v[18:19], v[18:19], v[30:31] op_sel_hi:[0,1]
	v_pk_mul_f32 v[16:17], v[16:17], v[30:31] op_sel_hi:[0,1]
	v_pk_mul_f32 v[14:15], v[14:15], v[30:31] op_sel_hi:[0,1]
	v_pk_fma_f32 v[6:7], v[8:9], v[6:7], v[20:21] op_sel_hi:[1,0,1]
	v_pk_fma_f32 v[4:5], v[8:9], v[4:5], v[18:19] op_sel_hi:[1,0,1]
	v_xor_b32_e32 v32, 0x80000000, v11
	v_mov_b32_e32 v33, v10
	v_pk_fma_f32 v[2:3], v[8:9], v[2:3], v[16:17] op_sel_hi:[1,0,1]
	v_pk_fma_f32 v[0:1], v[8:9], v[0:1], v[14:15] op_sel_hi:[1,0,1]
	s_waitcnt vmcnt(1)
	v_pk_fma_f32 v[6:7], v[10:11], v[22:23], v[6:7] op_sel_hi:[1,0,1]
	v_pk_fma_f32 v[4:5], v[10:11], v[24:25], v[4:5] op_sel_hi:[1,0,1]
	v_mov_b32_e32 v8, v25
	s_waitcnt vmcnt(0)
	v_pk_fma_f32 v[14:15], v[10:11], v[26:27], v[2:3] op_sel_hi:[1,0,1]
	v_pk_fma_f32 v[10:11], v[10:11], v[28:29], v[0:1] op_sel_hi:[1,0,1]
	v_mov_b32_e32 v16, v29
	v_pk_fma_f32 v[0:1], v[32:33], v[22:23], v[6:7] op_sel:[0,1,0]
	v_pk_fma_f32 v[2:3], v[32:33], v[8:9], v[4:5] op_sel_hi:[1,0,1]
	v_pk_fma_f32 v[4:5], v[32:33], v[26:27], v[14:15] op_sel:[0,1,0]
	v_pk_fma_f32 v[6:7], v[32:33], v[16:17], v[10:11] op_sel_hi:[1,0,1]
	global_store_dwordx4 v[12:13], v[0:3], off
	global_store_dwordx4 v[12:13], v[4:7], off offset:16
.LBB103_19:
	s_endpgm
	.section	.rodata,"a",@progbits
	.p2align	6, 0x0
	.amdhsa_kernel _ZN9rocsparseL19gebsrmvn_4xn_kernelILj128ELj7ELj64E21rocsparse_complex_numIfEEEvi20rocsparse_direction_NS_24const_host_device_scalarIT2_EEPKiS8_PKS5_SA_S6_PS5_21rocsparse_index_base_b
		.amdhsa_group_segment_fixed_size 0
		.amdhsa_private_segment_fixed_size 0
		.amdhsa_kernarg_size 72
		.amdhsa_user_sgpr_count 2
		.amdhsa_user_sgpr_dispatch_ptr 0
		.amdhsa_user_sgpr_queue_ptr 0
		.amdhsa_user_sgpr_kernarg_segment_ptr 1
		.amdhsa_user_sgpr_dispatch_id 0
		.amdhsa_user_sgpr_kernarg_preload_length 0
		.amdhsa_user_sgpr_kernarg_preload_offset 0
		.amdhsa_user_sgpr_private_segment_size 0
		.amdhsa_uses_dynamic_stack 0
		.amdhsa_enable_private_segment 0
		.amdhsa_system_sgpr_workgroup_id_x 1
		.amdhsa_system_sgpr_workgroup_id_y 0
		.amdhsa_system_sgpr_workgroup_id_z 0
		.amdhsa_system_sgpr_workgroup_info 0
		.amdhsa_system_vgpr_workitem_id 0
		.amdhsa_next_free_vgpr 104
		.amdhsa_next_free_sgpr 16
		.amdhsa_accum_offset 104
		.amdhsa_reserve_vcc 1
		.amdhsa_float_round_mode_32 0
		.amdhsa_float_round_mode_16_64 0
		.amdhsa_float_denorm_mode_32 3
		.amdhsa_float_denorm_mode_16_64 3
		.amdhsa_dx10_clamp 1
		.amdhsa_ieee_mode 1
		.amdhsa_fp16_overflow 0
		.amdhsa_tg_split 0
		.amdhsa_exception_fp_ieee_invalid_op 0
		.amdhsa_exception_fp_denorm_src 0
		.amdhsa_exception_fp_ieee_div_zero 0
		.amdhsa_exception_fp_ieee_overflow 0
		.amdhsa_exception_fp_ieee_underflow 0
		.amdhsa_exception_fp_ieee_inexact 0
		.amdhsa_exception_int_div_zero 0
	.end_amdhsa_kernel
	.section	.text._ZN9rocsparseL19gebsrmvn_4xn_kernelILj128ELj7ELj64E21rocsparse_complex_numIfEEEvi20rocsparse_direction_NS_24const_host_device_scalarIT2_EEPKiS8_PKS5_SA_S6_PS5_21rocsparse_index_base_b,"axG",@progbits,_ZN9rocsparseL19gebsrmvn_4xn_kernelILj128ELj7ELj64E21rocsparse_complex_numIfEEEvi20rocsparse_direction_NS_24const_host_device_scalarIT2_EEPKiS8_PKS5_SA_S6_PS5_21rocsparse_index_base_b,comdat
.Lfunc_end103:
	.size	_ZN9rocsparseL19gebsrmvn_4xn_kernelILj128ELj7ELj64E21rocsparse_complex_numIfEEEvi20rocsparse_direction_NS_24const_host_device_scalarIT2_EEPKiS8_PKS5_SA_S6_PS5_21rocsparse_index_base_b, .Lfunc_end103-_ZN9rocsparseL19gebsrmvn_4xn_kernelILj128ELj7ELj64E21rocsparse_complex_numIfEEEvi20rocsparse_direction_NS_24const_host_device_scalarIT2_EEPKiS8_PKS5_SA_S6_PS5_21rocsparse_index_base_b
                                        ; -- End function
	.set _ZN9rocsparseL19gebsrmvn_4xn_kernelILj128ELj7ELj64E21rocsparse_complex_numIfEEEvi20rocsparse_direction_NS_24const_host_device_scalarIT2_EEPKiS8_PKS5_SA_S6_PS5_21rocsparse_index_base_b.num_vgpr, 104
	.set _ZN9rocsparseL19gebsrmvn_4xn_kernelILj128ELj7ELj64E21rocsparse_complex_numIfEEEvi20rocsparse_direction_NS_24const_host_device_scalarIT2_EEPKiS8_PKS5_SA_S6_PS5_21rocsparse_index_base_b.num_agpr, 0
	.set _ZN9rocsparseL19gebsrmvn_4xn_kernelILj128ELj7ELj64E21rocsparse_complex_numIfEEEvi20rocsparse_direction_NS_24const_host_device_scalarIT2_EEPKiS8_PKS5_SA_S6_PS5_21rocsparse_index_base_b.numbered_sgpr, 16
	.set _ZN9rocsparseL19gebsrmvn_4xn_kernelILj128ELj7ELj64E21rocsparse_complex_numIfEEEvi20rocsparse_direction_NS_24const_host_device_scalarIT2_EEPKiS8_PKS5_SA_S6_PS5_21rocsparse_index_base_b.num_named_barrier, 0
	.set _ZN9rocsparseL19gebsrmvn_4xn_kernelILj128ELj7ELj64E21rocsparse_complex_numIfEEEvi20rocsparse_direction_NS_24const_host_device_scalarIT2_EEPKiS8_PKS5_SA_S6_PS5_21rocsparse_index_base_b.private_seg_size, 0
	.set _ZN9rocsparseL19gebsrmvn_4xn_kernelILj128ELj7ELj64E21rocsparse_complex_numIfEEEvi20rocsparse_direction_NS_24const_host_device_scalarIT2_EEPKiS8_PKS5_SA_S6_PS5_21rocsparse_index_base_b.uses_vcc, 1
	.set _ZN9rocsparseL19gebsrmvn_4xn_kernelILj128ELj7ELj64E21rocsparse_complex_numIfEEEvi20rocsparse_direction_NS_24const_host_device_scalarIT2_EEPKiS8_PKS5_SA_S6_PS5_21rocsparse_index_base_b.uses_flat_scratch, 0
	.set _ZN9rocsparseL19gebsrmvn_4xn_kernelILj128ELj7ELj64E21rocsparse_complex_numIfEEEvi20rocsparse_direction_NS_24const_host_device_scalarIT2_EEPKiS8_PKS5_SA_S6_PS5_21rocsparse_index_base_b.has_dyn_sized_stack, 0
	.set _ZN9rocsparseL19gebsrmvn_4xn_kernelILj128ELj7ELj64E21rocsparse_complex_numIfEEEvi20rocsparse_direction_NS_24const_host_device_scalarIT2_EEPKiS8_PKS5_SA_S6_PS5_21rocsparse_index_base_b.has_recursion, 0
	.set _ZN9rocsparseL19gebsrmvn_4xn_kernelILj128ELj7ELj64E21rocsparse_complex_numIfEEEvi20rocsparse_direction_NS_24const_host_device_scalarIT2_EEPKiS8_PKS5_SA_S6_PS5_21rocsparse_index_base_b.has_indirect_call, 0
	.section	.AMDGPU.csdata,"",@progbits
; Kernel info:
; codeLenInByte = 4136
; TotalNumSgprs: 22
; NumVgprs: 104
; NumAgprs: 0
; TotalNumVgprs: 104
; ScratchSize: 0
; MemoryBound: 0
; FloatMode: 240
; IeeeMode: 1
; LDSByteSize: 0 bytes/workgroup (compile time only)
; SGPRBlocks: 2
; VGPRBlocks: 12
; NumSGPRsForWavesPerEU: 22
; NumVGPRsForWavesPerEU: 104
; AccumOffset: 104
; Occupancy: 4
; WaveLimiterHint : 1
; COMPUTE_PGM_RSRC2:SCRATCH_EN: 0
; COMPUTE_PGM_RSRC2:USER_SGPR: 2
; COMPUTE_PGM_RSRC2:TRAP_HANDLER: 0
; COMPUTE_PGM_RSRC2:TGID_X_EN: 1
; COMPUTE_PGM_RSRC2:TGID_Y_EN: 0
; COMPUTE_PGM_RSRC2:TGID_Z_EN: 0
; COMPUTE_PGM_RSRC2:TIDIG_COMP_CNT: 0
; COMPUTE_PGM_RSRC3_GFX90A:ACCUM_OFFSET: 25
; COMPUTE_PGM_RSRC3_GFX90A:TG_SPLIT: 0
	.section	.text._ZN9rocsparseL19gebsrmvn_4xn_kernelILj128ELj8ELj4E21rocsparse_complex_numIfEEEvi20rocsparse_direction_NS_24const_host_device_scalarIT2_EEPKiS8_PKS5_SA_S6_PS5_21rocsparse_index_base_b,"axG",@progbits,_ZN9rocsparseL19gebsrmvn_4xn_kernelILj128ELj8ELj4E21rocsparse_complex_numIfEEEvi20rocsparse_direction_NS_24const_host_device_scalarIT2_EEPKiS8_PKS5_SA_S6_PS5_21rocsparse_index_base_b,comdat
	.globl	_ZN9rocsparseL19gebsrmvn_4xn_kernelILj128ELj8ELj4E21rocsparse_complex_numIfEEEvi20rocsparse_direction_NS_24const_host_device_scalarIT2_EEPKiS8_PKS5_SA_S6_PS5_21rocsparse_index_base_b ; -- Begin function _ZN9rocsparseL19gebsrmvn_4xn_kernelILj128ELj8ELj4E21rocsparse_complex_numIfEEEvi20rocsparse_direction_NS_24const_host_device_scalarIT2_EEPKiS8_PKS5_SA_S6_PS5_21rocsparse_index_base_b
	.p2align	8
	.type	_ZN9rocsparseL19gebsrmvn_4xn_kernelILj128ELj8ELj4E21rocsparse_complex_numIfEEEvi20rocsparse_direction_NS_24const_host_device_scalarIT2_EEPKiS8_PKS5_SA_S6_PS5_21rocsparse_index_base_b,@function
_ZN9rocsparseL19gebsrmvn_4xn_kernelILj128ELj8ELj4E21rocsparse_complex_numIfEEEvi20rocsparse_direction_NS_24const_host_device_scalarIT2_EEPKiS8_PKS5_SA_S6_PS5_21rocsparse_index_base_b: ; @_ZN9rocsparseL19gebsrmvn_4xn_kernelILj128ELj8ELj4E21rocsparse_complex_numIfEEEvi20rocsparse_direction_NS_24const_host_device_scalarIT2_EEPKiS8_PKS5_SA_S6_PS5_21rocsparse_index_base_b
; %bb.0:
	s_load_dwordx2 s[4:5], s[0:1], 0x8
	s_load_dwordx2 s[6:7], s[0:1], 0x30
	;; [unrolled: 1-line block ×3, first 2 shown]
	s_add_u32 s3, s0, 8
	s_addc_u32 s8, s1, 0
	s_add_u32 s9, s0, 48
	s_addc_u32 s10, s1, 0
	s_waitcnt lgkmcnt(0)
	s_bitcmp1_b32 s13, 0
	s_cselect_b32 s3, s3, s4
	s_cselect_b32 s5, s8, s5
	v_mov_b32_e32 v2, s3
	s_cselect_b32 s3, s10, s7
	s_cselect_b32 s4, s9, s6
	v_mov_b32_e32 v3, s5
	v_mov_b32_e32 v4, s4
	;; [unrolled: 1-line block ×3, first 2 shown]
	flat_load_dwordx2 v[28:29], v[2:3]
	flat_load_dwordx2 v[30:31], v[4:5]
	s_waitcnt vmcnt(0) lgkmcnt(0)
	v_cmp_eq_f32_e32 vcc, 0, v28
	v_cmp_eq_f32_e64 s[4:5], 0, v29
	v_cmp_eq_f32_e64 s[6:7], 1.0, v30
	v_cmp_eq_f32_e64 s[8:9], 0, v31
	s_and_b64 s[4:5], vcc, s[4:5]
	s_and_b64 s[6:7], s[6:7], s[8:9]
	s_and_b64 s[4:5], s[4:5], s[6:7]
	s_xor_b64 s[4:5], s[4:5], -1
	s_and_saveexec_b64 s[6:7], s[4:5]
	s_cbranch_execz .LBB104_19
; %bb.1:
	s_load_dwordx2 s[14:15], s[0:1], 0x0
	v_lshrrev_b32_e32 v1, 2, v0
	v_lshl_or_b32 v32, s2, 5, v1
	s_waitcnt lgkmcnt(0)
	v_cmp_gt_i32_e32 vcc, s14, v32
	s_and_b64 exec, exec, vcc
	s_cbranch_execz .LBB104_19
; %bb.2:
	s_load_dwordx8 s[4:11], s[0:1], 0x10
	v_ashrrev_i32_e32 v33, 31, v32
	s_cmp_lg_u32 s15, 0
	s_waitcnt lgkmcnt(0)
	v_lshl_add_u64 v[2:3], v[32:33], 2, s[4:5]
	global_load_dwordx2 v[2:3], v[2:3], off
	v_and_b32_e32 v33, 3, v0
	s_waitcnt vmcnt(0)
	v_subrev_u32_e32 v0, s12, v2
	v_subrev_u32_e32 v50, s12, v3
	v_add_u32_e32 v34, v0, v33
	v_cmp_lt_i32_e64 s[2:3], v34, v50
	s_cbranch_scc0 .LBB104_8
; %bb.3:
	v_mov_b32_e32 v41, 0
	v_mov_b32_e32 v40, v41
	;; [unrolled: 1-line block ×8, first 2 shown]
	s_and_saveexec_b64 s[4:5], s[2:3]
	s_cbranch_execz .LBB104_7
; %bb.4:
	v_mov_b32_e32 v45, 0
	v_lshlrev_b32_e32 v44, 5, v34
	s_mov_b64 s[14:15], 0
	v_mov_b32_e32 v46, v34
	v_mov_b32_e32 v36, v45
	;; [unrolled: 1-line block ×9, first 2 shown]
.LBB104_5:                              ; =>This Inner Loop Header: Depth=1
	v_ashrrev_i32_e32 v47, 31, v46
	v_lshl_add_u64 v[48:49], v[44:45], 3, s[8:9]
	v_lshl_add_u64 v[74:75], v[46:47], 2, s[6:7]
	global_load_dwordx4 v[52:55], v[48:49], off offset:48
	global_load_dwordx4 v[56:59], v[48:49], off offset:32
	;; [unrolled: 1-line block ×3, first 2 shown]
	global_load_dwordx4 v[64:67], v[48:49], off
	global_load_dwordx4 v[0:3], v[48:49], off offset:112
	global_load_dwordx4 v[4:7], v[48:49], off offset:96
	;; [unrolled: 1-line block ×8, first 2 shown]
	global_load_dword v35, v[74:75], off
	v_mov_b32_e32 v73, v45
	v_add_u32_e32 v46, 4, v46
	v_cmp_ge_i32_e32 vcc, v46, v50
	v_add_u32_e32 v44, 0x80, v44
	s_or_b64 s[14:15], vcc, s[14:15]
	s_waitcnt vmcnt(9)
	v_xor_b32_e32 v80, 0x80000000, v67
	v_mov_b32_e32 v81, v66
	s_waitcnt vmcnt(5)
	v_xor_b32_e32 v86, 0x80000000, v69
	v_mov_b32_e32 v87, v68
	v_xor_b32_e32 v88, 0x80000000, v71
	v_mov_b32_e32 v89, v70
	s_waitcnt vmcnt(0)
	v_subrev_u32_e32 v35, s12, v35
	v_lshlrev_b32_e32 v72, 3, v35
	v_lshl_add_u64 v[82:83], v[72:73], 3, s[10:11]
	global_load_dwordx4 v[72:75], v[82:83], off
	global_load_dwordx4 v[76:79], v[82:83], off offset:16
	s_waitcnt vmcnt(1)
	v_pk_fma_f32 v[40:41], v[64:65], v[72:73], v[40:41] op_sel_hi:[1,0,1]
	v_pk_fma_f32 v[42:43], v[66:67], v[72:73], v[42:43] op_sel_hi:[1,0,1]
	v_xor_b32_e32 v66, 0x80000000, v63
	v_mov_b32_e32 v67, v62
	v_pk_fma_f32 v[38:39], v[60:61], v[72:73], v[38:39] op_sel_hi:[1,0,1]
	v_pk_fma_f32 v[62:63], v[62:63], v[72:73], v[36:37] op_sel_hi:[1,0,1]
	v_pk_fma_f32 v[64:65], v[64:65], v[72:73], v[40:41] op_sel:[1,1,0] op_sel_hi:[0,1,1] neg_lo:[1,0,0]
	v_pk_fma_f32 v[60:61], v[60:61], v[72:73], v[38:39] op_sel:[1,1,0] op_sel_hi:[0,1,1] neg_lo:[1,0,0]
	v_pk_fma_f32 v[80:81], v[80:81], v[72:73], v[42:43] op_sel:[0,1,0]
	v_pk_fma_f32 v[62:63], v[66:67], v[72:73], v[62:63] op_sel:[0,1,0]
	v_xor_b32_e32 v66, 0x80000000, v59
	v_mov_b32_e32 v67, v58
	v_pk_fma_f32 v[64:65], v[56:57], v[74:75], v[64:65] op_sel_hi:[1,0,1]
	v_pk_fma_f32 v[72:73], v[58:59], v[74:75], v[80:81] op_sel_hi:[1,0,1]
	;; [unrolled: 1-line block ×4, first 2 shown]
	v_mov_b32_e32 v74, v75
	v_pk_fma_f32 v[64:65], v[56:57], v[74:75], v[64:65] op_sel:[1,0,0] op_sel_hi:[0,0,1] neg_lo:[1,0,0]
	v_xor_b32_e32 v80, 0x80000000, v55
	v_mov_b32_e32 v81, v54
	v_pk_fma_f32 v[84:85], v[52:53], v[74:75], v[60:61] op_sel:[1,0,0] op_sel_hi:[0,0,1] neg_lo:[1,0,0]
	v_pk_fma_f32 v[52:53], v[66:67], v[74:75], v[72:73] op_sel_hi:[1,0,1]
	global_load_dwordx4 v[36:39], v[48:49], off offset:224
	global_load_dwordx4 v[40:43], v[48:49], off offset:192
	;; [unrolled: 1-line block ×3, first 2 shown]
	v_pk_fma_f32 v[72:73], v[80:81], v[74:75], v[62:63] op_sel_hi:[1,0,1]
	s_waitcnt vmcnt(3)
	v_pk_fma_f32 v[64:65], v[68:69], v[76:77], v[64:65] op_sel_hi:[1,0,1]
	v_pk_fma_f32 v[68:69], v[70:71], v[76:77], v[52:53] op_sel_hi:[1,0,1]
	global_load_dwordx4 v[52:55], v[82:83], off offset:32
	global_load_dwordx4 v[60:63], v[82:83], off offset:48
	v_xor_b32_e32 v66, 0x80000000, v17
	v_xor_b32_e32 v74, 0x80000000, v19
	v_mov_b32_e32 v67, v16
	v_mov_b32_e32 v75, v18
	v_pk_fma_f32 v[70:71], v[16:17], v[76:77], v[84:85] op_sel_hi:[1,0,1]
	v_pk_fma_f32 v[72:73], v[18:19], v[76:77], v[72:73] op_sel_hi:[1,0,1]
	global_load_dwordx4 v[16:19], v[48:49], off offset:240
	v_pk_fma_f32 v[64:65], v[86:87], v[76:77], v[64:65] op_sel:[0,1,0]
	v_pk_fma_f32 v[68:69], v[88:89], v[76:77], v[68:69] op_sel:[0,1,0]
	v_pk_fma_f32 v[66:67], v[66:67], v[76:77], v[70:71] op_sel:[0,1,0]
	v_pk_fma_f32 v[72:73], v[74:75], v[76:77], v[72:73] op_sel:[0,1,0]
	v_xor_b32_e32 v48, 0x80000000, v7
	v_mov_b32_e32 v49, v6
	v_xor_b32_e32 v80, 0x80000000, v3
	v_mov_b32_e32 v81, v2
	v_pk_fma_f32 v[64:65], v[4:5], v[78:79], v[64:65] op_sel_hi:[1,0,1]
	v_pk_fma_f32 v[6:7], v[6:7], v[78:79], v[68:69] op_sel_hi:[1,0,1]
	;; [unrolled: 1-line block ×4, first 2 shown]
	v_mov_b32_e32 v68, v79
	v_pk_fma_f32 v[4:5], v[4:5], v[68:69], v[64:65] op_sel:[1,0,0] op_sel_hi:[0,0,1] neg_lo:[1,0,0]
	v_pk_fma_f32 v[0:1], v[0:1], v[68:69], v[66:67] op_sel:[1,0,0] op_sel_hi:[0,0,1] neg_lo:[1,0,0]
	v_pk_fma_f32 v[6:7], v[48:49], v[68:69], v[6:7] op_sel_hi:[1,0,1]
	v_pk_fma_f32 v[2:3], v[80:81], v[68:69], v[2:3] op_sel_hi:[1,0,1]
	v_xor_b32_e32 v82, 0x80000000, v27
	v_mov_b32_e32 v83, v26
	v_xor_b32_e32 v64, 0x80000000, v23
	v_mov_b32_e32 v65, v22
	;; [unrolled: 2-line block ×4, first 2 shown]
	s_waitcnt vmcnt(5)
	v_xor_b32_e32 v72, 0x80000000, v39
	s_waitcnt vmcnt(4)
	v_xor_b32_e32 v74, 0x80000000, v43
	v_mov_b32_e32 v75, v42
	s_waitcnt vmcnt(3)
	v_xor_b32_e32 v66, 0x80000000, v59
	v_mov_b32_e32 v67, v58
	s_waitcnt vmcnt(2)
	v_pk_fma_f32 v[4:5], v[24:25], v[52:53], v[4:5] op_sel_hi:[1,0,1]
	v_pk_fma_f32 v[6:7], v[26:27], v[52:53], v[6:7] op_sel_hi:[1,0,1]
	;; [unrolled: 1-line block ×4, first 2 shown]
	v_pk_fma_f32 v[4:5], v[24:25], v[52:53], v[4:5] op_sel:[1,1,0] op_sel_hi:[0,1,1] neg_lo:[1,0,0]
	v_pk_fma_f32 v[0:1], v[20:21], v[52:53], v[0:1] op_sel:[1,1,0] op_sel_hi:[0,1,1] neg_lo:[1,0,0]
	v_pk_fma_f32 v[6:7], v[82:83], v[52:53], v[6:7] op_sel:[0,1,0]
	v_pk_fma_f32 v[2:3], v[64:65], v[52:53], v[2:3] op_sel:[0,1,0]
	v_mov_b32_e32 v48, v55
	v_pk_fma_f32 v[4:5], v[12:13], v[54:55], v[4:5] op_sel_hi:[1,0,1]
	v_pk_fma_f32 v[6:7], v[14:15], v[54:55], v[6:7] op_sel_hi:[1,0,1]
	;; [unrolled: 1-line block ×4, first 2 shown]
	v_pk_fma_f32 v[4:5], v[12:13], v[48:49], v[4:5] op_sel:[1,0,0] op_sel_hi:[0,0,1] neg_lo:[1,0,0]
	v_pk_fma_f32 v[6:7], v[70:71], v[48:49], v[6:7] op_sel_hi:[1,0,1]
	v_pk_fma_f32 v[0:1], v[8:9], v[48:49], v[0:1] op_sel:[1,0,0] op_sel_hi:[0,0,1] neg_lo:[1,0,0]
	v_pk_fma_f32 v[2:3], v[76:77], v[48:49], v[2:3] op_sel_hi:[1,0,1]
	s_waitcnt vmcnt(1)
	v_pk_fma_f32 v[4:5], v[40:41], v[60:61], v[4:5] op_sel_hi:[1,0,1]
	v_pk_fma_f32 v[6:7], v[42:43], v[60:61], v[6:7] op_sel_hi:[1,0,1]
	;; [unrolled: 1-line block ×4, first 2 shown]
	v_pk_fma_f32 v[4:5], v[40:41], v[60:61], v[4:5] op_sel:[1,1,0] op_sel_hi:[0,1,1] neg_lo:[1,0,0]
	v_pk_fma_f32 v[6:7], v[74:75], v[60:61], v[6:7] op_sel:[0,1,0]
	v_pk_fma_f32 v[0:1], v[56:57], v[60:61], v[0:1] op_sel:[1,1,0] op_sel_hi:[0,1,1] neg_lo:[1,0,0]
	v_pk_fma_f32 v[2:3], v[66:67], v[60:61], v[2:3] op_sel:[0,1,0]
	v_mov_b32_e32 v73, v38
	s_waitcnt vmcnt(0)
	v_xor_b32_e32 v78, 0x80000000, v19
	v_mov_b32_e32 v79, v18
	v_mov_b32_e32 v68, v63
	v_pk_fma_f32 v[4:5], v[36:37], v[62:63], v[4:5] op_sel_hi:[1,0,1]
	v_pk_fma_f32 v[6:7], v[38:39], v[62:63], v[6:7] op_sel_hi:[1,0,1]
	;; [unrolled: 1-line block ×4, first 2 shown]
	v_pk_fma_f32 v[40:41], v[36:37], v[68:69], v[4:5] op_sel:[1,0,0] op_sel_hi:[0,0,1] neg_lo:[1,0,0]
	v_pk_fma_f32 v[42:43], v[72:73], v[68:69], v[6:7] op_sel_hi:[1,0,1]
	v_pk_fma_f32 v[38:39], v[16:17], v[68:69], v[0:1] op_sel:[1,0,0] op_sel_hi:[0,0,1] neg_lo:[1,0,0]
	v_pk_fma_f32 v[36:37], v[78:79], v[68:69], v[2:3] op_sel_hi:[1,0,1]
	s_andn2_b64 exec, exec, s[14:15]
	s_cbranch_execnz .LBB104_5
; %bb.6:
	s_or_b64 exec, exec, s[14:15]
.LBB104_7:
	s_or_b64 exec, exec, s[4:5]
	s_cbranch_execz .LBB104_9
	s_branch .LBB104_14
.LBB104_8:
                                        ; implicit-def: $vgpr41
                                        ; implicit-def: $vgpr37
                                        ; implicit-def: $vgpr39
                                        ; implicit-def: $vgpr43
.LBB104_9:
	v_mov_b32_e32 v41, 0
	v_mov_b32_e32 v40, v41
	;; [unrolled: 1-line block ×8, first 2 shown]
	s_and_saveexec_b64 s[4:5], s[2:3]
	s_cbranch_execz .LBB104_13
; %bb.10:
	v_mov_b32_e32 v13, 0
	v_lshlrev_b32_e32 v12, 5, v34
	s_mov_b64 s[2:3], 0
	v_mov_b32_e32 v36, v13
	v_mov_b32_e32 v37, v13
	;; [unrolled: 1-line block ×8, first 2 shown]
.LBB104_11:                             ; =>This Inner Loop Header: Depth=1
	v_ashrrev_i32_e32 v35, 31, v34
	v_lshl_add_u64 v[14:15], v[12:13], 3, s[8:9]
	v_lshl_add_u64 v[64:65], v[34:35], 2, s[6:7]
	global_load_dwordx4 v[4:7], v[14:15], off offset:16
	global_load_dwordx4 v[16:19], v[14:15], off
	global_load_dwordx4 v[20:23], v[14:15], off offset:80
	global_load_dwordx4 v[24:27], v[14:15], off offset:64
	;; [unrolled: 1-line block ×8, first 2 shown]
	global_load_dword v35, v[64:65], off
	v_mov_b32_e32 v49, v13
	v_add_u32_e32 v34, 4, v34
	v_cmp_ge_i32_e32 vcc, v34, v50
	v_add_u32_e32 v12, 0x80, v12
	s_or_b64 s[2:3], vcc, s[2:3]
	s_waitcnt vmcnt(9)
	v_xor_b32_e32 v72, 0x80000000, v19
	v_mov_b32_e32 v73, v18
	s_waitcnt vmcnt(7)
	v_xor_b32_e32 v74, 0x80000000, v27
	v_mov_b32_e32 v75, v26
	;; [unrolled: 3-line block ×3, first 2 shown]
	s_waitcnt vmcnt(0)
	v_subrev_u32_e32 v35, s12, v35
	v_lshlrev_b32_e32 v48, 3, v35
	v_lshl_add_u64 v[48:49], v[48:49], 3, s[10:11]
	global_load_dwordx4 v[64:67], v[48:49], off
	global_load_dwordx4 v[68:71], v[48:49], off offset:16
	s_waitcnt vmcnt(1)
	v_pk_fma_f32 v[40:41], v[16:17], v[64:65], v[40:41] op_sel_hi:[1,0,1]
	s_nop 0
	v_pk_fma_f32 v[16:17], v[16:17], v[64:65], v[40:41] op_sel:[1,1,0] op_sel_hi:[0,1,1] neg_lo:[1,0,0]
	v_pk_fma_f32 v[40:41], v[18:19], v[66:67], v[16:17] op_sel_hi:[1,0,1]
	v_pk_fma_f32 v[16:17], v[24:25], v[64:65], v[42:43] op_sel_hi:[1,0,1]
	s_nop 0
	v_pk_fma_f32 v[16:17], v[24:25], v[64:65], v[16:17] op_sel:[1,1,0] op_sel_hi:[0,1,1] neg_lo:[1,0,0]
	v_pk_fma_f32 v[24:25], v[52:53], v[64:65], v[38:39] op_sel_hi:[1,0,1]
	v_pk_fma_f32 v[42:43], v[26:27], v[66:67], v[16:17] op_sel_hi:[1,0,1]
	v_pk_fma_f32 v[24:25], v[52:53], v[64:65], v[24:25] op_sel:[1,1,0] op_sel_hi:[0,1,1] neg_lo:[1,0,0]
	v_pk_fma_f32 v[52:53], v[54:55], v[66:67], v[24:25] op_sel_hi:[1,0,1]
	v_pk_fma_f32 v[24:25], v[60:61], v[64:65], v[36:37] op_sel_hi:[1,0,1]
	v_mov_b32_e32 v55, v62
	v_pk_fma_f32 v[24:25], v[60:61], v[64:65], v[24:25] op_sel:[1,1,0] op_sel_hi:[0,1,1] neg_lo:[1,0,0]
	v_pk_fma_f32 v[60:61], v[62:63], v[66:67], v[24:25] op_sel_hi:[1,0,1]
	v_mov_b32_e32 v62, v67
	v_xor_b32_e32 v54, 0x80000000, v63
	v_pk_fma_f32 v[64:65], v[72:73], v[62:63], v[40:41] op_sel_hi:[1,0,1]
	v_pk_fma_f32 v[66:67], v[74:75], v[62:63], v[42:43] op_sel_hi:[1,0,1]
	;; [unrolled: 1-line block ×4, first 2 shown]
	v_xor_b32_e32 v62, 0x80000000, v5
	v_mov_b32_e32 v63, v4
	s_waitcnt vmcnt(0)
	v_pk_fma_f32 v[4:5], v[4:5], v[68:69], v[64:65] op_sel_hi:[1,0,1]
	global_load_dwordx4 v[16:19], v[14:15], off offset:112
	global_load_dwordx4 v[24:27], v[14:15], off offset:96
	v_pk_fma_f32 v[4:5], v[62:63], v[68:69], v[4:5] op_sel:[0,1,0]
	global_load_dwordx4 v[36:39], v[14:15], off offset:176
	global_load_dwordx4 v[40:43], v[14:15], off offset:160
	;; [unrolled: 1-line block ×3, first 2 shown]
	v_xor_b32_e32 v62, 0x80000000, v7
	v_mov_b32_e32 v63, v6
	v_pk_fma_f32 v[64:65], v[6:7], v[70:71], v[4:5] op_sel_hi:[1,0,1]
	global_load_dwordx4 v[4:7], v[14:15], off offset:224
	v_xor_b32_e32 v14, 0x80000000, v21
	v_mov_b32_e32 v15, v20
	v_pk_fma_f32 v[20:21], v[20:21], v[68:69], v[66:67] op_sel_hi:[1,0,1]
	v_xor_b32_e32 v66, 0x80000000, v23
	v_pk_fma_f32 v[14:15], v[14:15], v[68:69], v[20:21] op_sel:[0,1,0]
	v_mov_b32_e32 v67, v22
	v_pk_fma_f32 v[14:15], v[22:23], v[70:71], v[14:15] op_sel_hi:[1,0,1]
	v_xor_b32_e32 v20, 0x80000000, v45
	v_mov_b32_e32 v21, v44
	v_pk_fma_f32 v[22:23], v[44:45], v[68:69], v[72:73] op_sel_hi:[1,0,1]
	v_pk_fma_f32 v[44:45], v[56:57], v[68:69], v[60:61] op_sel_hi:[1,0,1]
	v_pk_fma_f32 v[20:21], v[20:21], v[68:69], v[22:23] op_sel:[0,1,0]
	v_xor_b32_e32 v22, 0x80000000, v57
	v_mov_b32_e32 v23, v56
	v_pk_fma_f32 v[44:45], v[22:23], v[68:69], v[44:45] op_sel:[0,1,0]
	v_pk_fma_f32 v[60:61], v[46:47], v[70:71], v[20:21] op_sel_hi:[1,0,1]
	global_load_dwordx4 v[20:23], v[48:49], off offset:32
	v_xor_b32_e32 v74, 0x80000000, v47
	v_mov_b32_e32 v75, v46
	v_xor_b32_e32 v56, 0x80000000, v59
	v_mov_b32_e32 v57, v58
	v_pk_fma_f32 v[58:59], v[58:59], v[70:71], v[44:45] op_sel_hi:[1,0,1]
	global_load_dwordx4 v[44:47], v[48:49], off offset:48
	v_mov_b32_e32 v68, v71
	v_pk_fma_f32 v[14:15], v[66:67], v[68:69], v[14:15] op_sel_hi:[1,0,1]
	v_pk_fma_f32 v[62:63], v[62:63], v[68:69], v[64:65] op_sel_hi:[1,0,1]
	;; [unrolled: 1-line block ×4, first 2 shown]
	v_xor_b32_e32 v48, 0x80000000, v11
	v_mov_b32_e32 v49, v10
	v_xor_b32_e32 v70, 0x80000000, v3
	v_mov_b32_e32 v71, v2
	s_waitcnt vmcnt(7)
	v_xor_b32_e32 v66, 0x80000000, v19
	s_waitcnt vmcnt(6)
	v_xor_b32_e32 v64, 0x80000000, v27
	v_mov_b32_e32 v65, v26
	v_mov_b32_e32 v67, v18
	s_waitcnt vmcnt(4)
	v_xor_b32_e32 v72, 0x80000000, v43
	v_mov_b32_e32 v73, v42
	v_xor_b32_e32 v58, 0x80000000, v39
	v_mov_b32_e32 v59, v38
	s_waitcnt vmcnt(2)
	v_xor_b32_e32 v68, 0x80000000, v7
	v_mov_b32_e32 v69, v6
	s_waitcnt vmcnt(1)
	v_pk_fma_f32 v[14:15], v[24:25], v[20:21], v[14:15] op_sel_hi:[1,0,1]
	s_nop 0
	v_pk_fma_f32 v[14:15], v[24:25], v[20:21], v[14:15] op_sel:[1,1,0] op_sel_hi:[0,1,1] neg_lo:[1,0,0]
	v_pk_fma_f32 v[62:63], v[8:9], v[20:21], v[62:63] op_sel_hi:[1,0,1]
	v_pk_fma_f32 v[14:15], v[26:27], v[22:23], v[14:15] op_sel_hi:[1,0,1]
	;; [unrolled: 1-line block ×4, first 2 shown]
	v_pk_fma_f32 v[8:9], v[8:9], v[20:21], v[62:63] op_sel:[1,1,0] op_sel_hi:[0,1,1] neg_lo:[1,0,0]
	v_pk_fma_f32 v[26:27], v[40:41], v[20:21], v[26:27] op_sel:[1,1,0] op_sel_hi:[0,1,1] neg_lo:[1,0,0]
	;; [unrolled: 1-line block ×3, first 2 shown]
	v_pk_fma_f32 v[8:9], v[10:11], v[22:23], v[8:9] op_sel_hi:[1,0,1]
	v_mov_b32_e32 v62, v23
	v_pk_fma_f32 v[20:21], v[42:43], v[22:23], v[26:27] op_sel_hi:[1,0,1]
	v_pk_fma_f32 v[4:5], v[6:7], v[22:23], v[4:5] op_sel_hi:[1,0,1]
	;; [unrolled: 1-line block ×6, first 2 shown]
	s_waitcnt vmcnt(0)
	v_pk_fma_f32 v[6:7], v[0:1], v[44:45], v[6:7] op_sel_hi:[1,0,1]
	v_pk_fma_f32 v[8:9], v[16:17], v[44:45], v[8:9] op_sel_hi:[1,0,1]
	;; [unrolled: 1-line block ×4, first 2 shown]
	v_pk_fma_f32 v[0:1], v[0:1], v[44:45], v[6:7] op_sel:[1,1,0] op_sel_hi:[0,1,1] neg_lo:[1,0,0]
	v_pk_fma_f32 v[6:7], v[16:17], v[44:45], v[8:9] op_sel:[1,1,0] op_sel_hi:[0,1,1] neg_lo:[1,0,0]
	;; [unrolled: 1-line block ×4, first 2 shown]
	v_xor_b32_e32 v10, 0x80000000, v55
	v_mov_b32_e32 v11, v54
	v_mov_b32_e32 v24, v47
	v_pk_fma_f32 v[0:1], v[2:3], v[46:47], v[0:1] op_sel_hi:[1,0,1]
	v_pk_fma_f32 v[2:3], v[18:19], v[46:47], v[6:7] op_sel_hi:[1,0,1]
	;; [unrolled: 1-line block ×8, first 2 shown]
	s_andn2_b64 exec, exec, s[2:3]
	s_cbranch_execnz .LBB104_11
; %bb.12:
	s_or_b64 exec, exec, s[2:3]
.LBB104_13:
	s_or_b64 exec, exec, s[4:5]
.LBB104_14:
	v_mov_b32_dpp v6, v43 row_shr:1 row_mask:0xf bank_mask:0xf
	v_add_f32_e32 v7, v43, v6
	v_mov_b32_dpp v0, v40 row_shr:1 row_mask:0xf bank_mask:0xf
	v_mov_b32_dpp v6, v38 row_shr:1 row_mask:0xf bank_mask:0xf
	v_add_f32_e32 v9, v38, v6
	v_mov_b32_dpp v2, v41 row_shr:1 row_mask:0xf bank_mask:0xf
	;; [unrolled: 3-line block ×3, first 2 shown]
	v_mov_b32_dpp v6, v36 row_shr:1 row_mask:0xf bank_mask:0xf
	v_add_f32_e32 v15, v36, v6
	v_add_f32_e32 v0, v40, v0
	v_mov_b32_dpp v6, v37 row_shr:1 row_mask:0xf bank_mask:0xf
	v_add_f32_e32 v2, v41, v2
	v_add_f32_e32 v4, v42, v4
	;; [unrolled: 1-line block ×3, first 2 shown]
	v_mov_b32_dpp v1, v0 row_shr:2 row_mask:0xf bank_mask:0xf
	v_mov_b32_dpp v3, v2 row_shr:2 row_mask:0xf bank_mask:0xf
	;; [unrolled: 1-line block ×8, first 2 shown]
	v_cmp_eq_u32_e32 vcc, 3, v33
	s_and_b64 exec, exec, vcc
	s_cbranch_execz .LBB104_19
; %bb.15:
	s_load_dwordx2 s[2:3], s[0:1], 0x38
	v_cmp_eq_f32_e32 vcc, 0, v30
	v_cmp_eq_f32_e64 s[0:1], 0, v31
	v_add_f32_e32 v6, v0, v1
	v_add_f32_e32 v14, v2, v3
	;; [unrolled: 1-line block ×8, first 2 shown]
	s_and_b64 s[0:1], vcc, s[0:1]
	s_and_saveexec_b64 s[4:5], s[0:1]
	s_xor_b64 s[0:1], exec, s[4:5]
	s_cbranch_execz .LBB104_17
; %bb.16:
	v_xor_b32_e32 v18, 0x80000000, v29
	v_mov_b32_e32 v19, v28
	v_lshlrev_b32_e32 v16, 2, v32
	v_pk_mul_f32 v[14:15], v[14:15], v[18:19] op_sel_hi:[0,1]
	v_ashrrev_i32_e32 v17, 31, v16
	v_pk_fma_f32 v[14:15], v[28:29], v[6:7], v[14:15] op_sel_hi:[1,0,1]
	v_pk_mul_f32 v[6:7], v[12:13], v[18:19] op_sel_hi:[0,1]
	s_waitcnt lgkmcnt(0)
	v_lshl_add_u64 v[20:21], v[16:17], 3, s[2:3]
	v_pk_fma_f32 v[16:17], v[28:29], v[4:5], v[6:7] op_sel_hi:[1,0,1]
	v_pk_mul_f32 v[4:5], v[10:11], v[18:19] op_sel_hi:[0,1]
	v_pk_fma_f32 v[2:3], v[28:29], v[2:3], v[4:5] op_sel_hi:[1,0,1]
	v_pk_mul_f32 v[4:5], v[8:9], v[18:19] op_sel_hi:[0,1]
	v_pk_fma_f32 v[4:5], v[28:29], v[0:1], v[4:5] op_sel_hi:[1,0,1]
	global_store_dwordx4 v[20:21], v[14:17], off
	global_store_dwordx4 v[20:21], v[2:5], off offset:16
                                        ; implicit-def: $vgpr32
                                        ; implicit-def: $vgpr6
                                        ; implicit-def: $vgpr14
                                        ; implicit-def: $vgpr4
                                        ; implicit-def: $vgpr12
                                        ; implicit-def: $vgpr2
                                        ; implicit-def: $vgpr10
                                        ; implicit-def: $vgpr0
                                        ; implicit-def: $vgpr8
                                        ; implicit-def: $vgpr28_vgpr29
                                        ; implicit-def: $vgpr30_vgpr31
.LBB104_17:
	s_andn2_saveexec_b64 s[0:1], s[0:1]
	s_cbranch_execz .LBB104_19
; %bb.18:
	v_lshlrev_b32_e32 v16, 2, v32
	v_ashrrev_i32_e32 v17, 31, v16
	s_waitcnt lgkmcnt(0)
	v_lshl_add_u64 v[24:25], v[16:17], 3, s[2:3]
	global_load_dwordx4 v[16:19], v[24:25], off
	global_load_dwordx4 v[20:23], v[24:25], off offset:16
	v_xor_b32_e32 v26, 0x80000000, v29
	v_mov_b32_e32 v27, v28
	v_pk_mul_f32 v[14:15], v[14:15], v[26:27] op_sel_hi:[0,1]
	v_pk_mul_f32 v[12:13], v[12:13], v[26:27] op_sel_hi:[0,1]
	;; [unrolled: 1-line block ×4, first 2 shown]
	v_pk_fma_f32 v[6:7], v[28:29], v[6:7], v[14:15] op_sel_hi:[1,0,1]
	v_pk_fma_f32 v[4:5], v[28:29], v[4:5], v[12:13] op_sel_hi:[1,0,1]
	v_xor_b32_e32 v32, 0x80000000, v31
	v_mov_b32_e32 v33, v30
	v_pk_fma_f32 v[2:3], v[28:29], v[2:3], v[10:11] op_sel_hi:[1,0,1]
	v_pk_fma_f32 v[0:1], v[28:29], v[0:1], v[8:9] op_sel_hi:[1,0,1]
	s_waitcnt vmcnt(1)
	v_pk_fma_f32 v[6:7], v[30:31], v[16:17], v[6:7] op_sel_hi:[1,0,1]
	v_pk_fma_f32 v[4:5], v[30:31], v[18:19], v[4:5] op_sel_hi:[1,0,1]
	v_mov_b32_e32 v8, v19
	s_waitcnt vmcnt(0)
	v_pk_fma_f32 v[10:11], v[30:31], v[20:21], v[2:3] op_sel_hi:[1,0,1]
	v_pk_fma_f32 v[12:13], v[30:31], v[22:23], v[0:1] op_sel_hi:[1,0,1]
	v_mov_b32_e32 v14, v23
	v_pk_fma_f32 v[0:1], v[32:33], v[16:17], v[6:7] op_sel:[0,1,0]
	v_pk_fma_f32 v[2:3], v[32:33], v[8:9], v[4:5] op_sel_hi:[1,0,1]
	v_pk_fma_f32 v[4:5], v[32:33], v[20:21], v[10:11] op_sel:[0,1,0]
	v_pk_fma_f32 v[6:7], v[32:33], v[14:15], v[12:13] op_sel_hi:[1,0,1]
	global_store_dwordx4 v[24:25], v[0:3], off
	global_store_dwordx4 v[24:25], v[4:7], off offset:16
.LBB104_19:
	s_endpgm
	.section	.rodata,"a",@progbits
	.p2align	6, 0x0
	.amdhsa_kernel _ZN9rocsparseL19gebsrmvn_4xn_kernelILj128ELj8ELj4E21rocsparse_complex_numIfEEEvi20rocsparse_direction_NS_24const_host_device_scalarIT2_EEPKiS8_PKS5_SA_S6_PS5_21rocsparse_index_base_b
		.amdhsa_group_segment_fixed_size 0
		.amdhsa_private_segment_fixed_size 0
		.amdhsa_kernarg_size 72
		.amdhsa_user_sgpr_count 2
		.amdhsa_user_sgpr_dispatch_ptr 0
		.amdhsa_user_sgpr_queue_ptr 0
		.amdhsa_user_sgpr_kernarg_segment_ptr 1
		.amdhsa_user_sgpr_dispatch_id 0
		.amdhsa_user_sgpr_kernarg_preload_length 0
		.amdhsa_user_sgpr_kernarg_preload_offset 0
		.amdhsa_user_sgpr_private_segment_size 0
		.amdhsa_uses_dynamic_stack 0
		.amdhsa_enable_private_segment 0
		.amdhsa_system_sgpr_workgroup_id_x 1
		.amdhsa_system_sgpr_workgroup_id_y 0
		.amdhsa_system_sgpr_workgroup_id_z 0
		.amdhsa_system_sgpr_workgroup_info 0
		.amdhsa_system_vgpr_workitem_id 0
		.amdhsa_next_free_vgpr 90
		.amdhsa_next_free_sgpr 16
		.amdhsa_accum_offset 92
		.amdhsa_reserve_vcc 1
		.amdhsa_float_round_mode_32 0
		.amdhsa_float_round_mode_16_64 0
		.amdhsa_float_denorm_mode_32 3
		.amdhsa_float_denorm_mode_16_64 3
		.amdhsa_dx10_clamp 1
		.amdhsa_ieee_mode 1
		.amdhsa_fp16_overflow 0
		.amdhsa_tg_split 0
		.amdhsa_exception_fp_ieee_invalid_op 0
		.amdhsa_exception_fp_denorm_src 0
		.amdhsa_exception_fp_ieee_div_zero 0
		.amdhsa_exception_fp_ieee_overflow 0
		.amdhsa_exception_fp_ieee_underflow 0
		.amdhsa_exception_fp_ieee_inexact 0
		.amdhsa_exception_int_div_zero 0
	.end_amdhsa_kernel
	.section	.text._ZN9rocsparseL19gebsrmvn_4xn_kernelILj128ELj8ELj4E21rocsparse_complex_numIfEEEvi20rocsparse_direction_NS_24const_host_device_scalarIT2_EEPKiS8_PKS5_SA_S6_PS5_21rocsparse_index_base_b,"axG",@progbits,_ZN9rocsparseL19gebsrmvn_4xn_kernelILj128ELj8ELj4E21rocsparse_complex_numIfEEEvi20rocsparse_direction_NS_24const_host_device_scalarIT2_EEPKiS8_PKS5_SA_S6_PS5_21rocsparse_index_base_b,comdat
.Lfunc_end104:
	.size	_ZN9rocsparseL19gebsrmvn_4xn_kernelILj128ELj8ELj4E21rocsparse_complex_numIfEEEvi20rocsparse_direction_NS_24const_host_device_scalarIT2_EEPKiS8_PKS5_SA_S6_PS5_21rocsparse_index_base_b, .Lfunc_end104-_ZN9rocsparseL19gebsrmvn_4xn_kernelILj128ELj8ELj4E21rocsparse_complex_numIfEEEvi20rocsparse_direction_NS_24const_host_device_scalarIT2_EEPKiS8_PKS5_SA_S6_PS5_21rocsparse_index_base_b
                                        ; -- End function
	.set _ZN9rocsparseL19gebsrmvn_4xn_kernelILj128ELj8ELj4E21rocsparse_complex_numIfEEEvi20rocsparse_direction_NS_24const_host_device_scalarIT2_EEPKiS8_PKS5_SA_S6_PS5_21rocsparse_index_base_b.num_vgpr, 90
	.set _ZN9rocsparseL19gebsrmvn_4xn_kernelILj128ELj8ELj4E21rocsparse_complex_numIfEEEvi20rocsparse_direction_NS_24const_host_device_scalarIT2_EEPKiS8_PKS5_SA_S6_PS5_21rocsparse_index_base_b.num_agpr, 0
	.set _ZN9rocsparseL19gebsrmvn_4xn_kernelILj128ELj8ELj4E21rocsparse_complex_numIfEEEvi20rocsparse_direction_NS_24const_host_device_scalarIT2_EEPKiS8_PKS5_SA_S6_PS5_21rocsparse_index_base_b.numbered_sgpr, 16
	.set _ZN9rocsparseL19gebsrmvn_4xn_kernelILj128ELj8ELj4E21rocsparse_complex_numIfEEEvi20rocsparse_direction_NS_24const_host_device_scalarIT2_EEPKiS8_PKS5_SA_S6_PS5_21rocsparse_index_base_b.num_named_barrier, 0
	.set _ZN9rocsparseL19gebsrmvn_4xn_kernelILj128ELj8ELj4E21rocsparse_complex_numIfEEEvi20rocsparse_direction_NS_24const_host_device_scalarIT2_EEPKiS8_PKS5_SA_S6_PS5_21rocsparse_index_base_b.private_seg_size, 0
	.set _ZN9rocsparseL19gebsrmvn_4xn_kernelILj128ELj8ELj4E21rocsparse_complex_numIfEEEvi20rocsparse_direction_NS_24const_host_device_scalarIT2_EEPKiS8_PKS5_SA_S6_PS5_21rocsparse_index_base_b.uses_vcc, 1
	.set _ZN9rocsparseL19gebsrmvn_4xn_kernelILj128ELj8ELj4E21rocsparse_complex_numIfEEEvi20rocsparse_direction_NS_24const_host_device_scalarIT2_EEPKiS8_PKS5_SA_S6_PS5_21rocsparse_index_base_b.uses_flat_scratch, 0
	.set _ZN9rocsparseL19gebsrmvn_4xn_kernelILj128ELj8ELj4E21rocsparse_complex_numIfEEEvi20rocsparse_direction_NS_24const_host_device_scalarIT2_EEPKiS8_PKS5_SA_S6_PS5_21rocsparse_index_base_b.has_dyn_sized_stack, 0
	.set _ZN9rocsparseL19gebsrmvn_4xn_kernelILj128ELj8ELj4E21rocsparse_complex_numIfEEEvi20rocsparse_direction_NS_24const_host_device_scalarIT2_EEPKiS8_PKS5_SA_S6_PS5_21rocsparse_index_base_b.has_recursion, 0
	.set _ZN9rocsparseL19gebsrmvn_4xn_kernelILj128ELj8ELj4E21rocsparse_complex_numIfEEEvi20rocsparse_direction_NS_24const_host_device_scalarIT2_EEPKiS8_PKS5_SA_S6_PS5_21rocsparse_index_base_b.has_indirect_call, 0
	.section	.AMDGPU.csdata,"",@progbits
; Kernel info:
; codeLenInByte = 3124
; TotalNumSgprs: 22
; NumVgprs: 90
; NumAgprs: 0
; TotalNumVgprs: 90
; ScratchSize: 0
; MemoryBound: 0
; FloatMode: 240
; IeeeMode: 1
; LDSByteSize: 0 bytes/workgroup (compile time only)
; SGPRBlocks: 2
; VGPRBlocks: 11
; NumSGPRsForWavesPerEU: 22
; NumVGPRsForWavesPerEU: 90
; AccumOffset: 92
; Occupancy: 5
; WaveLimiterHint : 1
; COMPUTE_PGM_RSRC2:SCRATCH_EN: 0
; COMPUTE_PGM_RSRC2:USER_SGPR: 2
; COMPUTE_PGM_RSRC2:TRAP_HANDLER: 0
; COMPUTE_PGM_RSRC2:TGID_X_EN: 1
; COMPUTE_PGM_RSRC2:TGID_Y_EN: 0
; COMPUTE_PGM_RSRC2:TGID_Z_EN: 0
; COMPUTE_PGM_RSRC2:TIDIG_COMP_CNT: 0
; COMPUTE_PGM_RSRC3_GFX90A:ACCUM_OFFSET: 22
; COMPUTE_PGM_RSRC3_GFX90A:TG_SPLIT: 0
	.section	.text._ZN9rocsparseL19gebsrmvn_4xn_kernelILj128ELj8ELj8E21rocsparse_complex_numIfEEEvi20rocsparse_direction_NS_24const_host_device_scalarIT2_EEPKiS8_PKS5_SA_S6_PS5_21rocsparse_index_base_b,"axG",@progbits,_ZN9rocsparseL19gebsrmvn_4xn_kernelILj128ELj8ELj8E21rocsparse_complex_numIfEEEvi20rocsparse_direction_NS_24const_host_device_scalarIT2_EEPKiS8_PKS5_SA_S6_PS5_21rocsparse_index_base_b,comdat
	.globl	_ZN9rocsparseL19gebsrmvn_4xn_kernelILj128ELj8ELj8E21rocsparse_complex_numIfEEEvi20rocsparse_direction_NS_24const_host_device_scalarIT2_EEPKiS8_PKS5_SA_S6_PS5_21rocsparse_index_base_b ; -- Begin function _ZN9rocsparseL19gebsrmvn_4xn_kernelILj128ELj8ELj8E21rocsparse_complex_numIfEEEvi20rocsparse_direction_NS_24const_host_device_scalarIT2_EEPKiS8_PKS5_SA_S6_PS5_21rocsparse_index_base_b
	.p2align	8
	.type	_ZN9rocsparseL19gebsrmvn_4xn_kernelILj128ELj8ELj8E21rocsparse_complex_numIfEEEvi20rocsparse_direction_NS_24const_host_device_scalarIT2_EEPKiS8_PKS5_SA_S6_PS5_21rocsparse_index_base_b,@function
_ZN9rocsparseL19gebsrmvn_4xn_kernelILj128ELj8ELj8E21rocsparse_complex_numIfEEEvi20rocsparse_direction_NS_24const_host_device_scalarIT2_EEPKiS8_PKS5_SA_S6_PS5_21rocsparse_index_base_b: ; @_ZN9rocsparseL19gebsrmvn_4xn_kernelILj128ELj8ELj8E21rocsparse_complex_numIfEEEvi20rocsparse_direction_NS_24const_host_device_scalarIT2_EEPKiS8_PKS5_SA_S6_PS5_21rocsparse_index_base_b
; %bb.0:
	s_load_dwordx2 s[4:5], s[0:1], 0x8
	s_load_dwordx2 s[6:7], s[0:1], 0x30
	;; [unrolled: 1-line block ×3, first 2 shown]
	s_add_u32 s3, s0, 8
	s_addc_u32 s8, s1, 0
	s_add_u32 s9, s0, 48
	s_addc_u32 s10, s1, 0
	s_waitcnt lgkmcnt(0)
	s_bitcmp1_b32 s13, 0
	s_cselect_b32 s3, s3, s4
	s_cselect_b32 s5, s8, s5
	v_mov_b32_e32 v2, s3
	s_cselect_b32 s3, s10, s7
	s_cselect_b32 s4, s9, s6
	v_mov_b32_e32 v3, s5
	v_mov_b32_e32 v4, s4
	;; [unrolled: 1-line block ×3, first 2 shown]
	flat_load_dwordx2 v[28:29], v[2:3]
	flat_load_dwordx2 v[30:31], v[4:5]
	s_waitcnt vmcnt(0) lgkmcnt(0)
	v_cmp_eq_f32_e32 vcc, 0, v28
	v_cmp_eq_f32_e64 s[4:5], 0, v29
	v_cmp_eq_f32_e64 s[6:7], 1.0, v30
	v_cmp_eq_f32_e64 s[8:9], 0, v31
	s_and_b64 s[4:5], vcc, s[4:5]
	s_and_b64 s[6:7], s[6:7], s[8:9]
	s_and_b64 s[4:5], s[4:5], s[6:7]
	s_xor_b64 s[4:5], s[4:5], -1
	s_and_saveexec_b64 s[6:7], s[4:5]
	s_cbranch_execz .LBB105_19
; %bb.1:
	s_load_dwordx2 s[14:15], s[0:1], 0x0
	v_lshrrev_b32_e32 v1, 3, v0
	v_lshl_or_b32 v32, s2, 4, v1
	s_waitcnt lgkmcnt(0)
	v_cmp_gt_i32_e32 vcc, s14, v32
	s_and_b64 exec, exec, vcc
	s_cbranch_execz .LBB105_19
; %bb.2:
	s_load_dwordx8 s[4:11], s[0:1], 0x10
	v_ashrrev_i32_e32 v33, 31, v32
	s_cmp_lg_u32 s15, 0
	s_waitcnt lgkmcnt(0)
	v_lshl_add_u64 v[2:3], v[32:33], 2, s[4:5]
	global_load_dwordx2 v[2:3], v[2:3], off
	v_and_b32_e32 v33, 7, v0
	s_waitcnt vmcnt(0)
	v_subrev_u32_e32 v0, s12, v2
	v_subrev_u32_e32 v50, s12, v3
	v_add_u32_e32 v34, v0, v33
	v_cmp_lt_i32_e64 s[2:3], v34, v50
	s_cbranch_scc0 .LBB105_8
; %bb.3:
	v_mov_b32_e32 v41, 0
	v_mov_b32_e32 v40, v41
	;; [unrolled: 1-line block ×8, first 2 shown]
	s_and_saveexec_b64 s[4:5], s[2:3]
	s_cbranch_execz .LBB105_7
; %bb.4:
	v_mov_b32_e32 v45, 0
	v_lshlrev_b32_e32 v44, 5, v34
	s_mov_b64 s[14:15], 0
	v_mov_b32_e32 v46, v34
	v_mov_b32_e32 v36, v45
	;; [unrolled: 1-line block ×9, first 2 shown]
.LBB105_5:                              ; =>This Inner Loop Header: Depth=1
	v_ashrrev_i32_e32 v47, 31, v46
	v_lshl_add_u64 v[48:49], v[44:45], 3, s[8:9]
	v_lshl_add_u64 v[74:75], v[46:47], 2, s[6:7]
	global_load_dwordx4 v[52:55], v[48:49], off offset:48
	global_load_dwordx4 v[56:59], v[48:49], off offset:32
	;; [unrolled: 1-line block ×3, first 2 shown]
	global_load_dwordx4 v[64:67], v[48:49], off
	global_load_dwordx4 v[0:3], v[48:49], off offset:112
	global_load_dwordx4 v[4:7], v[48:49], off offset:96
	;; [unrolled: 1-line block ×8, first 2 shown]
	global_load_dword v35, v[74:75], off
	v_mov_b32_e32 v73, v45
	v_add_u32_e32 v46, 8, v46
	v_cmp_ge_i32_e32 vcc, v46, v50
	v_add_u32_e32 v44, 0x100, v44
	s_or_b64 s[14:15], vcc, s[14:15]
	s_waitcnt vmcnt(9)
	v_xor_b32_e32 v80, 0x80000000, v67
	v_mov_b32_e32 v81, v66
	s_waitcnt vmcnt(5)
	v_xor_b32_e32 v86, 0x80000000, v69
	v_mov_b32_e32 v87, v68
	v_xor_b32_e32 v88, 0x80000000, v71
	v_mov_b32_e32 v89, v70
	s_waitcnt vmcnt(0)
	v_subrev_u32_e32 v35, s12, v35
	v_lshlrev_b32_e32 v72, 3, v35
	v_lshl_add_u64 v[82:83], v[72:73], 3, s[10:11]
	global_load_dwordx4 v[72:75], v[82:83], off
	global_load_dwordx4 v[76:79], v[82:83], off offset:16
	s_waitcnt vmcnt(1)
	v_pk_fma_f32 v[40:41], v[64:65], v[72:73], v[40:41] op_sel_hi:[1,0,1]
	v_pk_fma_f32 v[42:43], v[66:67], v[72:73], v[42:43] op_sel_hi:[1,0,1]
	v_xor_b32_e32 v66, 0x80000000, v63
	v_mov_b32_e32 v67, v62
	v_pk_fma_f32 v[38:39], v[60:61], v[72:73], v[38:39] op_sel_hi:[1,0,1]
	v_pk_fma_f32 v[62:63], v[62:63], v[72:73], v[36:37] op_sel_hi:[1,0,1]
	v_pk_fma_f32 v[64:65], v[64:65], v[72:73], v[40:41] op_sel:[1,1,0] op_sel_hi:[0,1,1] neg_lo:[1,0,0]
	v_pk_fma_f32 v[60:61], v[60:61], v[72:73], v[38:39] op_sel:[1,1,0] op_sel_hi:[0,1,1] neg_lo:[1,0,0]
	v_pk_fma_f32 v[80:81], v[80:81], v[72:73], v[42:43] op_sel:[0,1,0]
	v_pk_fma_f32 v[62:63], v[66:67], v[72:73], v[62:63] op_sel:[0,1,0]
	v_xor_b32_e32 v66, 0x80000000, v59
	v_mov_b32_e32 v67, v58
	v_pk_fma_f32 v[64:65], v[56:57], v[74:75], v[64:65] op_sel_hi:[1,0,1]
	v_pk_fma_f32 v[72:73], v[58:59], v[74:75], v[80:81] op_sel_hi:[1,0,1]
	;; [unrolled: 1-line block ×4, first 2 shown]
	v_mov_b32_e32 v74, v75
	v_pk_fma_f32 v[64:65], v[56:57], v[74:75], v[64:65] op_sel:[1,0,0] op_sel_hi:[0,0,1] neg_lo:[1,0,0]
	v_xor_b32_e32 v80, 0x80000000, v55
	v_mov_b32_e32 v81, v54
	v_pk_fma_f32 v[84:85], v[52:53], v[74:75], v[60:61] op_sel:[1,0,0] op_sel_hi:[0,0,1] neg_lo:[1,0,0]
	v_pk_fma_f32 v[52:53], v[66:67], v[74:75], v[72:73] op_sel_hi:[1,0,1]
	global_load_dwordx4 v[36:39], v[48:49], off offset:224
	global_load_dwordx4 v[40:43], v[48:49], off offset:192
	;; [unrolled: 1-line block ×3, first 2 shown]
	v_pk_fma_f32 v[72:73], v[80:81], v[74:75], v[62:63] op_sel_hi:[1,0,1]
	s_waitcnt vmcnt(3)
	v_pk_fma_f32 v[64:65], v[68:69], v[76:77], v[64:65] op_sel_hi:[1,0,1]
	v_pk_fma_f32 v[68:69], v[70:71], v[76:77], v[52:53] op_sel_hi:[1,0,1]
	global_load_dwordx4 v[52:55], v[82:83], off offset:32
	global_load_dwordx4 v[60:63], v[82:83], off offset:48
	v_xor_b32_e32 v66, 0x80000000, v17
	v_xor_b32_e32 v74, 0x80000000, v19
	v_mov_b32_e32 v67, v16
	v_mov_b32_e32 v75, v18
	v_pk_fma_f32 v[70:71], v[16:17], v[76:77], v[84:85] op_sel_hi:[1,0,1]
	v_pk_fma_f32 v[72:73], v[18:19], v[76:77], v[72:73] op_sel_hi:[1,0,1]
	global_load_dwordx4 v[16:19], v[48:49], off offset:240
	v_pk_fma_f32 v[64:65], v[86:87], v[76:77], v[64:65] op_sel:[0,1,0]
	v_pk_fma_f32 v[68:69], v[88:89], v[76:77], v[68:69] op_sel:[0,1,0]
	;; [unrolled: 1-line block ×4, first 2 shown]
	v_xor_b32_e32 v48, 0x80000000, v7
	v_mov_b32_e32 v49, v6
	v_xor_b32_e32 v80, 0x80000000, v3
	v_mov_b32_e32 v81, v2
	v_pk_fma_f32 v[64:65], v[4:5], v[78:79], v[64:65] op_sel_hi:[1,0,1]
	v_pk_fma_f32 v[6:7], v[6:7], v[78:79], v[68:69] op_sel_hi:[1,0,1]
	;; [unrolled: 1-line block ×4, first 2 shown]
	v_mov_b32_e32 v68, v79
	v_pk_fma_f32 v[4:5], v[4:5], v[68:69], v[64:65] op_sel:[1,0,0] op_sel_hi:[0,0,1] neg_lo:[1,0,0]
	v_pk_fma_f32 v[0:1], v[0:1], v[68:69], v[66:67] op_sel:[1,0,0] op_sel_hi:[0,0,1] neg_lo:[1,0,0]
	v_pk_fma_f32 v[6:7], v[48:49], v[68:69], v[6:7] op_sel_hi:[1,0,1]
	v_pk_fma_f32 v[2:3], v[80:81], v[68:69], v[2:3] op_sel_hi:[1,0,1]
	v_xor_b32_e32 v82, 0x80000000, v27
	v_mov_b32_e32 v83, v26
	v_xor_b32_e32 v64, 0x80000000, v23
	v_mov_b32_e32 v65, v22
	;; [unrolled: 2-line block ×4, first 2 shown]
	s_waitcnt vmcnt(5)
	v_xor_b32_e32 v72, 0x80000000, v39
	s_waitcnt vmcnt(4)
	v_xor_b32_e32 v74, 0x80000000, v43
	v_mov_b32_e32 v75, v42
	s_waitcnt vmcnt(3)
	v_xor_b32_e32 v66, 0x80000000, v59
	v_mov_b32_e32 v67, v58
	s_waitcnt vmcnt(2)
	v_pk_fma_f32 v[4:5], v[24:25], v[52:53], v[4:5] op_sel_hi:[1,0,1]
	v_pk_fma_f32 v[6:7], v[26:27], v[52:53], v[6:7] op_sel_hi:[1,0,1]
	;; [unrolled: 1-line block ×4, first 2 shown]
	v_pk_fma_f32 v[4:5], v[24:25], v[52:53], v[4:5] op_sel:[1,1,0] op_sel_hi:[0,1,1] neg_lo:[1,0,0]
	v_pk_fma_f32 v[0:1], v[20:21], v[52:53], v[0:1] op_sel:[1,1,0] op_sel_hi:[0,1,1] neg_lo:[1,0,0]
	v_pk_fma_f32 v[6:7], v[82:83], v[52:53], v[6:7] op_sel:[0,1,0]
	v_pk_fma_f32 v[2:3], v[64:65], v[52:53], v[2:3] op_sel:[0,1,0]
	v_mov_b32_e32 v48, v55
	v_pk_fma_f32 v[4:5], v[12:13], v[54:55], v[4:5] op_sel_hi:[1,0,1]
	v_pk_fma_f32 v[6:7], v[14:15], v[54:55], v[6:7] op_sel_hi:[1,0,1]
	;; [unrolled: 1-line block ×4, first 2 shown]
	v_pk_fma_f32 v[4:5], v[12:13], v[48:49], v[4:5] op_sel:[1,0,0] op_sel_hi:[0,0,1] neg_lo:[1,0,0]
	v_pk_fma_f32 v[6:7], v[70:71], v[48:49], v[6:7] op_sel_hi:[1,0,1]
	v_pk_fma_f32 v[0:1], v[8:9], v[48:49], v[0:1] op_sel:[1,0,0] op_sel_hi:[0,0,1] neg_lo:[1,0,0]
	v_pk_fma_f32 v[2:3], v[76:77], v[48:49], v[2:3] op_sel_hi:[1,0,1]
	s_waitcnt vmcnt(1)
	v_pk_fma_f32 v[4:5], v[40:41], v[60:61], v[4:5] op_sel_hi:[1,0,1]
	v_pk_fma_f32 v[6:7], v[42:43], v[60:61], v[6:7] op_sel_hi:[1,0,1]
	;; [unrolled: 1-line block ×4, first 2 shown]
	v_pk_fma_f32 v[4:5], v[40:41], v[60:61], v[4:5] op_sel:[1,1,0] op_sel_hi:[0,1,1] neg_lo:[1,0,0]
	v_pk_fma_f32 v[6:7], v[74:75], v[60:61], v[6:7] op_sel:[0,1,0]
	v_pk_fma_f32 v[0:1], v[56:57], v[60:61], v[0:1] op_sel:[1,1,0] op_sel_hi:[0,1,1] neg_lo:[1,0,0]
	v_pk_fma_f32 v[2:3], v[66:67], v[60:61], v[2:3] op_sel:[0,1,0]
	v_mov_b32_e32 v73, v38
	s_waitcnt vmcnt(0)
	v_xor_b32_e32 v78, 0x80000000, v19
	v_mov_b32_e32 v79, v18
	v_mov_b32_e32 v68, v63
	v_pk_fma_f32 v[4:5], v[36:37], v[62:63], v[4:5] op_sel_hi:[1,0,1]
	v_pk_fma_f32 v[6:7], v[38:39], v[62:63], v[6:7] op_sel_hi:[1,0,1]
	;; [unrolled: 1-line block ×4, first 2 shown]
	v_pk_fma_f32 v[40:41], v[36:37], v[68:69], v[4:5] op_sel:[1,0,0] op_sel_hi:[0,0,1] neg_lo:[1,0,0]
	v_pk_fma_f32 v[42:43], v[72:73], v[68:69], v[6:7] op_sel_hi:[1,0,1]
	v_pk_fma_f32 v[38:39], v[16:17], v[68:69], v[0:1] op_sel:[1,0,0] op_sel_hi:[0,0,1] neg_lo:[1,0,0]
	v_pk_fma_f32 v[36:37], v[78:79], v[68:69], v[2:3] op_sel_hi:[1,0,1]
	s_andn2_b64 exec, exec, s[14:15]
	s_cbranch_execnz .LBB105_5
; %bb.6:
	s_or_b64 exec, exec, s[14:15]
.LBB105_7:
	s_or_b64 exec, exec, s[4:5]
	s_cbranch_execz .LBB105_9
	s_branch .LBB105_14
.LBB105_8:
                                        ; implicit-def: $vgpr41
                                        ; implicit-def: $vgpr37
                                        ; implicit-def: $vgpr39
                                        ; implicit-def: $vgpr43
.LBB105_9:
	v_mov_b32_e32 v41, 0
	v_mov_b32_e32 v40, v41
	;; [unrolled: 1-line block ×8, first 2 shown]
	s_and_saveexec_b64 s[4:5], s[2:3]
	s_cbranch_execz .LBB105_13
; %bb.10:
	v_mov_b32_e32 v13, 0
	v_lshlrev_b32_e32 v12, 5, v34
	s_mov_b64 s[2:3], 0
	v_mov_b32_e32 v36, v13
	v_mov_b32_e32 v37, v13
	;; [unrolled: 1-line block ×8, first 2 shown]
.LBB105_11:                             ; =>This Inner Loop Header: Depth=1
	v_ashrrev_i32_e32 v35, 31, v34
	v_lshl_add_u64 v[14:15], v[12:13], 3, s[8:9]
	v_lshl_add_u64 v[64:65], v[34:35], 2, s[6:7]
	global_load_dwordx4 v[4:7], v[14:15], off offset:16
	global_load_dwordx4 v[16:19], v[14:15], off
	global_load_dwordx4 v[20:23], v[14:15], off offset:80
	global_load_dwordx4 v[24:27], v[14:15], off offset:64
	;; [unrolled: 1-line block ×8, first 2 shown]
	global_load_dword v35, v[64:65], off
	v_mov_b32_e32 v49, v13
	v_add_u32_e32 v34, 8, v34
	v_cmp_ge_i32_e32 vcc, v34, v50
	v_add_u32_e32 v12, 0x100, v12
	s_or_b64 s[2:3], vcc, s[2:3]
	s_waitcnt vmcnt(9)
	v_xor_b32_e32 v72, 0x80000000, v19
	v_mov_b32_e32 v73, v18
	s_waitcnt vmcnt(7)
	v_xor_b32_e32 v74, 0x80000000, v27
	v_mov_b32_e32 v75, v26
	;; [unrolled: 3-line block ×3, first 2 shown]
	s_waitcnt vmcnt(0)
	v_subrev_u32_e32 v35, s12, v35
	v_lshlrev_b32_e32 v48, 3, v35
	v_lshl_add_u64 v[48:49], v[48:49], 3, s[10:11]
	global_load_dwordx4 v[64:67], v[48:49], off
	global_load_dwordx4 v[68:71], v[48:49], off offset:16
	s_waitcnt vmcnt(1)
	v_pk_fma_f32 v[40:41], v[16:17], v[64:65], v[40:41] op_sel_hi:[1,0,1]
	s_nop 0
	v_pk_fma_f32 v[16:17], v[16:17], v[64:65], v[40:41] op_sel:[1,1,0] op_sel_hi:[0,1,1] neg_lo:[1,0,0]
	v_pk_fma_f32 v[40:41], v[18:19], v[66:67], v[16:17] op_sel_hi:[1,0,1]
	v_pk_fma_f32 v[16:17], v[24:25], v[64:65], v[42:43] op_sel_hi:[1,0,1]
	s_nop 0
	v_pk_fma_f32 v[16:17], v[24:25], v[64:65], v[16:17] op_sel:[1,1,0] op_sel_hi:[0,1,1] neg_lo:[1,0,0]
	v_pk_fma_f32 v[24:25], v[52:53], v[64:65], v[38:39] op_sel_hi:[1,0,1]
	v_pk_fma_f32 v[42:43], v[26:27], v[66:67], v[16:17] op_sel_hi:[1,0,1]
	v_pk_fma_f32 v[24:25], v[52:53], v[64:65], v[24:25] op_sel:[1,1,0] op_sel_hi:[0,1,1] neg_lo:[1,0,0]
	v_pk_fma_f32 v[52:53], v[54:55], v[66:67], v[24:25] op_sel_hi:[1,0,1]
	v_pk_fma_f32 v[24:25], v[60:61], v[64:65], v[36:37] op_sel_hi:[1,0,1]
	v_mov_b32_e32 v55, v62
	v_pk_fma_f32 v[24:25], v[60:61], v[64:65], v[24:25] op_sel:[1,1,0] op_sel_hi:[0,1,1] neg_lo:[1,0,0]
	v_pk_fma_f32 v[60:61], v[62:63], v[66:67], v[24:25] op_sel_hi:[1,0,1]
	v_mov_b32_e32 v62, v67
	v_xor_b32_e32 v54, 0x80000000, v63
	v_pk_fma_f32 v[64:65], v[72:73], v[62:63], v[40:41] op_sel_hi:[1,0,1]
	v_pk_fma_f32 v[66:67], v[74:75], v[62:63], v[42:43] op_sel_hi:[1,0,1]
	;; [unrolled: 1-line block ×4, first 2 shown]
	v_xor_b32_e32 v62, 0x80000000, v5
	v_mov_b32_e32 v63, v4
	s_waitcnt vmcnt(0)
	v_pk_fma_f32 v[4:5], v[4:5], v[68:69], v[64:65] op_sel_hi:[1,0,1]
	global_load_dwordx4 v[16:19], v[14:15], off offset:112
	global_load_dwordx4 v[24:27], v[14:15], off offset:96
	v_pk_fma_f32 v[4:5], v[62:63], v[68:69], v[4:5] op_sel:[0,1,0]
	global_load_dwordx4 v[36:39], v[14:15], off offset:176
	global_load_dwordx4 v[40:43], v[14:15], off offset:160
	;; [unrolled: 1-line block ×3, first 2 shown]
	v_xor_b32_e32 v62, 0x80000000, v7
	v_mov_b32_e32 v63, v6
	v_pk_fma_f32 v[64:65], v[6:7], v[70:71], v[4:5] op_sel_hi:[1,0,1]
	global_load_dwordx4 v[4:7], v[14:15], off offset:224
	v_xor_b32_e32 v14, 0x80000000, v21
	v_mov_b32_e32 v15, v20
	v_pk_fma_f32 v[20:21], v[20:21], v[68:69], v[66:67] op_sel_hi:[1,0,1]
	v_xor_b32_e32 v66, 0x80000000, v23
	v_pk_fma_f32 v[14:15], v[14:15], v[68:69], v[20:21] op_sel:[0,1,0]
	v_mov_b32_e32 v67, v22
	v_pk_fma_f32 v[14:15], v[22:23], v[70:71], v[14:15] op_sel_hi:[1,0,1]
	v_xor_b32_e32 v20, 0x80000000, v45
	v_mov_b32_e32 v21, v44
	v_pk_fma_f32 v[22:23], v[44:45], v[68:69], v[72:73] op_sel_hi:[1,0,1]
	v_pk_fma_f32 v[44:45], v[56:57], v[68:69], v[60:61] op_sel_hi:[1,0,1]
	v_pk_fma_f32 v[20:21], v[20:21], v[68:69], v[22:23] op_sel:[0,1,0]
	v_xor_b32_e32 v22, 0x80000000, v57
	v_mov_b32_e32 v23, v56
	v_pk_fma_f32 v[44:45], v[22:23], v[68:69], v[44:45] op_sel:[0,1,0]
	v_pk_fma_f32 v[60:61], v[46:47], v[70:71], v[20:21] op_sel_hi:[1,0,1]
	global_load_dwordx4 v[20:23], v[48:49], off offset:32
	v_xor_b32_e32 v74, 0x80000000, v47
	v_mov_b32_e32 v75, v46
	v_xor_b32_e32 v56, 0x80000000, v59
	v_mov_b32_e32 v57, v58
	v_pk_fma_f32 v[58:59], v[58:59], v[70:71], v[44:45] op_sel_hi:[1,0,1]
	global_load_dwordx4 v[44:47], v[48:49], off offset:48
	v_mov_b32_e32 v68, v71
	v_pk_fma_f32 v[14:15], v[66:67], v[68:69], v[14:15] op_sel_hi:[1,0,1]
	v_pk_fma_f32 v[62:63], v[62:63], v[68:69], v[64:65] op_sel_hi:[1,0,1]
	;; [unrolled: 1-line block ×4, first 2 shown]
	v_xor_b32_e32 v48, 0x80000000, v11
	v_mov_b32_e32 v49, v10
	v_xor_b32_e32 v70, 0x80000000, v3
	v_mov_b32_e32 v71, v2
	s_waitcnt vmcnt(7)
	v_xor_b32_e32 v66, 0x80000000, v19
	s_waitcnt vmcnt(6)
	v_xor_b32_e32 v64, 0x80000000, v27
	v_mov_b32_e32 v65, v26
	v_mov_b32_e32 v67, v18
	s_waitcnt vmcnt(4)
	v_xor_b32_e32 v72, 0x80000000, v43
	v_mov_b32_e32 v73, v42
	v_xor_b32_e32 v58, 0x80000000, v39
	v_mov_b32_e32 v59, v38
	s_waitcnt vmcnt(2)
	v_xor_b32_e32 v68, 0x80000000, v7
	v_mov_b32_e32 v69, v6
	s_waitcnt vmcnt(1)
	v_pk_fma_f32 v[14:15], v[24:25], v[20:21], v[14:15] op_sel_hi:[1,0,1]
	s_nop 0
	v_pk_fma_f32 v[14:15], v[24:25], v[20:21], v[14:15] op_sel:[1,1,0] op_sel_hi:[0,1,1] neg_lo:[1,0,0]
	v_pk_fma_f32 v[62:63], v[8:9], v[20:21], v[62:63] op_sel_hi:[1,0,1]
	v_pk_fma_f32 v[14:15], v[26:27], v[22:23], v[14:15] op_sel_hi:[1,0,1]
	;; [unrolled: 1-line block ×4, first 2 shown]
	v_pk_fma_f32 v[8:9], v[8:9], v[20:21], v[62:63] op_sel:[1,1,0] op_sel_hi:[0,1,1] neg_lo:[1,0,0]
	v_pk_fma_f32 v[26:27], v[40:41], v[20:21], v[26:27] op_sel:[1,1,0] op_sel_hi:[0,1,1] neg_lo:[1,0,0]
	;; [unrolled: 1-line block ×3, first 2 shown]
	v_pk_fma_f32 v[8:9], v[10:11], v[22:23], v[8:9] op_sel_hi:[1,0,1]
	v_mov_b32_e32 v62, v23
	v_pk_fma_f32 v[20:21], v[42:43], v[22:23], v[26:27] op_sel_hi:[1,0,1]
	v_pk_fma_f32 v[4:5], v[6:7], v[22:23], v[4:5] op_sel_hi:[1,0,1]
	;; [unrolled: 1-line block ×6, first 2 shown]
	s_waitcnt vmcnt(0)
	v_pk_fma_f32 v[6:7], v[0:1], v[44:45], v[6:7] op_sel_hi:[1,0,1]
	v_pk_fma_f32 v[8:9], v[16:17], v[44:45], v[8:9] op_sel_hi:[1,0,1]
	;; [unrolled: 1-line block ×4, first 2 shown]
	v_pk_fma_f32 v[0:1], v[0:1], v[44:45], v[6:7] op_sel:[1,1,0] op_sel_hi:[0,1,1] neg_lo:[1,0,0]
	v_pk_fma_f32 v[6:7], v[16:17], v[44:45], v[8:9] op_sel:[1,1,0] op_sel_hi:[0,1,1] neg_lo:[1,0,0]
	;; [unrolled: 1-line block ×4, first 2 shown]
	v_xor_b32_e32 v10, 0x80000000, v55
	v_mov_b32_e32 v11, v54
	v_mov_b32_e32 v24, v47
	v_pk_fma_f32 v[0:1], v[2:3], v[46:47], v[0:1] op_sel_hi:[1,0,1]
	v_pk_fma_f32 v[2:3], v[18:19], v[46:47], v[6:7] op_sel_hi:[1,0,1]
	;; [unrolled: 1-line block ×8, first 2 shown]
	s_andn2_b64 exec, exec, s[2:3]
	s_cbranch_execnz .LBB105_11
; %bb.12:
	s_or_b64 exec, exec, s[2:3]
.LBB105_13:
	s_or_b64 exec, exec, s[4:5]
.LBB105_14:
	v_mov_b32_dpp v6, v43 row_shr:1 row_mask:0xf bank_mask:0xf
	v_add_f32_e32 v6, v43, v6
	v_mov_b32_dpp v0, v40 row_shr:1 row_mask:0xf bank_mask:0xf
	v_mov_b32_dpp v2, v41 row_shr:1 row_mask:0xf bank_mask:0xf
	v_mov_b32_dpp v7, v6 row_shr:2 row_mask:0xf bank_mask:0xf
	v_add_f32_e32 v7, v6, v7
	v_mov_b32_dpp v6, v38 row_shr:1 row_mask:0xf bank_mask:0xf
	v_add_f32_e32 v6, v38, v6
	v_mov_b32_dpp v4, v42 row_shr:1 row_mask:0xf bank_mask:0xf
	;; [unrolled: 2-line block ×4, first 2 shown]
	v_add_f32_e32 v6, v39, v6
	v_add_f32_e32 v2, v41, v2
	;; [unrolled: 1-line block ×3, first 2 shown]
	v_mov_b32_dpp v11, v6 row_shr:2 row_mask:0xf bank_mask:0xf
	v_add_f32_e32 v11, v6, v11
	v_mov_b32_dpp v6, v36 row_shr:1 row_mask:0xf bank_mask:0xf
	v_add_f32_e32 v6, v36, v6
	v_mov_b32_dpp v1, v0 row_shr:2 row_mask:0xf bank_mask:0xf
	v_mov_b32_dpp v3, v2 row_shr:2 row_mask:0xf bank_mask:0xf
	;; [unrolled: 1-line block ×3, first 2 shown]
	v_add_f32_e32 v15, v6, v12
	v_mov_b32_dpp v6, v37 row_shr:1 row_mask:0xf bank_mask:0xf
	v_add_f32_e32 v6, v37, v6
	v_mov_b32_dpp v5, v4 row_shr:2 row_mask:0xf bank_mask:0xf
	;; [unrolled: 2-line block ×3, first 2 shown]
	v_add_f32_e32 v2, v2, v3
	v_add_f32_e32 v4, v4, v5
	;; [unrolled: 1-line block ×3, first 2 shown]
	v_mov_b32_dpp v1, v0 row_shr:4 row_mask:0xf bank_mask:0xe
	v_mov_b32_dpp v3, v2 row_shr:4 row_mask:0xf bank_mask:0xe
	;; [unrolled: 1-line block ×8, first 2 shown]
	v_cmp_eq_u32_e32 vcc, 7, v33
	s_and_b64 exec, exec, vcc
	s_cbranch_execz .LBB105_19
; %bb.15:
	s_load_dwordx2 s[2:3], s[0:1], 0x38
	v_cmp_eq_f32_e32 vcc, 0, v30
	v_cmp_eq_f32_e64 s[0:1], 0, v31
	v_add_f32_e32 v6, v0, v1
	v_add_f32_e32 v14, v2, v3
	v_add_f32_e32 v4, v4, v5
	v_add_f32_e32 v12, v7, v8
	v_add_f32_e32 v2, v9, v10
	v_add_f32_e32 v10, v11, v13
	v_add_f32_e32 v0, v15, v16
	v_add_f32_e32 v8, v17, v18
	s_and_b64 s[0:1], vcc, s[0:1]
	s_and_saveexec_b64 s[4:5], s[0:1]
	s_xor_b64 s[0:1], exec, s[4:5]
	s_cbranch_execz .LBB105_17
; %bb.16:
	v_xor_b32_e32 v18, 0x80000000, v29
	v_mov_b32_e32 v19, v28
	v_lshlrev_b32_e32 v16, 2, v32
	v_pk_mul_f32 v[14:15], v[14:15], v[18:19] op_sel_hi:[0,1]
	v_ashrrev_i32_e32 v17, 31, v16
	v_pk_fma_f32 v[14:15], v[28:29], v[6:7], v[14:15] op_sel_hi:[1,0,1]
	v_pk_mul_f32 v[6:7], v[12:13], v[18:19] op_sel_hi:[0,1]
	s_waitcnt lgkmcnt(0)
	v_lshl_add_u64 v[20:21], v[16:17], 3, s[2:3]
	v_pk_fma_f32 v[16:17], v[28:29], v[4:5], v[6:7] op_sel_hi:[1,0,1]
	v_pk_mul_f32 v[4:5], v[10:11], v[18:19] op_sel_hi:[0,1]
	v_pk_fma_f32 v[2:3], v[28:29], v[2:3], v[4:5] op_sel_hi:[1,0,1]
	v_pk_mul_f32 v[4:5], v[8:9], v[18:19] op_sel_hi:[0,1]
	v_pk_fma_f32 v[4:5], v[28:29], v[0:1], v[4:5] op_sel_hi:[1,0,1]
	global_store_dwordx4 v[20:21], v[14:17], off
	global_store_dwordx4 v[20:21], v[2:5], off offset:16
                                        ; implicit-def: $vgpr32
                                        ; implicit-def: $vgpr6
                                        ; implicit-def: $vgpr14
                                        ; implicit-def: $vgpr4
                                        ; implicit-def: $vgpr12
                                        ; implicit-def: $vgpr2
                                        ; implicit-def: $vgpr10
                                        ; implicit-def: $vgpr0
                                        ; implicit-def: $vgpr8
                                        ; implicit-def: $vgpr28_vgpr29
                                        ; implicit-def: $vgpr30_vgpr31
.LBB105_17:
	s_andn2_saveexec_b64 s[0:1], s[0:1]
	s_cbranch_execz .LBB105_19
; %bb.18:
	v_lshlrev_b32_e32 v16, 2, v32
	v_ashrrev_i32_e32 v17, 31, v16
	s_waitcnt lgkmcnt(0)
	v_lshl_add_u64 v[24:25], v[16:17], 3, s[2:3]
	global_load_dwordx4 v[16:19], v[24:25], off
	global_load_dwordx4 v[20:23], v[24:25], off offset:16
	v_xor_b32_e32 v26, 0x80000000, v29
	v_mov_b32_e32 v27, v28
	v_pk_mul_f32 v[14:15], v[14:15], v[26:27] op_sel_hi:[0,1]
	v_pk_mul_f32 v[12:13], v[12:13], v[26:27] op_sel_hi:[0,1]
	;; [unrolled: 1-line block ×4, first 2 shown]
	v_pk_fma_f32 v[6:7], v[28:29], v[6:7], v[14:15] op_sel_hi:[1,0,1]
	v_pk_fma_f32 v[4:5], v[28:29], v[4:5], v[12:13] op_sel_hi:[1,0,1]
	v_xor_b32_e32 v32, 0x80000000, v31
	v_mov_b32_e32 v33, v30
	v_pk_fma_f32 v[2:3], v[28:29], v[2:3], v[10:11] op_sel_hi:[1,0,1]
	v_pk_fma_f32 v[0:1], v[28:29], v[0:1], v[8:9] op_sel_hi:[1,0,1]
	s_waitcnt vmcnt(1)
	v_pk_fma_f32 v[6:7], v[30:31], v[16:17], v[6:7] op_sel_hi:[1,0,1]
	v_pk_fma_f32 v[4:5], v[30:31], v[18:19], v[4:5] op_sel_hi:[1,0,1]
	v_mov_b32_e32 v8, v19
	s_waitcnt vmcnt(0)
	v_pk_fma_f32 v[10:11], v[30:31], v[20:21], v[2:3] op_sel_hi:[1,0,1]
	v_pk_fma_f32 v[12:13], v[30:31], v[22:23], v[0:1] op_sel_hi:[1,0,1]
	v_mov_b32_e32 v14, v23
	v_pk_fma_f32 v[0:1], v[32:33], v[16:17], v[6:7] op_sel:[0,1,0]
	v_pk_fma_f32 v[2:3], v[32:33], v[8:9], v[4:5] op_sel_hi:[1,0,1]
	v_pk_fma_f32 v[4:5], v[32:33], v[20:21], v[10:11] op_sel:[0,1,0]
	v_pk_fma_f32 v[6:7], v[32:33], v[14:15], v[12:13] op_sel_hi:[1,0,1]
	global_store_dwordx4 v[24:25], v[0:3], off
	global_store_dwordx4 v[24:25], v[4:7], off offset:16
.LBB105_19:
	s_endpgm
	.section	.rodata,"a",@progbits
	.p2align	6, 0x0
	.amdhsa_kernel _ZN9rocsparseL19gebsrmvn_4xn_kernelILj128ELj8ELj8E21rocsparse_complex_numIfEEEvi20rocsparse_direction_NS_24const_host_device_scalarIT2_EEPKiS8_PKS5_SA_S6_PS5_21rocsparse_index_base_b
		.amdhsa_group_segment_fixed_size 0
		.amdhsa_private_segment_fixed_size 0
		.amdhsa_kernarg_size 72
		.amdhsa_user_sgpr_count 2
		.amdhsa_user_sgpr_dispatch_ptr 0
		.amdhsa_user_sgpr_queue_ptr 0
		.amdhsa_user_sgpr_kernarg_segment_ptr 1
		.amdhsa_user_sgpr_dispatch_id 0
		.amdhsa_user_sgpr_kernarg_preload_length 0
		.amdhsa_user_sgpr_kernarg_preload_offset 0
		.amdhsa_user_sgpr_private_segment_size 0
		.amdhsa_uses_dynamic_stack 0
		.amdhsa_enable_private_segment 0
		.amdhsa_system_sgpr_workgroup_id_x 1
		.amdhsa_system_sgpr_workgroup_id_y 0
		.amdhsa_system_sgpr_workgroup_id_z 0
		.amdhsa_system_sgpr_workgroup_info 0
		.amdhsa_system_vgpr_workitem_id 0
		.amdhsa_next_free_vgpr 90
		.amdhsa_next_free_sgpr 16
		.amdhsa_accum_offset 92
		.amdhsa_reserve_vcc 1
		.amdhsa_float_round_mode_32 0
		.amdhsa_float_round_mode_16_64 0
		.amdhsa_float_denorm_mode_32 3
		.amdhsa_float_denorm_mode_16_64 3
		.amdhsa_dx10_clamp 1
		.amdhsa_ieee_mode 1
		.amdhsa_fp16_overflow 0
		.amdhsa_tg_split 0
		.amdhsa_exception_fp_ieee_invalid_op 0
		.amdhsa_exception_fp_denorm_src 0
		.amdhsa_exception_fp_ieee_div_zero 0
		.amdhsa_exception_fp_ieee_overflow 0
		.amdhsa_exception_fp_ieee_underflow 0
		.amdhsa_exception_fp_ieee_inexact 0
		.amdhsa_exception_int_div_zero 0
	.end_amdhsa_kernel
	.section	.text._ZN9rocsparseL19gebsrmvn_4xn_kernelILj128ELj8ELj8E21rocsparse_complex_numIfEEEvi20rocsparse_direction_NS_24const_host_device_scalarIT2_EEPKiS8_PKS5_SA_S6_PS5_21rocsparse_index_base_b,"axG",@progbits,_ZN9rocsparseL19gebsrmvn_4xn_kernelILj128ELj8ELj8E21rocsparse_complex_numIfEEEvi20rocsparse_direction_NS_24const_host_device_scalarIT2_EEPKiS8_PKS5_SA_S6_PS5_21rocsparse_index_base_b,comdat
.Lfunc_end105:
	.size	_ZN9rocsparseL19gebsrmvn_4xn_kernelILj128ELj8ELj8E21rocsparse_complex_numIfEEEvi20rocsparse_direction_NS_24const_host_device_scalarIT2_EEPKiS8_PKS5_SA_S6_PS5_21rocsparse_index_base_b, .Lfunc_end105-_ZN9rocsparseL19gebsrmvn_4xn_kernelILj128ELj8ELj8E21rocsparse_complex_numIfEEEvi20rocsparse_direction_NS_24const_host_device_scalarIT2_EEPKiS8_PKS5_SA_S6_PS5_21rocsparse_index_base_b
                                        ; -- End function
	.set _ZN9rocsparseL19gebsrmvn_4xn_kernelILj128ELj8ELj8E21rocsparse_complex_numIfEEEvi20rocsparse_direction_NS_24const_host_device_scalarIT2_EEPKiS8_PKS5_SA_S6_PS5_21rocsparse_index_base_b.num_vgpr, 90
	.set _ZN9rocsparseL19gebsrmvn_4xn_kernelILj128ELj8ELj8E21rocsparse_complex_numIfEEEvi20rocsparse_direction_NS_24const_host_device_scalarIT2_EEPKiS8_PKS5_SA_S6_PS5_21rocsparse_index_base_b.num_agpr, 0
	.set _ZN9rocsparseL19gebsrmvn_4xn_kernelILj128ELj8ELj8E21rocsparse_complex_numIfEEEvi20rocsparse_direction_NS_24const_host_device_scalarIT2_EEPKiS8_PKS5_SA_S6_PS5_21rocsparse_index_base_b.numbered_sgpr, 16
	.set _ZN9rocsparseL19gebsrmvn_4xn_kernelILj128ELj8ELj8E21rocsparse_complex_numIfEEEvi20rocsparse_direction_NS_24const_host_device_scalarIT2_EEPKiS8_PKS5_SA_S6_PS5_21rocsparse_index_base_b.num_named_barrier, 0
	.set _ZN9rocsparseL19gebsrmvn_4xn_kernelILj128ELj8ELj8E21rocsparse_complex_numIfEEEvi20rocsparse_direction_NS_24const_host_device_scalarIT2_EEPKiS8_PKS5_SA_S6_PS5_21rocsparse_index_base_b.private_seg_size, 0
	.set _ZN9rocsparseL19gebsrmvn_4xn_kernelILj128ELj8ELj8E21rocsparse_complex_numIfEEEvi20rocsparse_direction_NS_24const_host_device_scalarIT2_EEPKiS8_PKS5_SA_S6_PS5_21rocsparse_index_base_b.uses_vcc, 1
	.set _ZN9rocsparseL19gebsrmvn_4xn_kernelILj128ELj8ELj8E21rocsparse_complex_numIfEEEvi20rocsparse_direction_NS_24const_host_device_scalarIT2_EEPKiS8_PKS5_SA_S6_PS5_21rocsparse_index_base_b.uses_flat_scratch, 0
	.set _ZN9rocsparseL19gebsrmvn_4xn_kernelILj128ELj8ELj8E21rocsparse_complex_numIfEEEvi20rocsparse_direction_NS_24const_host_device_scalarIT2_EEPKiS8_PKS5_SA_S6_PS5_21rocsparse_index_base_b.has_dyn_sized_stack, 0
	.set _ZN9rocsparseL19gebsrmvn_4xn_kernelILj128ELj8ELj8E21rocsparse_complex_numIfEEEvi20rocsparse_direction_NS_24const_host_device_scalarIT2_EEPKiS8_PKS5_SA_S6_PS5_21rocsparse_index_base_b.has_recursion, 0
	.set _ZN9rocsparseL19gebsrmvn_4xn_kernelILj128ELj8ELj8E21rocsparse_complex_numIfEEEvi20rocsparse_direction_NS_24const_host_device_scalarIT2_EEPKiS8_PKS5_SA_S6_PS5_21rocsparse_index_base_b.has_indirect_call, 0
	.section	.AMDGPU.csdata,"",@progbits
; Kernel info:
; codeLenInByte = 3220
; TotalNumSgprs: 22
; NumVgprs: 90
; NumAgprs: 0
; TotalNumVgprs: 90
; ScratchSize: 0
; MemoryBound: 0
; FloatMode: 240
; IeeeMode: 1
; LDSByteSize: 0 bytes/workgroup (compile time only)
; SGPRBlocks: 2
; VGPRBlocks: 11
; NumSGPRsForWavesPerEU: 22
; NumVGPRsForWavesPerEU: 90
; AccumOffset: 92
; Occupancy: 5
; WaveLimiterHint : 1
; COMPUTE_PGM_RSRC2:SCRATCH_EN: 0
; COMPUTE_PGM_RSRC2:USER_SGPR: 2
; COMPUTE_PGM_RSRC2:TRAP_HANDLER: 0
; COMPUTE_PGM_RSRC2:TGID_X_EN: 1
; COMPUTE_PGM_RSRC2:TGID_Y_EN: 0
; COMPUTE_PGM_RSRC2:TGID_Z_EN: 0
; COMPUTE_PGM_RSRC2:TIDIG_COMP_CNT: 0
; COMPUTE_PGM_RSRC3_GFX90A:ACCUM_OFFSET: 22
; COMPUTE_PGM_RSRC3_GFX90A:TG_SPLIT: 0
	.section	.text._ZN9rocsparseL19gebsrmvn_4xn_kernelILj128ELj8ELj16E21rocsparse_complex_numIfEEEvi20rocsparse_direction_NS_24const_host_device_scalarIT2_EEPKiS8_PKS5_SA_S6_PS5_21rocsparse_index_base_b,"axG",@progbits,_ZN9rocsparseL19gebsrmvn_4xn_kernelILj128ELj8ELj16E21rocsparse_complex_numIfEEEvi20rocsparse_direction_NS_24const_host_device_scalarIT2_EEPKiS8_PKS5_SA_S6_PS5_21rocsparse_index_base_b,comdat
	.globl	_ZN9rocsparseL19gebsrmvn_4xn_kernelILj128ELj8ELj16E21rocsparse_complex_numIfEEEvi20rocsparse_direction_NS_24const_host_device_scalarIT2_EEPKiS8_PKS5_SA_S6_PS5_21rocsparse_index_base_b ; -- Begin function _ZN9rocsparseL19gebsrmvn_4xn_kernelILj128ELj8ELj16E21rocsparse_complex_numIfEEEvi20rocsparse_direction_NS_24const_host_device_scalarIT2_EEPKiS8_PKS5_SA_S6_PS5_21rocsparse_index_base_b
	.p2align	8
	.type	_ZN9rocsparseL19gebsrmvn_4xn_kernelILj128ELj8ELj16E21rocsparse_complex_numIfEEEvi20rocsparse_direction_NS_24const_host_device_scalarIT2_EEPKiS8_PKS5_SA_S6_PS5_21rocsparse_index_base_b,@function
_ZN9rocsparseL19gebsrmvn_4xn_kernelILj128ELj8ELj16E21rocsparse_complex_numIfEEEvi20rocsparse_direction_NS_24const_host_device_scalarIT2_EEPKiS8_PKS5_SA_S6_PS5_21rocsparse_index_base_b: ; @_ZN9rocsparseL19gebsrmvn_4xn_kernelILj128ELj8ELj16E21rocsparse_complex_numIfEEEvi20rocsparse_direction_NS_24const_host_device_scalarIT2_EEPKiS8_PKS5_SA_S6_PS5_21rocsparse_index_base_b
; %bb.0:
	s_load_dwordx2 s[4:5], s[0:1], 0x8
	s_load_dwordx2 s[6:7], s[0:1], 0x30
	;; [unrolled: 1-line block ×3, first 2 shown]
	s_add_u32 s3, s0, 8
	s_addc_u32 s8, s1, 0
	s_add_u32 s9, s0, 48
	s_addc_u32 s10, s1, 0
	s_waitcnt lgkmcnt(0)
	s_bitcmp1_b32 s13, 0
	s_cselect_b32 s3, s3, s4
	s_cselect_b32 s5, s8, s5
	v_mov_b32_e32 v2, s3
	s_cselect_b32 s3, s10, s7
	s_cselect_b32 s4, s9, s6
	v_mov_b32_e32 v3, s5
	v_mov_b32_e32 v4, s4
	;; [unrolled: 1-line block ×3, first 2 shown]
	flat_load_dwordx2 v[28:29], v[2:3]
	flat_load_dwordx2 v[30:31], v[4:5]
	s_waitcnt vmcnt(0) lgkmcnt(0)
	v_cmp_eq_f32_e32 vcc, 0, v28
	v_cmp_eq_f32_e64 s[4:5], 0, v29
	v_cmp_eq_f32_e64 s[6:7], 1.0, v30
	v_cmp_eq_f32_e64 s[8:9], 0, v31
	s_and_b64 s[4:5], vcc, s[4:5]
	s_and_b64 s[6:7], s[6:7], s[8:9]
	s_and_b64 s[4:5], s[4:5], s[6:7]
	s_xor_b64 s[4:5], s[4:5], -1
	s_and_saveexec_b64 s[6:7], s[4:5]
	s_cbranch_execz .LBB106_19
; %bb.1:
	s_load_dwordx2 s[14:15], s[0:1], 0x0
	v_lshrrev_b32_e32 v1, 4, v0
	v_lshl_or_b32 v32, s2, 3, v1
	s_waitcnt lgkmcnt(0)
	v_cmp_gt_i32_e32 vcc, s14, v32
	s_and_b64 exec, exec, vcc
	s_cbranch_execz .LBB106_19
; %bb.2:
	s_load_dwordx8 s[4:11], s[0:1], 0x10
	v_ashrrev_i32_e32 v33, 31, v32
	s_cmp_lg_u32 s15, 0
	s_waitcnt lgkmcnt(0)
	v_lshl_add_u64 v[2:3], v[32:33], 2, s[4:5]
	global_load_dwordx2 v[2:3], v[2:3], off
	v_and_b32_e32 v33, 15, v0
	s_waitcnt vmcnt(0)
	v_subrev_u32_e32 v0, s12, v2
	v_subrev_u32_e32 v50, s12, v3
	v_add_u32_e32 v34, v0, v33
	v_cmp_lt_i32_e64 s[2:3], v34, v50
	s_cbranch_scc0 .LBB106_8
; %bb.3:
	v_mov_b32_e32 v43, 0
	v_mov_b32_e32 v42, v43
	;; [unrolled: 1-line block ×8, first 2 shown]
	s_and_saveexec_b64 s[4:5], s[2:3]
	s_cbranch_execz .LBB106_7
; %bb.4:
	v_mov_b32_e32 v45, 0
	v_lshlrev_b32_e32 v44, 5, v34
	s_mov_b64 s[14:15], 0
	v_mov_b32_e32 v46, v34
	v_mov_b32_e32 v36, v45
	;; [unrolled: 1-line block ×9, first 2 shown]
.LBB106_5:                              ; =>This Inner Loop Header: Depth=1
	v_ashrrev_i32_e32 v47, 31, v46
	v_lshl_add_u64 v[48:49], v[44:45], 3, s[8:9]
	v_lshl_add_u64 v[74:75], v[46:47], 2, s[6:7]
	global_load_dwordx4 v[52:55], v[48:49], off offset:48
	global_load_dwordx4 v[56:59], v[48:49], off offset:32
	;; [unrolled: 1-line block ×3, first 2 shown]
	global_load_dwordx4 v[64:67], v[48:49], off
	global_load_dwordx4 v[0:3], v[48:49], off offset:112
	global_load_dwordx4 v[4:7], v[48:49], off offset:96
	;; [unrolled: 1-line block ×8, first 2 shown]
	global_load_dword v35, v[74:75], off
	v_mov_b32_e32 v73, v45
	v_add_u32_e32 v46, 16, v46
	v_cmp_ge_i32_e32 vcc, v46, v50
	v_add_u32_e32 v44, 0x200, v44
	s_or_b64 s[14:15], vcc, s[14:15]
	s_waitcnt vmcnt(9)
	v_xor_b32_e32 v80, 0x80000000, v67
	v_mov_b32_e32 v81, v66
	s_waitcnt vmcnt(5)
	v_xor_b32_e32 v86, 0x80000000, v69
	v_mov_b32_e32 v87, v68
	v_xor_b32_e32 v88, 0x80000000, v71
	v_mov_b32_e32 v89, v70
	s_waitcnt vmcnt(0)
	v_subrev_u32_e32 v35, s12, v35
	v_lshlrev_b32_e32 v72, 3, v35
	v_lshl_add_u64 v[82:83], v[72:73], 3, s[10:11]
	global_load_dwordx4 v[72:75], v[82:83], off
	global_load_dwordx4 v[76:79], v[82:83], off offset:16
	s_waitcnt vmcnt(1)
	v_pk_fma_f32 v[42:43], v[64:65], v[72:73], v[42:43] op_sel_hi:[1,0,1]
	v_pk_fma_f32 v[40:41], v[66:67], v[72:73], v[40:41] op_sel_hi:[1,0,1]
	v_xor_b32_e32 v66, 0x80000000, v63
	v_mov_b32_e32 v67, v62
	v_pk_fma_f32 v[38:39], v[60:61], v[72:73], v[38:39] op_sel_hi:[1,0,1]
	v_pk_fma_f32 v[62:63], v[62:63], v[72:73], v[36:37] op_sel_hi:[1,0,1]
	v_pk_fma_f32 v[64:65], v[64:65], v[72:73], v[42:43] op_sel:[1,1,0] op_sel_hi:[0,1,1] neg_lo:[1,0,0]
	v_pk_fma_f32 v[60:61], v[60:61], v[72:73], v[38:39] op_sel:[1,1,0] op_sel_hi:[0,1,1] neg_lo:[1,0,0]
	v_pk_fma_f32 v[80:81], v[80:81], v[72:73], v[40:41] op_sel:[0,1,0]
	v_pk_fma_f32 v[62:63], v[66:67], v[72:73], v[62:63] op_sel:[0,1,0]
	v_xor_b32_e32 v66, 0x80000000, v59
	v_mov_b32_e32 v67, v58
	v_pk_fma_f32 v[64:65], v[56:57], v[74:75], v[64:65] op_sel_hi:[1,0,1]
	v_pk_fma_f32 v[72:73], v[58:59], v[74:75], v[80:81] op_sel_hi:[1,0,1]
	;; [unrolled: 1-line block ×4, first 2 shown]
	v_mov_b32_e32 v74, v75
	v_pk_fma_f32 v[64:65], v[56:57], v[74:75], v[64:65] op_sel:[1,0,0] op_sel_hi:[0,0,1] neg_lo:[1,0,0]
	v_xor_b32_e32 v80, 0x80000000, v55
	v_mov_b32_e32 v81, v54
	v_pk_fma_f32 v[84:85], v[52:53], v[74:75], v[60:61] op_sel:[1,0,0] op_sel_hi:[0,0,1] neg_lo:[1,0,0]
	v_pk_fma_f32 v[52:53], v[66:67], v[74:75], v[72:73] op_sel_hi:[1,0,1]
	global_load_dwordx4 v[36:39], v[48:49], off offset:224
	global_load_dwordx4 v[40:43], v[48:49], off offset:192
	;; [unrolled: 1-line block ×3, first 2 shown]
	v_pk_fma_f32 v[72:73], v[80:81], v[74:75], v[62:63] op_sel_hi:[1,0,1]
	s_waitcnt vmcnt(3)
	v_pk_fma_f32 v[64:65], v[68:69], v[76:77], v[64:65] op_sel_hi:[1,0,1]
	v_pk_fma_f32 v[68:69], v[70:71], v[76:77], v[52:53] op_sel_hi:[1,0,1]
	global_load_dwordx4 v[52:55], v[82:83], off offset:32
	global_load_dwordx4 v[60:63], v[82:83], off offset:48
	v_xor_b32_e32 v66, 0x80000000, v17
	v_xor_b32_e32 v74, 0x80000000, v19
	v_mov_b32_e32 v67, v16
	v_mov_b32_e32 v75, v18
	v_pk_fma_f32 v[70:71], v[16:17], v[76:77], v[84:85] op_sel_hi:[1,0,1]
	v_pk_fma_f32 v[72:73], v[18:19], v[76:77], v[72:73] op_sel_hi:[1,0,1]
	global_load_dwordx4 v[16:19], v[48:49], off offset:240
	v_pk_fma_f32 v[64:65], v[86:87], v[76:77], v[64:65] op_sel:[0,1,0]
	v_pk_fma_f32 v[68:69], v[88:89], v[76:77], v[68:69] op_sel:[0,1,0]
	;; [unrolled: 1-line block ×4, first 2 shown]
	v_xor_b32_e32 v48, 0x80000000, v7
	v_mov_b32_e32 v49, v6
	v_xor_b32_e32 v80, 0x80000000, v3
	v_mov_b32_e32 v81, v2
	v_pk_fma_f32 v[64:65], v[4:5], v[78:79], v[64:65] op_sel_hi:[1,0,1]
	v_pk_fma_f32 v[6:7], v[6:7], v[78:79], v[68:69] op_sel_hi:[1,0,1]
	;; [unrolled: 1-line block ×4, first 2 shown]
	v_mov_b32_e32 v68, v79
	v_pk_fma_f32 v[4:5], v[4:5], v[68:69], v[64:65] op_sel:[1,0,0] op_sel_hi:[0,0,1] neg_lo:[1,0,0]
	v_pk_fma_f32 v[0:1], v[0:1], v[68:69], v[66:67] op_sel:[1,0,0] op_sel_hi:[0,0,1] neg_lo:[1,0,0]
	v_pk_fma_f32 v[6:7], v[48:49], v[68:69], v[6:7] op_sel_hi:[1,0,1]
	v_pk_fma_f32 v[2:3], v[80:81], v[68:69], v[2:3] op_sel_hi:[1,0,1]
	v_xor_b32_e32 v82, 0x80000000, v27
	v_mov_b32_e32 v83, v26
	v_xor_b32_e32 v64, 0x80000000, v23
	v_mov_b32_e32 v65, v22
	;; [unrolled: 2-line block ×4, first 2 shown]
	s_waitcnt vmcnt(5)
	v_xor_b32_e32 v72, 0x80000000, v39
	s_waitcnt vmcnt(4)
	v_xor_b32_e32 v74, 0x80000000, v43
	v_mov_b32_e32 v75, v42
	s_waitcnt vmcnt(3)
	v_xor_b32_e32 v66, 0x80000000, v59
	v_mov_b32_e32 v67, v58
	s_waitcnt vmcnt(2)
	v_pk_fma_f32 v[4:5], v[24:25], v[52:53], v[4:5] op_sel_hi:[1,0,1]
	v_pk_fma_f32 v[6:7], v[26:27], v[52:53], v[6:7] op_sel_hi:[1,0,1]
	v_pk_fma_f32 v[0:1], v[20:21], v[52:53], v[0:1] op_sel_hi:[1,0,1]
	v_pk_fma_f32 v[2:3], v[22:23], v[52:53], v[2:3] op_sel_hi:[1,0,1]
	v_pk_fma_f32 v[4:5], v[24:25], v[52:53], v[4:5] op_sel:[1,1,0] op_sel_hi:[0,1,1] neg_lo:[1,0,0]
	v_pk_fma_f32 v[0:1], v[20:21], v[52:53], v[0:1] op_sel:[1,1,0] op_sel_hi:[0,1,1] neg_lo:[1,0,0]
	v_pk_fma_f32 v[6:7], v[82:83], v[52:53], v[6:7] op_sel:[0,1,0]
	v_pk_fma_f32 v[2:3], v[64:65], v[52:53], v[2:3] op_sel:[0,1,0]
	v_mov_b32_e32 v48, v55
	v_pk_fma_f32 v[4:5], v[12:13], v[54:55], v[4:5] op_sel_hi:[1,0,1]
	v_pk_fma_f32 v[6:7], v[14:15], v[54:55], v[6:7] op_sel_hi:[1,0,1]
	;; [unrolled: 1-line block ×4, first 2 shown]
	v_pk_fma_f32 v[4:5], v[12:13], v[48:49], v[4:5] op_sel:[1,0,0] op_sel_hi:[0,0,1] neg_lo:[1,0,0]
	v_pk_fma_f32 v[6:7], v[70:71], v[48:49], v[6:7] op_sel_hi:[1,0,1]
	v_pk_fma_f32 v[0:1], v[8:9], v[48:49], v[0:1] op_sel:[1,0,0] op_sel_hi:[0,0,1] neg_lo:[1,0,0]
	v_pk_fma_f32 v[2:3], v[76:77], v[48:49], v[2:3] op_sel_hi:[1,0,1]
	s_waitcnt vmcnt(1)
	v_pk_fma_f32 v[4:5], v[40:41], v[60:61], v[4:5] op_sel_hi:[1,0,1]
	v_pk_fma_f32 v[6:7], v[42:43], v[60:61], v[6:7] op_sel_hi:[1,0,1]
	v_pk_fma_f32 v[0:1], v[56:57], v[60:61], v[0:1] op_sel_hi:[1,0,1]
	v_pk_fma_f32 v[2:3], v[58:59], v[60:61], v[2:3] op_sel_hi:[1,0,1]
	v_pk_fma_f32 v[4:5], v[40:41], v[60:61], v[4:5] op_sel:[1,1,0] op_sel_hi:[0,1,1] neg_lo:[1,0,0]
	v_pk_fma_f32 v[6:7], v[74:75], v[60:61], v[6:7] op_sel:[0,1,0]
	v_pk_fma_f32 v[0:1], v[56:57], v[60:61], v[0:1] op_sel:[1,1,0] op_sel_hi:[0,1,1] neg_lo:[1,0,0]
	v_pk_fma_f32 v[2:3], v[66:67], v[60:61], v[2:3] op_sel:[0,1,0]
	v_mov_b32_e32 v73, v38
	s_waitcnt vmcnt(0)
	v_xor_b32_e32 v78, 0x80000000, v19
	v_mov_b32_e32 v79, v18
	v_mov_b32_e32 v68, v63
	v_pk_fma_f32 v[4:5], v[36:37], v[62:63], v[4:5] op_sel_hi:[1,0,1]
	v_pk_fma_f32 v[6:7], v[38:39], v[62:63], v[6:7] op_sel_hi:[1,0,1]
	;; [unrolled: 1-line block ×4, first 2 shown]
	v_pk_fma_f32 v[42:43], v[36:37], v[68:69], v[4:5] op_sel:[1,0,0] op_sel_hi:[0,0,1] neg_lo:[1,0,0]
	v_pk_fma_f32 v[40:41], v[72:73], v[68:69], v[6:7] op_sel_hi:[1,0,1]
	v_pk_fma_f32 v[38:39], v[16:17], v[68:69], v[0:1] op_sel:[1,0,0] op_sel_hi:[0,0,1] neg_lo:[1,0,0]
	v_pk_fma_f32 v[36:37], v[78:79], v[68:69], v[2:3] op_sel_hi:[1,0,1]
	s_andn2_b64 exec, exec, s[14:15]
	s_cbranch_execnz .LBB106_5
; %bb.6:
	s_or_b64 exec, exec, s[14:15]
.LBB106_7:
	s_or_b64 exec, exec, s[4:5]
	s_cbranch_execz .LBB106_9
	s_branch .LBB106_14
.LBB106_8:
                                        ; implicit-def: $vgpr43
                                        ; implicit-def: $vgpr37
                                        ; implicit-def: $vgpr39
                                        ; implicit-def: $vgpr41
.LBB106_9:
	v_mov_b32_e32 v43, 0
	v_mov_b32_e32 v42, v43
	;; [unrolled: 1-line block ×8, first 2 shown]
	s_and_saveexec_b64 s[4:5], s[2:3]
	s_cbranch_execz .LBB106_13
; %bb.10:
	v_mov_b32_e32 v13, 0
	v_lshlrev_b32_e32 v12, 5, v34
	s_mov_b64 s[2:3], 0
	v_mov_b32_e32 v36, v13
	v_mov_b32_e32 v37, v13
	v_mov_b32_e32 v38, v13
	v_mov_b32_e32 v39, v13
	v_mov_b32_e32 v40, v13
	v_mov_b32_e32 v41, v13
	v_mov_b32_e32 v42, v13
	v_mov_b32_e32 v43, v13
.LBB106_11:                             ; =>This Inner Loop Header: Depth=1
	v_ashrrev_i32_e32 v35, 31, v34
	v_lshl_add_u64 v[14:15], v[12:13], 3, s[8:9]
	v_lshl_add_u64 v[64:65], v[34:35], 2, s[6:7]
	global_load_dwordx4 v[4:7], v[14:15], off offset:16
	global_load_dwordx4 v[16:19], v[14:15], off
	global_load_dwordx4 v[20:23], v[14:15], off offset:80
	global_load_dwordx4 v[24:27], v[14:15], off offset:64
	;; [unrolled: 1-line block ×8, first 2 shown]
	global_load_dword v35, v[64:65], off
	v_mov_b32_e32 v49, v13
	v_add_u32_e32 v34, 16, v34
	v_cmp_ge_i32_e32 vcc, v34, v50
	v_add_u32_e32 v12, 0x200, v12
	s_or_b64 s[2:3], vcc, s[2:3]
	s_waitcnt vmcnt(9)
	v_xor_b32_e32 v72, 0x80000000, v19
	v_mov_b32_e32 v73, v18
	s_waitcnt vmcnt(7)
	v_xor_b32_e32 v74, 0x80000000, v27
	v_mov_b32_e32 v75, v26
	;; [unrolled: 3-line block ×3, first 2 shown]
	s_waitcnt vmcnt(0)
	v_subrev_u32_e32 v35, s12, v35
	v_lshlrev_b32_e32 v48, 3, v35
	v_lshl_add_u64 v[48:49], v[48:49], 3, s[10:11]
	global_load_dwordx4 v[64:67], v[48:49], off
	global_load_dwordx4 v[68:71], v[48:49], off offset:16
	s_waitcnt vmcnt(1)
	v_pk_fma_f32 v[42:43], v[16:17], v[64:65], v[42:43] op_sel_hi:[1,0,1]
	s_nop 0
	v_pk_fma_f32 v[16:17], v[16:17], v[64:65], v[42:43] op_sel:[1,1,0] op_sel_hi:[0,1,1] neg_lo:[1,0,0]
	v_pk_fma_f32 v[42:43], v[18:19], v[66:67], v[16:17] op_sel_hi:[1,0,1]
	v_pk_fma_f32 v[16:17], v[24:25], v[64:65], v[40:41] op_sel_hi:[1,0,1]
	s_nop 0
	v_pk_fma_f32 v[16:17], v[24:25], v[64:65], v[16:17] op_sel:[1,1,0] op_sel_hi:[0,1,1] neg_lo:[1,0,0]
	v_pk_fma_f32 v[24:25], v[52:53], v[64:65], v[38:39] op_sel_hi:[1,0,1]
	v_pk_fma_f32 v[40:41], v[26:27], v[66:67], v[16:17] op_sel_hi:[1,0,1]
	v_pk_fma_f32 v[24:25], v[52:53], v[64:65], v[24:25] op_sel:[1,1,0] op_sel_hi:[0,1,1] neg_lo:[1,0,0]
	v_pk_fma_f32 v[52:53], v[54:55], v[66:67], v[24:25] op_sel_hi:[1,0,1]
	v_pk_fma_f32 v[24:25], v[60:61], v[64:65], v[36:37] op_sel_hi:[1,0,1]
	v_mov_b32_e32 v55, v62
	v_pk_fma_f32 v[24:25], v[60:61], v[64:65], v[24:25] op_sel:[1,1,0] op_sel_hi:[0,1,1] neg_lo:[1,0,0]
	v_pk_fma_f32 v[60:61], v[62:63], v[66:67], v[24:25] op_sel_hi:[1,0,1]
	v_mov_b32_e32 v62, v67
	v_xor_b32_e32 v54, 0x80000000, v63
	v_pk_fma_f32 v[64:65], v[72:73], v[62:63], v[42:43] op_sel_hi:[1,0,1]
	v_pk_fma_f32 v[66:67], v[74:75], v[62:63], v[40:41] op_sel_hi:[1,0,1]
	;; [unrolled: 1-line block ×4, first 2 shown]
	v_xor_b32_e32 v62, 0x80000000, v5
	v_mov_b32_e32 v63, v4
	s_waitcnt vmcnt(0)
	v_pk_fma_f32 v[4:5], v[4:5], v[68:69], v[64:65] op_sel_hi:[1,0,1]
	global_load_dwordx4 v[16:19], v[14:15], off offset:112
	global_load_dwordx4 v[24:27], v[14:15], off offset:96
	v_pk_fma_f32 v[4:5], v[62:63], v[68:69], v[4:5] op_sel:[0,1,0]
	global_load_dwordx4 v[36:39], v[14:15], off offset:176
	global_load_dwordx4 v[40:43], v[14:15], off offset:160
	;; [unrolled: 1-line block ×3, first 2 shown]
	v_xor_b32_e32 v62, 0x80000000, v7
	v_mov_b32_e32 v63, v6
	v_pk_fma_f32 v[64:65], v[6:7], v[70:71], v[4:5] op_sel_hi:[1,0,1]
	global_load_dwordx4 v[4:7], v[14:15], off offset:224
	v_xor_b32_e32 v14, 0x80000000, v21
	v_mov_b32_e32 v15, v20
	v_pk_fma_f32 v[20:21], v[20:21], v[68:69], v[66:67] op_sel_hi:[1,0,1]
	v_xor_b32_e32 v66, 0x80000000, v23
	v_pk_fma_f32 v[14:15], v[14:15], v[68:69], v[20:21] op_sel:[0,1,0]
	v_mov_b32_e32 v67, v22
	v_pk_fma_f32 v[14:15], v[22:23], v[70:71], v[14:15] op_sel_hi:[1,0,1]
	v_xor_b32_e32 v20, 0x80000000, v45
	v_mov_b32_e32 v21, v44
	v_pk_fma_f32 v[22:23], v[44:45], v[68:69], v[72:73] op_sel_hi:[1,0,1]
	v_pk_fma_f32 v[44:45], v[56:57], v[68:69], v[60:61] op_sel_hi:[1,0,1]
	v_pk_fma_f32 v[20:21], v[20:21], v[68:69], v[22:23] op_sel:[0,1,0]
	v_xor_b32_e32 v22, 0x80000000, v57
	v_mov_b32_e32 v23, v56
	v_pk_fma_f32 v[44:45], v[22:23], v[68:69], v[44:45] op_sel:[0,1,0]
	v_pk_fma_f32 v[60:61], v[46:47], v[70:71], v[20:21] op_sel_hi:[1,0,1]
	global_load_dwordx4 v[20:23], v[48:49], off offset:32
	v_xor_b32_e32 v74, 0x80000000, v47
	v_mov_b32_e32 v75, v46
	v_xor_b32_e32 v56, 0x80000000, v59
	v_mov_b32_e32 v57, v58
	v_pk_fma_f32 v[58:59], v[58:59], v[70:71], v[44:45] op_sel_hi:[1,0,1]
	global_load_dwordx4 v[44:47], v[48:49], off offset:48
	v_mov_b32_e32 v68, v71
	v_pk_fma_f32 v[14:15], v[66:67], v[68:69], v[14:15] op_sel_hi:[1,0,1]
	v_pk_fma_f32 v[62:63], v[62:63], v[68:69], v[64:65] op_sel_hi:[1,0,1]
	;; [unrolled: 1-line block ×4, first 2 shown]
	v_xor_b32_e32 v48, 0x80000000, v11
	v_mov_b32_e32 v49, v10
	v_xor_b32_e32 v70, 0x80000000, v3
	v_mov_b32_e32 v71, v2
	s_waitcnt vmcnt(7)
	v_xor_b32_e32 v66, 0x80000000, v19
	s_waitcnt vmcnt(6)
	v_xor_b32_e32 v64, 0x80000000, v27
	v_mov_b32_e32 v65, v26
	v_mov_b32_e32 v67, v18
	s_waitcnt vmcnt(4)
	v_xor_b32_e32 v72, 0x80000000, v43
	v_mov_b32_e32 v73, v42
	v_xor_b32_e32 v58, 0x80000000, v39
	v_mov_b32_e32 v59, v38
	s_waitcnt vmcnt(2)
	v_xor_b32_e32 v68, 0x80000000, v7
	v_mov_b32_e32 v69, v6
	s_waitcnt vmcnt(1)
	v_pk_fma_f32 v[14:15], v[24:25], v[20:21], v[14:15] op_sel_hi:[1,0,1]
	s_nop 0
	v_pk_fma_f32 v[14:15], v[24:25], v[20:21], v[14:15] op_sel:[1,1,0] op_sel_hi:[0,1,1] neg_lo:[1,0,0]
	v_pk_fma_f32 v[62:63], v[8:9], v[20:21], v[62:63] op_sel_hi:[1,0,1]
	v_pk_fma_f32 v[14:15], v[26:27], v[22:23], v[14:15] op_sel_hi:[1,0,1]
	;; [unrolled: 1-line block ×4, first 2 shown]
	v_pk_fma_f32 v[8:9], v[8:9], v[20:21], v[62:63] op_sel:[1,1,0] op_sel_hi:[0,1,1] neg_lo:[1,0,0]
	v_pk_fma_f32 v[26:27], v[40:41], v[20:21], v[26:27] op_sel:[1,1,0] op_sel_hi:[0,1,1] neg_lo:[1,0,0]
	;; [unrolled: 1-line block ×3, first 2 shown]
	v_pk_fma_f32 v[8:9], v[10:11], v[22:23], v[8:9] op_sel_hi:[1,0,1]
	v_mov_b32_e32 v62, v23
	v_pk_fma_f32 v[20:21], v[42:43], v[22:23], v[26:27] op_sel_hi:[1,0,1]
	v_pk_fma_f32 v[4:5], v[6:7], v[22:23], v[4:5] op_sel_hi:[1,0,1]
	;; [unrolled: 1-line block ×6, first 2 shown]
	s_waitcnt vmcnt(0)
	v_pk_fma_f32 v[6:7], v[0:1], v[44:45], v[6:7] op_sel_hi:[1,0,1]
	v_pk_fma_f32 v[8:9], v[16:17], v[44:45], v[8:9] op_sel_hi:[1,0,1]
	v_pk_fma_f32 v[14:15], v[36:37], v[44:45], v[14:15] op_sel_hi:[1,0,1]
	v_pk_fma_f32 v[4:5], v[52:53], v[44:45], v[4:5] op_sel_hi:[1,0,1]
	v_pk_fma_f32 v[0:1], v[0:1], v[44:45], v[6:7] op_sel:[1,1,0] op_sel_hi:[0,1,1] neg_lo:[1,0,0]
	v_pk_fma_f32 v[6:7], v[16:17], v[44:45], v[8:9] op_sel:[1,1,0] op_sel_hi:[0,1,1] neg_lo:[1,0,0]
	;; [unrolled: 1-line block ×4, first 2 shown]
	v_xor_b32_e32 v10, 0x80000000, v55
	v_mov_b32_e32 v11, v54
	v_mov_b32_e32 v24, v47
	v_pk_fma_f32 v[0:1], v[2:3], v[46:47], v[0:1] op_sel_hi:[1,0,1]
	v_pk_fma_f32 v[2:3], v[18:19], v[46:47], v[6:7] op_sel_hi:[1,0,1]
	;; [unrolled: 1-line block ×8, first 2 shown]
	s_andn2_b64 exec, exec, s[2:3]
	s_cbranch_execnz .LBB106_11
; %bb.12:
	s_or_b64 exec, exec, s[2:3]
.LBB106_13:
	s_or_b64 exec, exec, s[4:5]
.LBB106_14:
	v_mov_b32_dpp v6, v41 row_shr:1 row_mask:0xf bank_mask:0xf
	v_add_f32_e32 v6, v41, v6
	v_mov_b32_dpp v0, v42 row_shr:1 row_mask:0xf bank_mask:0xf
	v_mov_b32_dpp v2, v43 row_shr:1 row_mask:0xf bank_mask:0xf
	;; [unrolled: 1-line block ×3, first 2 shown]
	v_add_f32_e32 v6, v6, v7
	v_mov_b32_dpp v4, v40 row_shr:1 row_mask:0xf bank_mask:0xf
	v_add_f32_e32 v0, v42, v0
	v_mov_b32_dpp v7, v6 row_shr:4 row_mask:0xf bank_mask:0xe
	;; [unrolled: 2-line block ×3, first 2 shown]
	v_add_f32_e32 v6, v38, v6
	v_add_f32_e32 v2, v43, v2
	;; [unrolled: 1-line block ×3, first 2 shown]
	v_mov_b32_dpp v9, v6 row_shr:2 row_mask:0xf bank_mask:0xf
	v_add_f32_e32 v6, v6, v9
	v_mov_b32_dpp v1, v0 row_shr:2 row_mask:0xf bank_mask:0xf
	v_mov_b32_dpp v3, v2 row_shr:2 row_mask:0xf bank_mask:0xf
	;; [unrolled: 1-line block ×3, first 2 shown]
	v_add_f32_e32 v9, v6, v9
	v_mov_b32_dpp v6, v39 row_shr:1 row_mask:0xf bank_mask:0xf
	v_add_f32_e32 v6, v39, v6
	v_mov_b32_dpp v5, v4 row_shr:2 row_mask:0xf bank_mask:0xf
	;; [unrolled: 2-line block ×3, first 2 shown]
	v_add_f32_e32 v6, v6, v11
	v_add_f32_e32 v2, v2, v3
	;; [unrolled: 1-line block ×3, first 2 shown]
	v_mov_b32_dpp v11, v6 row_shr:4 row_mask:0xf bank_mask:0xe
	v_add_f32_e32 v11, v6, v11
	v_mov_b32_dpp v6, v36 row_shr:1 row_mask:0xf bank_mask:0xf
	v_add_f32_e32 v6, v36, v6
	v_mov_b32_dpp v1, v0 row_shr:4 row_mask:0xf bank_mask:0xe
	v_mov_b32_dpp v3, v2 row_shr:4 row_mask:0xf bank_mask:0xe
	;; [unrolled: 1-line block ×3, first 2 shown]
	v_add_f32_e32 v6, v6, v12
	v_mov_b32_dpp v5, v4 row_shr:4 row_mask:0xf bank_mask:0xe
	v_add_f32_e32 v0, v0, v1
	v_mov_b32_dpp v12, v6 row_shr:4 row_mask:0xf bank_mask:0xe
	;; [unrolled: 2-line block ×3, first 2 shown]
	v_add_f32_e32 v6, v37, v6
	v_add_f32_e32 v2, v2, v3
	;; [unrolled: 1-line block ×3, first 2 shown]
	v_mov_b32_dpp v12, v6 row_shr:2 row_mask:0xf bank_mask:0xf
	v_add_f32_e32 v6, v6, v12
	v_mov_b32_dpp v1, v0 row_shr:8 row_mask:0xf bank_mask:0xc
	v_mov_b32_dpp v3, v2 row_shr:8 row_mask:0xf bank_mask:0xc
	;; [unrolled: 1-line block ×3, first 2 shown]
	v_add_f32_e32 v17, v6, v12
	v_mov_b32_dpp v5, v4 row_shr:8 row_mask:0xf bank_mask:0xc
	v_mov_b32_dpp v8, v7 row_shr:8 row_mask:0xf bank_mask:0xc
	;; [unrolled: 1-line block ×6, first 2 shown]
	v_cmp_eq_u32_e32 vcc, 15, v33
	s_and_b64 exec, exec, vcc
	s_cbranch_execz .LBB106_19
; %bb.15:
	s_load_dwordx2 s[2:3], s[0:1], 0x38
	v_cmp_eq_f32_e32 vcc, 0, v30
	v_cmp_eq_f32_e64 s[0:1], 0, v31
	v_add_f32_e32 v6, v0, v1
	v_add_f32_e32 v14, v2, v3
	;; [unrolled: 1-line block ×8, first 2 shown]
	s_and_b64 s[0:1], vcc, s[0:1]
	s_and_saveexec_b64 s[4:5], s[0:1]
	s_xor_b64 s[0:1], exec, s[4:5]
	s_cbranch_execz .LBB106_17
; %bb.16:
	v_xor_b32_e32 v18, 0x80000000, v29
	v_mov_b32_e32 v19, v28
	v_lshlrev_b32_e32 v16, 2, v32
	v_pk_mul_f32 v[14:15], v[14:15], v[18:19] op_sel_hi:[0,1]
	v_ashrrev_i32_e32 v17, 31, v16
	v_pk_fma_f32 v[14:15], v[28:29], v[6:7], v[14:15] op_sel_hi:[1,0,1]
	v_pk_mul_f32 v[6:7], v[12:13], v[18:19] op_sel_hi:[0,1]
	s_waitcnt lgkmcnt(0)
	v_lshl_add_u64 v[20:21], v[16:17], 3, s[2:3]
	v_pk_fma_f32 v[16:17], v[28:29], v[4:5], v[6:7] op_sel_hi:[1,0,1]
	v_pk_mul_f32 v[4:5], v[10:11], v[18:19] op_sel_hi:[0,1]
	v_pk_fma_f32 v[2:3], v[28:29], v[2:3], v[4:5] op_sel_hi:[1,0,1]
	v_pk_mul_f32 v[4:5], v[8:9], v[18:19] op_sel_hi:[0,1]
	v_pk_fma_f32 v[4:5], v[28:29], v[0:1], v[4:5] op_sel_hi:[1,0,1]
	global_store_dwordx4 v[20:21], v[14:17], off
	global_store_dwordx4 v[20:21], v[2:5], off offset:16
                                        ; implicit-def: $vgpr32
                                        ; implicit-def: $vgpr6
                                        ; implicit-def: $vgpr14
                                        ; implicit-def: $vgpr4
                                        ; implicit-def: $vgpr12
                                        ; implicit-def: $vgpr2
                                        ; implicit-def: $vgpr10
                                        ; implicit-def: $vgpr0
                                        ; implicit-def: $vgpr8
                                        ; implicit-def: $vgpr28_vgpr29
                                        ; implicit-def: $vgpr30_vgpr31
.LBB106_17:
	s_andn2_saveexec_b64 s[0:1], s[0:1]
	s_cbranch_execz .LBB106_19
; %bb.18:
	v_lshlrev_b32_e32 v16, 2, v32
	v_ashrrev_i32_e32 v17, 31, v16
	s_waitcnt lgkmcnt(0)
	v_lshl_add_u64 v[24:25], v[16:17], 3, s[2:3]
	global_load_dwordx4 v[16:19], v[24:25], off
	global_load_dwordx4 v[20:23], v[24:25], off offset:16
	v_xor_b32_e32 v26, 0x80000000, v29
	v_mov_b32_e32 v27, v28
	v_pk_mul_f32 v[14:15], v[14:15], v[26:27] op_sel_hi:[0,1]
	v_pk_mul_f32 v[12:13], v[12:13], v[26:27] op_sel_hi:[0,1]
	;; [unrolled: 1-line block ×4, first 2 shown]
	v_pk_fma_f32 v[6:7], v[28:29], v[6:7], v[14:15] op_sel_hi:[1,0,1]
	v_pk_fma_f32 v[4:5], v[28:29], v[4:5], v[12:13] op_sel_hi:[1,0,1]
	v_xor_b32_e32 v32, 0x80000000, v31
	v_mov_b32_e32 v33, v30
	v_pk_fma_f32 v[2:3], v[28:29], v[2:3], v[10:11] op_sel_hi:[1,0,1]
	v_pk_fma_f32 v[0:1], v[28:29], v[0:1], v[8:9] op_sel_hi:[1,0,1]
	s_waitcnt vmcnt(1)
	v_pk_fma_f32 v[6:7], v[30:31], v[16:17], v[6:7] op_sel_hi:[1,0,1]
	v_pk_fma_f32 v[4:5], v[30:31], v[18:19], v[4:5] op_sel_hi:[1,0,1]
	v_mov_b32_e32 v8, v19
	s_waitcnt vmcnt(0)
	v_pk_fma_f32 v[10:11], v[30:31], v[20:21], v[2:3] op_sel_hi:[1,0,1]
	v_pk_fma_f32 v[12:13], v[30:31], v[22:23], v[0:1] op_sel_hi:[1,0,1]
	v_mov_b32_e32 v14, v23
	v_pk_fma_f32 v[0:1], v[32:33], v[16:17], v[6:7] op_sel:[0,1,0]
	v_pk_fma_f32 v[2:3], v[32:33], v[8:9], v[4:5] op_sel_hi:[1,0,1]
	v_pk_fma_f32 v[4:5], v[32:33], v[20:21], v[10:11] op_sel:[0,1,0]
	v_pk_fma_f32 v[6:7], v[32:33], v[14:15], v[12:13] op_sel_hi:[1,0,1]
	global_store_dwordx4 v[24:25], v[0:3], off
	global_store_dwordx4 v[24:25], v[4:7], off offset:16
.LBB106_19:
	s_endpgm
	.section	.rodata,"a",@progbits
	.p2align	6, 0x0
	.amdhsa_kernel _ZN9rocsparseL19gebsrmvn_4xn_kernelILj128ELj8ELj16E21rocsparse_complex_numIfEEEvi20rocsparse_direction_NS_24const_host_device_scalarIT2_EEPKiS8_PKS5_SA_S6_PS5_21rocsparse_index_base_b
		.amdhsa_group_segment_fixed_size 0
		.amdhsa_private_segment_fixed_size 0
		.amdhsa_kernarg_size 72
		.amdhsa_user_sgpr_count 2
		.amdhsa_user_sgpr_dispatch_ptr 0
		.amdhsa_user_sgpr_queue_ptr 0
		.amdhsa_user_sgpr_kernarg_segment_ptr 1
		.amdhsa_user_sgpr_dispatch_id 0
		.amdhsa_user_sgpr_kernarg_preload_length 0
		.amdhsa_user_sgpr_kernarg_preload_offset 0
		.amdhsa_user_sgpr_private_segment_size 0
		.amdhsa_uses_dynamic_stack 0
		.amdhsa_enable_private_segment 0
		.amdhsa_system_sgpr_workgroup_id_x 1
		.amdhsa_system_sgpr_workgroup_id_y 0
		.amdhsa_system_sgpr_workgroup_id_z 0
		.amdhsa_system_sgpr_workgroup_info 0
		.amdhsa_system_vgpr_workitem_id 0
		.amdhsa_next_free_vgpr 90
		.amdhsa_next_free_sgpr 16
		.amdhsa_accum_offset 92
		.amdhsa_reserve_vcc 1
		.amdhsa_float_round_mode_32 0
		.amdhsa_float_round_mode_16_64 0
		.amdhsa_float_denorm_mode_32 3
		.amdhsa_float_denorm_mode_16_64 3
		.amdhsa_dx10_clamp 1
		.amdhsa_ieee_mode 1
		.amdhsa_fp16_overflow 0
		.amdhsa_tg_split 0
		.amdhsa_exception_fp_ieee_invalid_op 0
		.amdhsa_exception_fp_denorm_src 0
		.amdhsa_exception_fp_ieee_div_zero 0
		.amdhsa_exception_fp_ieee_overflow 0
		.amdhsa_exception_fp_ieee_underflow 0
		.amdhsa_exception_fp_ieee_inexact 0
		.amdhsa_exception_int_div_zero 0
	.end_amdhsa_kernel
	.section	.text._ZN9rocsparseL19gebsrmvn_4xn_kernelILj128ELj8ELj16E21rocsparse_complex_numIfEEEvi20rocsparse_direction_NS_24const_host_device_scalarIT2_EEPKiS8_PKS5_SA_S6_PS5_21rocsparse_index_base_b,"axG",@progbits,_ZN9rocsparseL19gebsrmvn_4xn_kernelILj128ELj8ELj16E21rocsparse_complex_numIfEEEvi20rocsparse_direction_NS_24const_host_device_scalarIT2_EEPKiS8_PKS5_SA_S6_PS5_21rocsparse_index_base_b,comdat
.Lfunc_end106:
	.size	_ZN9rocsparseL19gebsrmvn_4xn_kernelILj128ELj8ELj16E21rocsparse_complex_numIfEEEvi20rocsparse_direction_NS_24const_host_device_scalarIT2_EEPKiS8_PKS5_SA_S6_PS5_21rocsparse_index_base_b, .Lfunc_end106-_ZN9rocsparseL19gebsrmvn_4xn_kernelILj128ELj8ELj16E21rocsparse_complex_numIfEEEvi20rocsparse_direction_NS_24const_host_device_scalarIT2_EEPKiS8_PKS5_SA_S6_PS5_21rocsparse_index_base_b
                                        ; -- End function
	.set _ZN9rocsparseL19gebsrmvn_4xn_kernelILj128ELj8ELj16E21rocsparse_complex_numIfEEEvi20rocsparse_direction_NS_24const_host_device_scalarIT2_EEPKiS8_PKS5_SA_S6_PS5_21rocsparse_index_base_b.num_vgpr, 90
	.set _ZN9rocsparseL19gebsrmvn_4xn_kernelILj128ELj8ELj16E21rocsparse_complex_numIfEEEvi20rocsparse_direction_NS_24const_host_device_scalarIT2_EEPKiS8_PKS5_SA_S6_PS5_21rocsparse_index_base_b.num_agpr, 0
	.set _ZN9rocsparseL19gebsrmvn_4xn_kernelILj128ELj8ELj16E21rocsparse_complex_numIfEEEvi20rocsparse_direction_NS_24const_host_device_scalarIT2_EEPKiS8_PKS5_SA_S6_PS5_21rocsparse_index_base_b.numbered_sgpr, 16
	.set _ZN9rocsparseL19gebsrmvn_4xn_kernelILj128ELj8ELj16E21rocsparse_complex_numIfEEEvi20rocsparse_direction_NS_24const_host_device_scalarIT2_EEPKiS8_PKS5_SA_S6_PS5_21rocsparse_index_base_b.num_named_barrier, 0
	.set _ZN9rocsparseL19gebsrmvn_4xn_kernelILj128ELj8ELj16E21rocsparse_complex_numIfEEEvi20rocsparse_direction_NS_24const_host_device_scalarIT2_EEPKiS8_PKS5_SA_S6_PS5_21rocsparse_index_base_b.private_seg_size, 0
	.set _ZN9rocsparseL19gebsrmvn_4xn_kernelILj128ELj8ELj16E21rocsparse_complex_numIfEEEvi20rocsparse_direction_NS_24const_host_device_scalarIT2_EEPKiS8_PKS5_SA_S6_PS5_21rocsparse_index_base_b.uses_vcc, 1
	.set _ZN9rocsparseL19gebsrmvn_4xn_kernelILj128ELj8ELj16E21rocsparse_complex_numIfEEEvi20rocsparse_direction_NS_24const_host_device_scalarIT2_EEPKiS8_PKS5_SA_S6_PS5_21rocsparse_index_base_b.uses_flat_scratch, 0
	.set _ZN9rocsparseL19gebsrmvn_4xn_kernelILj128ELj8ELj16E21rocsparse_complex_numIfEEEvi20rocsparse_direction_NS_24const_host_device_scalarIT2_EEPKiS8_PKS5_SA_S6_PS5_21rocsparse_index_base_b.has_dyn_sized_stack, 0
	.set _ZN9rocsparseL19gebsrmvn_4xn_kernelILj128ELj8ELj16E21rocsparse_complex_numIfEEEvi20rocsparse_direction_NS_24const_host_device_scalarIT2_EEPKiS8_PKS5_SA_S6_PS5_21rocsparse_index_base_b.has_recursion, 0
	.set _ZN9rocsparseL19gebsrmvn_4xn_kernelILj128ELj8ELj16E21rocsparse_complex_numIfEEEvi20rocsparse_direction_NS_24const_host_device_scalarIT2_EEPKiS8_PKS5_SA_S6_PS5_21rocsparse_index_base_b.has_indirect_call, 0
	.section	.AMDGPU.csdata,"",@progbits
; Kernel info:
; codeLenInByte = 3316
; TotalNumSgprs: 22
; NumVgprs: 90
; NumAgprs: 0
; TotalNumVgprs: 90
; ScratchSize: 0
; MemoryBound: 0
; FloatMode: 240
; IeeeMode: 1
; LDSByteSize: 0 bytes/workgroup (compile time only)
; SGPRBlocks: 2
; VGPRBlocks: 11
; NumSGPRsForWavesPerEU: 22
; NumVGPRsForWavesPerEU: 90
; AccumOffset: 92
; Occupancy: 5
; WaveLimiterHint : 1
; COMPUTE_PGM_RSRC2:SCRATCH_EN: 0
; COMPUTE_PGM_RSRC2:USER_SGPR: 2
; COMPUTE_PGM_RSRC2:TRAP_HANDLER: 0
; COMPUTE_PGM_RSRC2:TGID_X_EN: 1
; COMPUTE_PGM_RSRC2:TGID_Y_EN: 0
; COMPUTE_PGM_RSRC2:TGID_Z_EN: 0
; COMPUTE_PGM_RSRC2:TIDIG_COMP_CNT: 0
; COMPUTE_PGM_RSRC3_GFX90A:ACCUM_OFFSET: 22
; COMPUTE_PGM_RSRC3_GFX90A:TG_SPLIT: 0
	.section	.text._ZN9rocsparseL19gebsrmvn_4xn_kernelILj128ELj8ELj32E21rocsparse_complex_numIfEEEvi20rocsparse_direction_NS_24const_host_device_scalarIT2_EEPKiS8_PKS5_SA_S6_PS5_21rocsparse_index_base_b,"axG",@progbits,_ZN9rocsparseL19gebsrmvn_4xn_kernelILj128ELj8ELj32E21rocsparse_complex_numIfEEEvi20rocsparse_direction_NS_24const_host_device_scalarIT2_EEPKiS8_PKS5_SA_S6_PS5_21rocsparse_index_base_b,comdat
	.globl	_ZN9rocsparseL19gebsrmvn_4xn_kernelILj128ELj8ELj32E21rocsparse_complex_numIfEEEvi20rocsparse_direction_NS_24const_host_device_scalarIT2_EEPKiS8_PKS5_SA_S6_PS5_21rocsparse_index_base_b ; -- Begin function _ZN9rocsparseL19gebsrmvn_4xn_kernelILj128ELj8ELj32E21rocsparse_complex_numIfEEEvi20rocsparse_direction_NS_24const_host_device_scalarIT2_EEPKiS8_PKS5_SA_S6_PS5_21rocsparse_index_base_b
	.p2align	8
	.type	_ZN9rocsparseL19gebsrmvn_4xn_kernelILj128ELj8ELj32E21rocsparse_complex_numIfEEEvi20rocsparse_direction_NS_24const_host_device_scalarIT2_EEPKiS8_PKS5_SA_S6_PS5_21rocsparse_index_base_b,@function
_ZN9rocsparseL19gebsrmvn_4xn_kernelILj128ELj8ELj32E21rocsparse_complex_numIfEEEvi20rocsparse_direction_NS_24const_host_device_scalarIT2_EEPKiS8_PKS5_SA_S6_PS5_21rocsparse_index_base_b: ; @_ZN9rocsparseL19gebsrmvn_4xn_kernelILj128ELj8ELj32E21rocsparse_complex_numIfEEEvi20rocsparse_direction_NS_24const_host_device_scalarIT2_EEPKiS8_PKS5_SA_S6_PS5_21rocsparse_index_base_b
; %bb.0:
	s_load_dwordx2 s[4:5], s[0:1], 0x8
	s_load_dwordx2 s[6:7], s[0:1], 0x30
	;; [unrolled: 1-line block ×3, first 2 shown]
	s_add_u32 s3, s0, 8
	s_addc_u32 s8, s1, 0
	s_add_u32 s9, s0, 48
	s_addc_u32 s10, s1, 0
	s_waitcnt lgkmcnt(0)
	s_bitcmp1_b32 s13, 0
	s_cselect_b32 s3, s3, s4
	s_cselect_b32 s5, s8, s5
	v_mov_b32_e32 v2, s3
	s_cselect_b32 s3, s10, s7
	s_cselect_b32 s4, s9, s6
	v_mov_b32_e32 v3, s5
	v_mov_b32_e32 v4, s4
	;; [unrolled: 1-line block ×3, first 2 shown]
	flat_load_dwordx2 v[28:29], v[2:3]
	flat_load_dwordx2 v[30:31], v[4:5]
	s_waitcnt vmcnt(0) lgkmcnt(0)
	v_cmp_eq_f32_e32 vcc, 0, v28
	v_cmp_eq_f32_e64 s[4:5], 0, v29
	v_cmp_eq_f32_e64 s[6:7], 1.0, v30
	v_cmp_eq_f32_e64 s[8:9], 0, v31
	s_and_b64 s[4:5], vcc, s[4:5]
	s_and_b64 s[6:7], s[6:7], s[8:9]
	s_and_b64 s[4:5], s[4:5], s[6:7]
	s_xor_b64 s[4:5], s[4:5], -1
	s_and_saveexec_b64 s[6:7], s[4:5]
	s_cbranch_execz .LBB107_19
; %bb.1:
	s_load_dwordx2 s[14:15], s[0:1], 0x0
	v_lshrrev_b32_e32 v1, 5, v0
	v_lshl_or_b32 v32, s2, 2, v1
	s_waitcnt lgkmcnt(0)
	v_cmp_gt_i32_e32 vcc, s14, v32
	s_and_b64 exec, exec, vcc
	s_cbranch_execz .LBB107_19
; %bb.2:
	s_load_dwordx8 s[4:11], s[0:1], 0x10
	v_ashrrev_i32_e32 v33, 31, v32
	s_cmp_lg_u32 s15, 0
	s_waitcnt lgkmcnt(0)
	v_lshl_add_u64 v[2:3], v[32:33], 2, s[4:5]
	global_load_dwordx2 v[2:3], v[2:3], off
	v_and_b32_e32 v33, 31, v0
	s_waitcnt vmcnt(0)
	v_subrev_u32_e32 v0, s12, v2
	v_subrev_u32_e32 v50, s12, v3
	v_add_u32_e32 v34, v0, v33
	v_cmp_lt_i32_e64 s[2:3], v34, v50
	s_cbranch_scc0 .LBB107_8
; %bb.3:
	v_mov_b32_e32 v43, 0
	v_mov_b32_e32 v42, v43
	;; [unrolled: 1-line block ×8, first 2 shown]
	s_and_saveexec_b64 s[4:5], s[2:3]
	s_cbranch_execz .LBB107_7
; %bb.4:
	v_mov_b32_e32 v45, 0
	v_lshlrev_b32_e32 v44, 5, v34
	s_mov_b64 s[14:15], 0
	v_mov_b32_e32 v46, v34
	v_mov_b32_e32 v36, v45
	;; [unrolled: 1-line block ×9, first 2 shown]
.LBB107_5:                              ; =>This Inner Loop Header: Depth=1
	v_ashrrev_i32_e32 v47, 31, v46
	v_lshl_add_u64 v[48:49], v[44:45], 3, s[8:9]
	v_lshl_add_u64 v[74:75], v[46:47], 2, s[6:7]
	global_load_dwordx4 v[52:55], v[48:49], off offset:48
	global_load_dwordx4 v[56:59], v[48:49], off offset:32
	;; [unrolled: 1-line block ×3, first 2 shown]
	global_load_dwordx4 v[64:67], v[48:49], off
	global_load_dwordx4 v[0:3], v[48:49], off offset:112
	global_load_dwordx4 v[4:7], v[48:49], off offset:96
	;; [unrolled: 1-line block ×8, first 2 shown]
	global_load_dword v35, v[74:75], off
	v_mov_b32_e32 v73, v45
	v_add_u32_e32 v46, 32, v46
	v_cmp_ge_i32_e32 vcc, v46, v50
	v_add_u32_e32 v44, 0x400, v44
	s_or_b64 s[14:15], vcc, s[14:15]
	s_waitcnt vmcnt(9)
	v_xor_b32_e32 v80, 0x80000000, v67
	v_mov_b32_e32 v81, v66
	s_waitcnt vmcnt(5)
	v_xor_b32_e32 v86, 0x80000000, v69
	v_mov_b32_e32 v87, v68
	v_xor_b32_e32 v88, 0x80000000, v71
	v_mov_b32_e32 v89, v70
	s_waitcnt vmcnt(0)
	v_subrev_u32_e32 v35, s12, v35
	v_lshlrev_b32_e32 v72, 3, v35
	v_lshl_add_u64 v[82:83], v[72:73], 3, s[10:11]
	global_load_dwordx4 v[72:75], v[82:83], off
	global_load_dwordx4 v[76:79], v[82:83], off offset:16
	s_waitcnt vmcnt(1)
	v_pk_fma_f32 v[42:43], v[64:65], v[72:73], v[42:43] op_sel_hi:[1,0,1]
	v_pk_fma_f32 v[40:41], v[66:67], v[72:73], v[40:41] op_sel_hi:[1,0,1]
	v_xor_b32_e32 v66, 0x80000000, v63
	v_mov_b32_e32 v67, v62
	v_pk_fma_f32 v[38:39], v[60:61], v[72:73], v[38:39] op_sel_hi:[1,0,1]
	v_pk_fma_f32 v[62:63], v[62:63], v[72:73], v[36:37] op_sel_hi:[1,0,1]
	v_pk_fma_f32 v[64:65], v[64:65], v[72:73], v[42:43] op_sel:[1,1,0] op_sel_hi:[0,1,1] neg_lo:[1,0,0]
	v_pk_fma_f32 v[60:61], v[60:61], v[72:73], v[38:39] op_sel:[1,1,0] op_sel_hi:[0,1,1] neg_lo:[1,0,0]
	v_pk_fma_f32 v[80:81], v[80:81], v[72:73], v[40:41] op_sel:[0,1,0]
	v_pk_fma_f32 v[62:63], v[66:67], v[72:73], v[62:63] op_sel:[0,1,0]
	v_xor_b32_e32 v66, 0x80000000, v59
	v_mov_b32_e32 v67, v58
	v_pk_fma_f32 v[64:65], v[56:57], v[74:75], v[64:65] op_sel_hi:[1,0,1]
	v_pk_fma_f32 v[72:73], v[58:59], v[74:75], v[80:81] op_sel_hi:[1,0,1]
	;; [unrolled: 1-line block ×4, first 2 shown]
	v_mov_b32_e32 v74, v75
	v_pk_fma_f32 v[64:65], v[56:57], v[74:75], v[64:65] op_sel:[1,0,0] op_sel_hi:[0,0,1] neg_lo:[1,0,0]
	v_xor_b32_e32 v80, 0x80000000, v55
	v_mov_b32_e32 v81, v54
	v_pk_fma_f32 v[84:85], v[52:53], v[74:75], v[60:61] op_sel:[1,0,0] op_sel_hi:[0,0,1] neg_lo:[1,0,0]
	v_pk_fma_f32 v[52:53], v[66:67], v[74:75], v[72:73] op_sel_hi:[1,0,1]
	global_load_dwordx4 v[36:39], v[48:49], off offset:224
	global_load_dwordx4 v[40:43], v[48:49], off offset:192
	;; [unrolled: 1-line block ×3, first 2 shown]
	v_pk_fma_f32 v[72:73], v[80:81], v[74:75], v[62:63] op_sel_hi:[1,0,1]
	s_waitcnt vmcnt(3)
	v_pk_fma_f32 v[64:65], v[68:69], v[76:77], v[64:65] op_sel_hi:[1,0,1]
	v_pk_fma_f32 v[68:69], v[70:71], v[76:77], v[52:53] op_sel_hi:[1,0,1]
	global_load_dwordx4 v[52:55], v[82:83], off offset:32
	global_load_dwordx4 v[60:63], v[82:83], off offset:48
	v_xor_b32_e32 v66, 0x80000000, v17
	v_xor_b32_e32 v74, 0x80000000, v19
	v_mov_b32_e32 v67, v16
	v_mov_b32_e32 v75, v18
	v_pk_fma_f32 v[70:71], v[16:17], v[76:77], v[84:85] op_sel_hi:[1,0,1]
	v_pk_fma_f32 v[72:73], v[18:19], v[76:77], v[72:73] op_sel_hi:[1,0,1]
	global_load_dwordx4 v[16:19], v[48:49], off offset:240
	v_pk_fma_f32 v[64:65], v[86:87], v[76:77], v[64:65] op_sel:[0,1,0]
	v_pk_fma_f32 v[68:69], v[88:89], v[76:77], v[68:69] op_sel:[0,1,0]
	;; [unrolled: 1-line block ×4, first 2 shown]
	v_xor_b32_e32 v48, 0x80000000, v7
	v_mov_b32_e32 v49, v6
	v_xor_b32_e32 v80, 0x80000000, v3
	v_mov_b32_e32 v81, v2
	v_pk_fma_f32 v[64:65], v[4:5], v[78:79], v[64:65] op_sel_hi:[1,0,1]
	v_pk_fma_f32 v[6:7], v[6:7], v[78:79], v[68:69] op_sel_hi:[1,0,1]
	;; [unrolled: 1-line block ×4, first 2 shown]
	v_mov_b32_e32 v68, v79
	v_pk_fma_f32 v[4:5], v[4:5], v[68:69], v[64:65] op_sel:[1,0,0] op_sel_hi:[0,0,1] neg_lo:[1,0,0]
	v_pk_fma_f32 v[0:1], v[0:1], v[68:69], v[66:67] op_sel:[1,0,0] op_sel_hi:[0,0,1] neg_lo:[1,0,0]
	v_pk_fma_f32 v[6:7], v[48:49], v[68:69], v[6:7] op_sel_hi:[1,0,1]
	v_pk_fma_f32 v[2:3], v[80:81], v[68:69], v[2:3] op_sel_hi:[1,0,1]
	v_xor_b32_e32 v82, 0x80000000, v27
	v_mov_b32_e32 v83, v26
	v_xor_b32_e32 v64, 0x80000000, v23
	v_mov_b32_e32 v65, v22
	;; [unrolled: 2-line block ×4, first 2 shown]
	s_waitcnt vmcnt(5)
	v_xor_b32_e32 v72, 0x80000000, v39
	s_waitcnt vmcnt(4)
	v_xor_b32_e32 v74, 0x80000000, v43
	v_mov_b32_e32 v75, v42
	s_waitcnt vmcnt(3)
	v_xor_b32_e32 v66, 0x80000000, v59
	v_mov_b32_e32 v67, v58
	s_waitcnt vmcnt(2)
	v_pk_fma_f32 v[4:5], v[24:25], v[52:53], v[4:5] op_sel_hi:[1,0,1]
	v_pk_fma_f32 v[6:7], v[26:27], v[52:53], v[6:7] op_sel_hi:[1,0,1]
	;; [unrolled: 1-line block ×4, first 2 shown]
	v_pk_fma_f32 v[4:5], v[24:25], v[52:53], v[4:5] op_sel:[1,1,0] op_sel_hi:[0,1,1] neg_lo:[1,0,0]
	v_pk_fma_f32 v[0:1], v[20:21], v[52:53], v[0:1] op_sel:[1,1,0] op_sel_hi:[0,1,1] neg_lo:[1,0,0]
	v_pk_fma_f32 v[6:7], v[82:83], v[52:53], v[6:7] op_sel:[0,1,0]
	v_pk_fma_f32 v[2:3], v[64:65], v[52:53], v[2:3] op_sel:[0,1,0]
	v_mov_b32_e32 v48, v55
	v_pk_fma_f32 v[4:5], v[12:13], v[54:55], v[4:5] op_sel_hi:[1,0,1]
	v_pk_fma_f32 v[6:7], v[14:15], v[54:55], v[6:7] op_sel_hi:[1,0,1]
	;; [unrolled: 1-line block ×4, first 2 shown]
	v_pk_fma_f32 v[4:5], v[12:13], v[48:49], v[4:5] op_sel:[1,0,0] op_sel_hi:[0,0,1] neg_lo:[1,0,0]
	v_pk_fma_f32 v[6:7], v[70:71], v[48:49], v[6:7] op_sel_hi:[1,0,1]
	v_pk_fma_f32 v[0:1], v[8:9], v[48:49], v[0:1] op_sel:[1,0,0] op_sel_hi:[0,0,1] neg_lo:[1,0,0]
	v_pk_fma_f32 v[2:3], v[76:77], v[48:49], v[2:3] op_sel_hi:[1,0,1]
	s_waitcnt vmcnt(1)
	v_pk_fma_f32 v[4:5], v[40:41], v[60:61], v[4:5] op_sel_hi:[1,0,1]
	v_pk_fma_f32 v[6:7], v[42:43], v[60:61], v[6:7] op_sel_hi:[1,0,1]
	;; [unrolled: 1-line block ×4, first 2 shown]
	v_pk_fma_f32 v[4:5], v[40:41], v[60:61], v[4:5] op_sel:[1,1,0] op_sel_hi:[0,1,1] neg_lo:[1,0,0]
	v_pk_fma_f32 v[6:7], v[74:75], v[60:61], v[6:7] op_sel:[0,1,0]
	v_pk_fma_f32 v[0:1], v[56:57], v[60:61], v[0:1] op_sel:[1,1,0] op_sel_hi:[0,1,1] neg_lo:[1,0,0]
	v_pk_fma_f32 v[2:3], v[66:67], v[60:61], v[2:3] op_sel:[0,1,0]
	v_mov_b32_e32 v73, v38
	s_waitcnt vmcnt(0)
	v_xor_b32_e32 v78, 0x80000000, v19
	v_mov_b32_e32 v79, v18
	v_mov_b32_e32 v68, v63
	v_pk_fma_f32 v[4:5], v[36:37], v[62:63], v[4:5] op_sel_hi:[1,0,1]
	v_pk_fma_f32 v[6:7], v[38:39], v[62:63], v[6:7] op_sel_hi:[1,0,1]
	;; [unrolled: 1-line block ×4, first 2 shown]
	v_pk_fma_f32 v[42:43], v[36:37], v[68:69], v[4:5] op_sel:[1,0,0] op_sel_hi:[0,0,1] neg_lo:[1,0,0]
	v_pk_fma_f32 v[40:41], v[72:73], v[68:69], v[6:7] op_sel_hi:[1,0,1]
	v_pk_fma_f32 v[38:39], v[16:17], v[68:69], v[0:1] op_sel:[1,0,0] op_sel_hi:[0,0,1] neg_lo:[1,0,0]
	v_pk_fma_f32 v[36:37], v[78:79], v[68:69], v[2:3] op_sel_hi:[1,0,1]
	s_andn2_b64 exec, exec, s[14:15]
	s_cbranch_execnz .LBB107_5
; %bb.6:
	s_or_b64 exec, exec, s[14:15]
.LBB107_7:
	s_or_b64 exec, exec, s[4:5]
	s_cbranch_execz .LBB107_9
	s_branch .LBB107_14
.LBB107_8:
                                        ; implicit-def: $vgpr43
                                        ; implicit-def: $vgpr37
                                        ; implicit-def: $vgpr39
                                        ; implicit-def: $vgpr41
.LBB107_9:
	v_mov_b32_e32 v43, 0
	v_mov_b32_e32 v42, v43
	;; [unrolled: 1-line block ×8, first 2 shown]
	s_and_saveexec_b64 s[4:5], s[2:3]
	s_cbranch_execz .LBB107_13
; %bb.10:
	v_mov_b32_e32 v13, 0
	v_lshlrev_b32_e32 v12, 5, v34
	s_mov_b64 s[2:3], 0
	v_mov_b32_e32 v36, v13
	v_mov_b32_e32 v37, v13
	;; [unrolled: 1-line block ×8, first 2 shown]
.LBB107_11:                             ; =>This Inner Loop Header: Depth=1
	v_ashrrev_i32_e32 v35, 31, v34
	v_lshl_add_u64 v[14:15], v[12:13], 3, s[8:9]
	v_lshl_add_u64 v[64:65], v[34:35], 2, s[6:7]
	global_load_dwordx4 v[4:7], v[14:15], off offset:16
	global_load_dwordx4 v[16:19], v[14:15], off
	global_load_dwordx4 v[20:23], v[14:15], off offset:80
	global_load_dwordx4 v[24:27], v[14:15], off offset:64
	;; [unrolled: 1-line block ×8, first 2 shown]
	global_load_dword v35, v[64:65], off
	v_mov_b32_e32 v49, v13
	v_add_u32_e32 v34, 32, v34
	v_cmp_ge_i32_e32 vcc, v34, v50
	v_add_u32_e32 v12, 0x400, v12
	s_or_b64 s[2:3], vcc, s[2:3]
	s_waitcnt vmcnt(9)
	v_xor_b32_e32 v72, 0x80000000, v19
	v_mov_b32_e32 v73, v18
	s_waitcnt vmcnt(7)
	v_xor_b32_e32 v74, 0x80000000, v27
	v_mov_b32_e32 v75, v26
	s_waitcnt vmcnt(5)
	v_xor_b32_e32 v76, 0x80000000, v55
	v_mov_b32_e32 v77, v54
	s_waitcnt vmcnt(0)
	v_subrev_u32_e32 v35, s12, v35
	v_lshlrev_b32_e32 v48, 3, v35
	v_lshl_add_u64 v[48:49], v[48:49], 3, s[10:11]
	global_load_dwordx4 v[64:67], v[48:49], off
	global_load_dwordx4 v[68:71], v[48:49], off offset:16
	s_waitcnt vmcnt(1)
	v_pk_fma_f32 v[42:43], v[16:17], v[64:65], v[42:43] op_sel_hi:[1,0,1]
	s_nop 0
	v_pk_fma_f32 v[16:17], v[16:17], v[64:65], v[42:43] op_sel:[1,1,0] op_sel_hi:[0,1,1] neg_lo:[1,0,0]
	v_pk_fma_f32 v[42:43], v[18:19], v[66:67], v[16:17] op_sel_hi:[1,0,1]
	v_pk_fma_f32 v[16:17], v[24:25], v[64:65], v[40:41] op_sel_hi:[1,0,1]
	s_nop 0
	v_pk_fma_f32 v[16:17], v[24:25], v[64:65], v[16:17] op_sel:[1,1,0] op_sel_hi:[0,1,1] neg_lo:[1,0,0]
	v_pk_fma_f32 v[24:25], v[52:53], v[64:65], v[38:39] op_sel_hi:[1,0,1]
	v_pk_fma_f32 v[40:41], v[26:27], v[66:67], v[16:17] op_sel_hi:[1,0,1]
	v_pk_fma_f32 v[24:25], v[52:53], v[64:65], v[24:25] op_sel:[1,1,0] op_sel_hi:[0,1,1] neg_lo:[1,0,0]
	v_pk_fma_f32 v[52:53], v[54:55], v[66:67], v[24:25] op_sel_hi:[1,0,1]
	v_pk_fma_f32 v[24:25], v[60:61], v[64:65], v[36:37] op_sel_hi:[1,0,1]
	v_mov_b32_e32 v55, v62
	v_pk_fma_f32 v[24:25], v[60:61], v[64:65], v[24:25] op_sel:[1,1,0] op_sel_hi:[0,1,1] neg_lo:[1,0,0]
	v_pk_fma_f32 v[60:61], v[62:63], v[66:67], v[24:25] op_sel_hi:[1,0,1]
	v_mov_b32_e32 v62, v67
	v_xor_b32_e32 v54, 0x80000000, v63
	v_pk_fma_f32 v[64:65], v[72:73], v[62:63], v[42:43] op_sel_hi:[1,0,1]
	v_pk_fma_f32 v[66:67], v[74:75], v[62:63], v[40:41] op_sel_hi:[1,0,1]
	;; [unrolled: 1-line block ×4, first 2 shown]
	v_xor_b32_e32 v62, 0x80000000, v5
	v_mov_b32_e32 v63, v4
	s_waitcnt vmcnt(0)
	v_pk_fma_f32 v[4:5], v[4:5], v[68:69], v[64:65] op_sel_hi:[1,0,1]
	global_load_dwordx4 v[16:19], v[14:15], off offset:112
	global_load_dwordx4 v[24:27], v[14:15], off offset:96
	v_pk_fma_f32 v[4:5], v[62:63], v[68:69], v[4:5] op_sel:[0,1,0]
	global_load_dwordx4 v[36:39], v[14:15], off offset:176
	global_load_dwordx4 v[40:43], v[14:15], off offset:160
	;; [unrolled: 1-line block ×3, first 2 shown]
	v_xor_b32_e32 v62, 0x80000000, v7
	v_mov_b32_e32 v63, v6
	v_pk_fma_f32 v[64:65], v[6:7], v[70:71], v[4:5] op_sel_hi:[1,0,1]
	global_load_dwordx4 v[4:7], v[14:15], off offset:224
	v_xor_b32_e32 v14, 0x80000000, v21
	v_mov_b32_e32 v15, v20
	v_pk_fma_f32 v[20:21], v[20:21], v[68:69], v[66:67] op_sel_hi:[1,0,1]
	v_xor_b32_e32 v66, 0x80000000, v23
	v_pk_fma_f32 v[14:15], v[14:15], v[68:69], v[20:21] op_sel:[0,1,0]
	v_mov_b32_e32 v67, v22
	v_pk_fma_f32 v[14:15], v[22:23], v[70:71], v[14:15] op_sel_hi:[1,0,1]
	v_xor_b32_e32 v20, 0x80000000, v45
	v_mov_b32_e32 v21, v44
	v_pk_fma_f32 v[22:23], v[44:45], v[68:69], v[72:73] op_sel_hi:[1,0,1]
	v_pk_fma_f32 v[44:45], v[56:57], v[68:69], v[60:61] op_sel_hi:[1,0,1]
	v_pk_fma_f32 v[20:21], v[20:21], v[68:69], v[22:23] op_sel:[0,1,0]
	v_xor_b32_e32 v22, 0x80000000, v57
	v_mov_b32_e32 v23, v56
	v_pk_fma_f32 v[44:45], v[22:23], v[68:69], v[44:45] op_sel:[0,1,0]
	v_pk_fma_f32 v[60:61], v[46:47], v[70:71], v[20:21] op_sel_hi:[1,0,1]
	global_load_dwordx4 v[20:23], v[48:49], off offset:32
	v_xor_b32_e32 v74, 0x80000000, v47
	v_mov_b32_e32 v75, v46
	v_xor_b32_e32 v56, 0x80000000, v59
	v_mov_b32_e32 v57, v58
	v_pk_fma_f32 v[58:59], v[58:59], v[70:71], v[44:45] op_sel_hi:[1,0,1]
	global_load_dwordx4 v[44:47], v[48:49], off offset:48
	v_mov_b32_e32 v68, v71
	v_pk_fma_f32 v[14:15], v[66:67], v[68:69], v[14:15] op_sel_hi:[1,0,1]
	v_pk_fma_f32 v[62:63], v[62:63], v[68:69], v[64:65] op_sel_hi:[1,0,1]
	;; [unrolled: 1-line block ×4, first 2 shown]
	v_xor_b32_e32 v48, 0x80000000, v11
	v_mov_b32_e32 v49, v10
	v_xor_b32_e32 v70, 0x80000000, v3
	v_mov_b32_e32 v71, v2
	s_waitcnt vmcnt(7)
	v_xor_b32_e32 v66, 0x80000000, v19
	s_waitcnt vmcnt(6)
	v_xor_b32_e32 v64, 0x80000000, v27
	v_mov_b32_e32 v65, v26
	v_mov_b32_e32 v67, v18
	s_waitcnt vmcnt(4)
	v_xor_b32_e32 v72, 0x80000000, v43
	v_mov_b32_e32 v73, v42
	v_xor_b32_e32 v58, 0x80000000, v39
	v_mov_b32_e32 v59, v38
	s_waitcnt vmcnt(2)
	v_xor_b32_e32 v68, 0x80000000, v7
	v_mov_b32_e32 v69, v6
	s_waitcnt vmcnt(1)
	v_pk_fma_f32 v[14:15], v[24:25], v[20:21], v[14:15] op_sel_hi:[1,0,1]
	s_nop 0
	v_pk_fma_f32 v[14:15], v[24:25], v[20:21], v[14:15] op_sel:[1,1,0] op_sel_hi:[0,1,1] neg_lo:[1,0,0]
	v_pk_fma_f32 v[62:63], v[8:9], v[20:21], v[62:63] op_sel_hi:[1,0,1]
	v_pk_fma_f32 v[14:15], v[26:27], v[22:23], v[14:15] op_sel_hi:[1,0,1]
	;; [unrolled: 1-line block ×4, first 2 shown]
	v_pk_fma_f32 v[8:9], v[8:9], v[20:21], v[62:63] op_sel:[1,1,0] op_sel_hi:[0,1,1] neg_lo:[1,0,0]
	v_pk_fma_f32 v[26:27], v[40:41], v[20:21], v[26:27] op_sel:[1,1,0] op_sel_hi:[0,1,1] neg_lo:[1,0,0]
	v_pk_fma_f32 v[4:5], v[4:5], v[20:21], v[56:57] op_sel:[1,1,0] op_sel_hi:[0,1,1] neg_lo:[1,0,0]
	v_pk_fma_f32 v[8:9], v[10:11], v[22:23], v[8:9] op_sel_hi:[1,0,1]
	v_mov_b32_e32 v62, v23
	v_pk_fma_f32 v[20:21], v[42:43], v[22:23], v[26:27] op_sel_hi:[1,0,1]
	v_pk_fma_f32 v[4:5], v[6:7], v[22:23], v[4:5] op_sel_hi:[1,0,1]
	;; [unrolled: 1-line block ×6, first 2 shown]
	s_waitcnt vmcnt(0)
	v_pk_fma_f32 v[6:7], v[0:1], v[44:45], v[6:7] op_sel_hi:[1,0,1]
	v_pk_fma_f32 v[8:9], v[16:17], v[44:45], v[8:9] op_sel_hi:[1,0,1]
	;; [unrolled: 1-line block ×4, first 2 shown]
	v_pk_fma_f32 v[0:1], v[0:1], v[44:45], v[6:7] op_sel:[1,1,0] op_sel_hi:[0,1,1] neg_lo:[1,0,0]
	v_pk_fma_f32 v[6:7], v[16:17], v[44:45], v[8:9] op_sel:[1,1,0] op_sel_hi:[0,1,1] neg_lo:[1,0,0]
	;; [unrolled: 1-line block ×4, first 2 shown]
	v_xor_b32_e32 v10, 0x80000000, v55
	v_mov_b32_e32 v11, v54
	v_mov_b32_e32 v24, v47
	v_pk_fma_f32 v[0:1], v[2:3], v[46:47], v[0:1] op_sel_hi:[1,0,1]
	v_pk_fma_f32 v[2:3], v[18:19], v[46:47], v[6:7] op_sel_hi:[1,0,1]
	;; [unrolled: 1-line block ×8, first 2 shown]
	s_andn2_b64 exec, exec, s[2:3]
	s_cbranch_execnz .LBB107_11
; %bb.12:
	s_or_b64 exec, exec, s[2:3]
.LBB107_13:
	s_or_b64 exec, exec, s[4:5]
.LBB107_14:
	v_mov_b32_dpp v6, v41 row_shr:1 row_mask:0xf bank_mask:0xf
	v_add_f32_e32 v6, v41, v6
	v_mov_b32_dpp v0, v42 row_shr:1 row_mask:0xf bank_mask:0xf
	v_mov_b32_dpp v2, v43 row_shr:1 row_mask:0xf bank_mask:0xf
	v_mov_b32_dpp v7, v6 row_shr:2 row_mask:0xf bank_mask:0xf
	v_add_f32_e32 v6, v6, v7
	v_mov_b32_dpp v4, v40 row_shr:1 row_mask:0xf bank_mask:0xf
	v_add_f32_e32 v0, v42, v0
	v_mov_b32_dpp v7, v6 row_shr:4 row_mask:0xf bank_mask:0xe
	v_add_f32_e32 v6, v6, v7
	v_add_f32_e32 v2, v43, v2
	v_add_f32_e32 v4, v40, v4
	v_mov_b32_dpp v7, v6 row_shr:8 row_mask:0xf bank_mask:0xc
	v_add_f32_e32 v7, v6, v7
	v_mov_b32_dpp v6, v38 row_shr:1 row_mask:0xf bank_mask:0xf
	v_add_f32_e32 v6, v38, v6
	v_mov_b32_dpp v1, v0 row_shr:2 row_mask:0xf bank_mask:0xf
	v_mov_b32_dpp v3, v2 row_shr:2 row_mask:0xf bank_mask:0xf
	v_mov_b32_dpp v9, v6 row_shr:2 row_mask:0xf bank_mask:0xf
	v_add_f32_e32 v6, v6, v9
	v_mov_b32_dpp v5, v4 row_shr:2 row_mask:0xf bank_mask:0xf
	v_add_f32_e32 v0, v0, v1
	v_mov_b32_dpp v9, v6 row_shr:4 row_mask:0xf bank_mask:0xe
	v_add_f32_e32 v6, v6, v9
	v_add_f32_e32 v2, v2, v3
	v_add_f32_e32 v4, v4, v5
	v_mov_b32_dpp v9, v6 row_shr:8 row_mask:0xf bank_mask:0xc
	v_add_f32_e32 v9, v6, v9
	;; [unrolled: 14-line block ×4, first 2 shown]
	v_mov_b32_dpp v6, v37 row_shr:1 row_mask:0xf bank_mask:0xf
	v_add_f32_e32 v6, v37, v6
	v_mov_b32_dpp v1, v0 row_bcast:15 row_mask:0xa bank_mask:0xf
	v_mov_b32_dpp v3, v2 row_bcast:15 row_mask:0xa bank_mask:0xf
	v_mov_b32_dpp v12, v6 row_shr:2 row_mask:0xf bank_mask:0xf
	v_add_f32_e32 v6, v6, v12
	v_mov_b32_dpp v5, v4 row_bcast:15 row_mask:0xa bank_mask:0xf
	v_mov_b32_dpp v8, v7 row_bcast:15 row_mask:0xa bank_mask:0xf
	;; [unrolled: 4-line block ×3, first 2 shown]
	v_mov_b32_dpp v12, v6 row_shr:8 row_mask:0xf bank_mask:0xc
	v_add_f32_e32 v17, v6, v12
	v_mov_b32_dpp v16, v15 row_bcast:15 row_mask:0xa bank_mask:0xf
	v_cmp_eq_u32_e32 vcc, 31, v33
	v_mov_b32_dpp v18, v17 row_bcast:15 row_mask:0xa bank_mask:0xf
	s_and_b64 exec, exec, vcc
	s_cbranch_execz .LBB107_19
; %bb.15:
	s_load_dwordx2 s[2:3], s[0:1], 0x38
	v_cmp_eq_f32_e32 vcc, 0, v30
	v_cmp_eq_f32_e64 s[0:1], 0, v31
	v_add_f32_e32 v6, v0, v1
	v_add_f32_e32 v14, v2, v3
	;; [unrolled: 1-line block ×8, first 2 shown]
	s_and_b64 s[0:1], vcc, s[0:1]
	s_and_saveexec_b64 s[4:5], s[0:1]
	s_xor_b64 s[0:1], exec, s[4:5]
	s_cbranch_execz .LBB107_17
; %bb.16:
	v_xor_b32_e32 v18, 0x80000000, v29
	v_mov_b32_e32 v19, v28
	v_lshlrev_b32_e32 v16, 2, v32
	v_pk_mul_f32 v[14:15], v[14:15], v[18:19] op_sel_hi:[0,1]
	v_ashrrev_i32_e32 v17, 31, v16
	v_pk_fma_f32 v[14:15], v[28:29], v[6:7], v[14:15] op_sel_hi:[1,0,1]
	v_pk_mul_f32 v[6:7], v[12:13], v[18:19] op_sel_hi:[0,1]
	s_waitcnt lgkmcnt(0)
	v_lshl_add_u64 v[20:21], v[16:17], 3, s[2:3]
	v_pk_fma_f32 v[16:17], v[28:29], v[4:5], v[6:7] op_sel_hi:[1,0,1]
	v_pk_mul_f32 v[4:5], v[10:11], v[18:19] op_sel_hi:[0,1]
	v_pk_fma_f32 v[2:3], v[28:29], v[2:3], v[4:5] op_sel_hi:[1,0,1]
	v_pk_mul_f32 v[4:5], v[8:9], v[18:19] op_sel_hi:[0,1]
	v_pk_fma_f32 v[4:5], v[28:29], v[0:1], v[4:5] op_sel_hi:[1,0,1]
	global_store_dwordx4 v[20:21], v[14:17], off
	global_store_dwordx4 v[20:21], v[2:5], off offset:16
                                        ; implicit-def: $vgpr32
                                        ; implicit-def: $vgpr6
                                        ; implicit-def: $vgpr14
                                        ; implicit-def: $vgpr4
                                        ; implicit-def: $vgpr12
                                        ; implicit-def: $vgpr2
                                        ; implicit-def: $vgpr10
                                        ; implicit-def: $vgpr0
                                        ; implicit-def: $vgpr8
                                        ; implicit-def: $vgpr28_vgpr29
                                        ; implicit-def: $vgpr30_vgpr31
.LBB107_17:
	s_andn2_saveexec_b64 s[0:1], s[0:1]
	s_cbranch_execz .LBB107_19
; %bb.18:
	v_lshlrev_b32_e32 v16, 2, v32
	v_ashrrev_i32_e32 v17, 31, v16
	s_waitcnt lgkmcnt(0)
	v_lshl_add_u64 v[24:25], v[16:17], 3, s[2:3]
	global_load_dwordx4 v[16:19], v[24:25], off
	global_load_dwordx4 v[20:23], v[24:25], off offset:16
	v_xor_b32_e32 v26, 0x80000000, v29
	v_mov_b32_e32 v27, v28
	v_pk_mul_f32 v[14:15], v[14:15], v[26:27] op_sel_hi:[0,1]
	v_pk_mul_f32 v[12:13], v[12:13], v[26:27] op_sel_hi:[0,1]
	;; [unrolled: 1-line block ×4, first 2 shown]
	v_pk_fma_f32 v[6:7], v[28:29], v[6:7], v[14:15] op_sel_hi:[1,0,1]
	v_pk_fma_f32 v[4:5], v[28:29], v[4:5], v[12:13] op_sel_hi:[1,0,1]
	v_xor_b32_e32 v32, 0x80000000, v31
	v_mov_b32_e32 v33, v30
	v_pk_fma_f32 v[2:3], v[28:29], v[2:3], v[10:11] op_sel_hi:[1,0,1]
	v_pk_fma_f32 v[0:1], v[28:29], v[0:1], v[8:9] op_sel_hi:[1,0,1]
	s_waitcnt vmcnt(1)
	v_pk_fma_f32 v[6:7], v[30:31], v[16:17], v[6:7] op_sel_hi:[1,0,1]
	v_pk_fma_f32 v[4:5], v[30:31], v[18:19], v[4:5] op_sel_hi:[1,0,1]
	v_mov_b32_e32 v8, v19
	s_waitcnt vmcnt(0)
	v_pk_fma_f32 v[10:11], v[30:31], v[20:21], v[2:3] op_sel_hi:[1,0,1]
	v_pk_fma_f32 v[12:13], v[30:31], v[22:23], v[0:1] op_sel_hi:[1,0,1]
	v_mov_b32_e32 v14, v23
	v_pk_fma_f32 v[0:1], v[32:33], v[16:17], v[6:7] op_sel:[0,1,0]
	v_pk_fma_f32 v[2:3], v[32:33], v[8:9], v[4:5] op_sel_hi:[1,0,1]
	v_pk_fma_f32 v[4:5], v[32:33], v[20:21], v[10:11] op_sel:[0,1,0]
	v_pk_fma_f32 v[6:7], v[32:33], v[14:15], v[12:13] op_sel_hi:[1,0,1]
	global_store_dwordx4 v[24:25], v[0:3], off
	global_store_dwordx4 v[24:25], v[4:7], off offset:16
.LBB107_19:
	s_endpgm
	.section	.rodata,"a",@progbits
	.p2align	6, 0x0
	.amdhsa_kernel _ZN9rocsparseL19gebsrmvn_4xn_kernelILj128ELj8ELj32E21rocsparse_complex_numIfEEEvi20rocsparse_direction_NS_24const_host_device_scalarIT2_EEPKiS8_PKS5_SA_S6_PS5_21rocsparse_index_base_b
		.amdhsa_group_segment_fixed_size 0
		.amdhsa_private_segment_fixed_size 0
		.amdhsa_kernarg_size 72
		.amdhsa_user_sgpr_count 2
		.amdhsa_user_sgpr_dispatch_ptr 0
		.amdhsa_user_sgpr_queue_ptr 0
		.amdhsa_user_sgpr_kernarg_segment_ptr 1
		.amdhsa_user_sgpr_dispatch_id 0
		.amdhsa_user_sgpr_kernarg_preload_length 0
		.amdhsa_user_sgpr_kernarg_preload_offset 0
		.amdhsa_user_sgpr_private_segment_size 0
		.amdhsa_uses_dynamic_stack 0
		.amdhsa_enable_private_segment 0
		.amdhsa_system_sgpr_workgroup_id_x 1
		.amdhsa_system_sgpr_workgroup_id_y 0
		.amdhsa_system_sgpr_workgroup_id_z 0
		.amdhsa_system_sgpr_workgroup_info 0
		.amdhsa_system_vgpr_workitem_id 0
		.amdhsa_next_free_vgpr 90
		.amdhsa_next_free_sgpr 16
		.amdhsa_accum_offset 92
		.amdhsa_reserve_vcc 1
		.amdhsa_float_round_mode_32 0
		.amdhsa_float_round_mode_16_64 0
		.amdhsa_float_denorm_mode_32 3
		.amdhsa_float_denorm_mode_16_64 3
		.amdhsa_dx10_clamp 1
		.amdhsa_ieee_mode 1
		.amdhsa_fp16_overflow 0
		.amdhsa_tg_split 0
		.amdhsa_exception_fp_ieee_invalid_op 0
		.amdhsa_exception_fp_denorm_src 0
		.amdhsa_exception_fp_ieee_div_zero 0
		.amdhsa_exception_fp_ieee_overflow 0
		.amdhsa_exception_fp_ieee_underflow 0
		.amdhsa_exception_fp_ieee_inexact 0
		.amdhsa_exception_int_div_zero 0
	.end_amdhsa_kernel
	.section	.text._ZN9rocsparseL19gebsrmvn_4xn_kernelILj128ELj8ELj32E21rocsparse_complex_numIfEEEvi20rocsparse_direction_NS_24const_host_device_scalarIT2_EEPKiS8_PKS5_SA_S6_PS5_21rocsparse_index_base_b,"axG",@progbits,_ZN9rocsparseL19gebsrmvn_4xn_kernelILj128ELj8ELj32E21rocsparse_complex_numIfEEEvi20rocsparse_direction_NS_24const_host_device_scalarIT2_EEPKiS8_PKS5_SA_S6_PS5_21rocsparse_index_base_b,comdat
.Lfunc_end107:
	.size	_ZN9rocsparseL19gebsrmvn_4xn_kernelILj128ELj8ELj32E21rocsparse_complex_numIfEEEvi20rocsparse_direction_NS_24const_host_device_scalarIT2_EEPKiS8_PKS5_SA_S6_PS5_21rocsparse_index_base_b, .Lfunc_end107-_ZN9rocsparseL19gebsrmvn_4xn_kernelILj128ELj8ELj32E21rocsparse_complex_numIfEEEvi20rocsparse_direction_NS_24const_host_device_scalarIT2_EEPKiS8_PKS5_SA_S6_PS5_21rocsparse_index_base_b
                                        ; -- End function
	.set _ZN9rocsparseL19gebsrmvn_4xn_kernelILj128ELj8ELj32E21rocsparse_complex_numIfEEEvi20rocsparse_direction_NS_24const_host_device_scalarIT2_EEPKiS8_PKS5_SA_S6_PS5_21rocsparse_index_base_b.num_vgpr, 90
	.set _ZN9rocsparseL19gebsrmvn_4xn_kernelILj128ELj8ELj32E21rocsparse_complex_numIfEEEvi20rocsparse_direction_NS_24const_host_device_scalarIT2_EEPKiS8_PKS5_SA_S6_PS5_21rocsparse_index_base_b.num_agpr, 0
	.set _ZN9rocsparseL19gebsrmvn_4xn_kernelILj128ELj8ELj32E21rocsparse_complex_numIfEEEvi20rocsparse_direction_NS_24const_host_device_scalarIT2_EEPKiS8_PKS5_SA_S6_PS5_21rocsparse_index_base_b.numbered_sgpr, 16
	.set _ZN9rocsparseL19gebsrmvn_4xn_kernelILj128ELj8ELj32E21rocsparse_complex_numIfEEEvi20rocsparse_direction_NS_24const_host_device_scalarIT2_EEPKiS8_PKS5_SA_S6_PS5_21rocsparse_index_base_b.num_named_barrier, 0
	.set _ZN9rocsparseL19gebsrmvn_4xn_kernelILj128ELj8ELj32E21rocsparse_complex_numIfEEEvi20rocsparse_direction_NS_24const_host_device_scalarIT2_EEPKiS8_PKS5_SA_S6_PS5_21rocsparse_index_base_b.private_seg_size, 0
	.set _ZN9rocsparseL19gebsrmvn_4xn_kernelILj128ELj8ELj32E21rocsparse_complex_numIfEEEvi20rocsparse_direction_NS_24const_host_device_scalarIT2_EEPKiS8_PKS5_SA_S6_PS5_21rocsparse_index_base_b.uses_vcc, 1
	.set _ZN9rocsparseL19gebsrmvn_4xn_kernelILj128ELj8ELj32E21rocsparse_complex_numIfEEEvi20rocsparse_direction_NS_24const_host_device_scalarIT2_EEPKiS8_PKS5_SA_S6_PS5_21rocsparse_index_base_b.uses_flat_scratch, 0
	.set _ZN9rocsparseL19gebsrmvn_4xn_kernelILj128ELj8ELj32E21rocsparse_complex_numIfEEEvi20rocsparse_direction_NS_24const_host_device_scalarIT2_EEPKiS8_PKS5_SA_S6_PS5_21rocsparse_index_base_b.has_dyn_sized_stack, 0
	.set _ZN9rocsparseL19gebsrmvn_4xn_kernelILj128ELj8ELj32E21rocsparse_complex_numIfEEEvi20rocsparse_direction_NS_24const_host_device_scalarIT2_EEPKiS8_PKS5_SA_S6_PS5_21rocsparse_index_base_b.has_recursion, 0
	.set _ZN9rocsparseL19gebsrmvn_4xn_kernelILj128ELj8ELj32E21rocsparse_complex_numIfEEEvi20rocsparse_direction_NS_24const_host_device_scalarIT2_EEPKiS8_PKS5_SA_S6_PS5_21rocsparse_index_base_b.has_indirect_call, 0
	.section	.AMDGPU.csdata,"",@progbits
; Kernel info:
; codeLenInByte = 3412
; TotalNumSgprs: 22
; NumVgprs: 90
; NumAgprs: 0
; TotalNumVgprs: 90
; ScratchSize: 0
; MemoryBound: 0
; FloatMode: 240
; IeeeMode: 1
; LDSByteSize: 0 bytes/workgroup (compile time only)
; SGPRBlocks: 2
; VGPRBlocks: 11
; NumSGPRsForWavesPerEU: 22
; NumVGPRsForWavesPerEU: 90
; AccumOffset: 92
; Occupancy: 5
; WaveLimiterHint : 1
; COMPUTE_PGM_RSRC2:SCRATCH_EN: 0
; COMPUTE_PGM_RSRC2:USER_SGPR: 2
; COMPUTE_PGM_RSRC2:TRAP_HANDLER: 0
; COMPUTE_PGM_RSRC2:TGID_X_EN: 1
; COMPUTE_PGM_RSRC2:TGID_Y_EN: 0
; COMPUTE_PGM_RSRC2:TGID_Z_EN: 0
; COMPUTE_PGM_RSRC2:TIDIG_COMP_CNT: 0
; COMPUTE_PGM_RSRC3_GFX90A:ACCUM_OFFSET: 22
; COMPUTE_PGM_RSRC3_GFX90A:TG_SPLIT: 0
	.section	.text._ZN9rocsparseL19gebsrmvn_4xn_kernelILj128ELj8ELj64E21rocsparse_complex_numIfEEEvi20rocsparse_direction_NS_24const_host_device_scalarIT2_EEPKiS8_PKS5_SA_S6_PS5_21rocsparse_index_base_b,"axG",@progbits,_ZN9rocsparseL19gebsrmvn_4xn_kernelILj128ELj8ELj64E21rocsparse_complex_numIfEEEvi20rocsparse_direction_NS_24const_host_device_scalarIT2_EEPKiS8_PKS5_SA_S6_PS5_21rocsparse_index_base_b,comdat
	.globl	_ZN9rocsparseL19gebsrmvn_4xn_kernelILj128ELj8ELj64E21rocsparse_complex_numIfEEEvi20rocsparse_direction_NS_24const_host_device_scalarIT2_EEPKiS8_PKS5_SA_S6_PS5_21rocsparse_index_base_b ; -- Begin function _ZN9rocsparseL19gebsrmvn_4xn_kernelILj128ELj8ELj64E21rocsparse_complex_numIfEEEvi20rocsparse_direction_NS_24const_host_device_scalarIT2_EEPKiS8_PKS5_SA_S6_PS5_21rocsparse_index_base_b
	.p2align	8
	.type	_ZN9rocsparseL19gebsrmvn_4xn_kernelILj128ELj8ELj64E21rocsparse_complex_numIfEEEvi20rocsparse_direction_NS_24const_host_device_scalarIT2_EEPKiS8_PKS5_SA_S6_PS5_21rocsparse_index_base_b,@function
_ZN9rocsparseL19gebsrmvn_4xn_kernelILj128ELj8ELj64E21rocsparse_complex_numIfEEEvi20rocsparse_direction_NS_24const_host_device_scalarIT2_EEPKiS8_PKS5_SA_S6_PS5_21rocsparse_index_base_b: ; @_ZN9rocsparseL19gebsrmvn_4xn_kernelILj128ELj8ELj64E21rocsparse_complex_numIfEEEvi20rocsparse_direction_NS_24const_host_device_scalarIT2_EEPKiS8_PKS5_SA_S6_PS5_21rocsparse_index_base_b
; %bb.0:
	s_load_dwordx2 s[4:5], s[0:1], 0x8
	s_load_dwordx2 s[6:7], s[0:1], 0x30
	;; [unrolled: 1-line block ×3, first 2 shown]
	s_add_u32 s3, s0, 8
	s_addc_u32 s8, s1, 0
	s_add_u32 s9, s0, 48
	s_addc_u32 s10, s1, 0
	s_waitcnt lgkmcnt(0)
	s_bitcmp1_b32 s13, 0
	s_cselect_b32 s3, s3, s4
	s_cselect_b32 s5, s8, s5
	v_mov_b32_e32 v2, s3
	s_cselect_b32 s3, s10, s7
	s_cselect_b32 s4, s9, s6
	v_mov_b32_e32 v3, s5
	v_mov_b32_e32 v4, s4
	;; [unrolled: 1-line block ×3, first 2 shown]
	flat_load_dwordx2 v[28:29], v[2:3]
	flat_load_dwordx2 v[30:31], v[4:5]
	s_waitcnt vmcnt(0) lgkmcnt(0)
	v_cmp_eq_f32_e32 vcc, 0, v28
	v_cmp_eq_f32_e64 s[4:5], 0, v29
	v_cmp_eq_f32_e64 s[6:7], 1.0, v30
	v_cmp_eq_f32_e64 s[8:9], 0, v31
	s_and_b64 s[4:5], vcc, s[4:5]
	s_and_b64 s[6:7], s[6:7], s[8:9]
	s_and_b64 s[4:5], s[4:5], s[6:7]
	s_xor_b64 s[4:5], s[4:5], -1
	s_and_saveexec_b64 s[6:7], s[4:5]
	s_cbranch_execz .LBB108_19
; %bb.1:
	s_load_dwordx2 s[14:15], s[0:1], 0x0
	v_lshrrev_b32_e32 v1, 6, v0
	v_lshl_or_b32 v32, s2, 1, v1
	s_waitcnt lgkmcnt(0)
	v_cmp_gt_i32_e32 vcc, s14, v32
	s_and_b64 exec, exec, vcc
	s_cbranch_execz .LBB108_19
; %bb.2:
	s_load_dwordx8 s[4:11], s[0:1], 0x10
	v_ashrrev_i32_e32 v33, 31, v32
	s_cmp_lg_u32 s15, 0
	s_waitcnt lgkmcnt(0)
	v_lshl_add_u64 v[2:3], v[32:33], 2, s[4:5]
	global_load_dwordx2 v[2:3], v[2:3], off
	v_and_b32_e32 v33, 63, v0
	s_waitcnt vmcnt(0)
	v_subrev_u32_e32 v0, s12, v2
	v_subrev_u32_e32 v50, s12, v3
	v_add_u32_e32 v34, v0, v33
	v_cmp_lt_i32_e64 s[2:3], v34, v50
	s_cbranch_scc0 .LBB108_8
; %bb.3:
	v_mov_b32_e32 v43, 0
	v_mov_b32_e32 v42, v43
	;; [unrolled: 1-line block ×8, first 2 shown]
	s_and_saveexec_b64 s[4:5], s[2:3]
	s_cbranch_execz .LBB108_7
; %bb.4:
	v_mov_b32_e32 v45, 0
	v_lshlrev_b32_e32 v44, 5, v34
	s_mov_b64 s[14:15], 0
	v_mov_b32_e32 v46, v34
	v_mov_b32_e32 v36, v45
	v_mov_b32_e32 v37, v45
	v_mov_b32_e32 v38, v45
	v_mov_b32_e32 v39, v45
	v_mov_b32_e32 v40, v45
	v_mov_b32_e32 v41, v45
	v_mov_b32_e32 v42, v45
	v_mov_b32_e32 v43, v45
.LBB108_5:                              ; =>This Inner Loop Header: Depth=1
	v_ashrrev_i32_e32 v47, 31, v46
	v_lshl_add_u64 v[48:49], v[44:45], 3, s[8:9]
	v_lshl_add_u64 v[74:75], v[46:47], 2, s[6:7]
	global_load_dwordx4 v[52:55], v[48:49], off offset:48
	global_load_dwordx4 v[56:59], v[48:49], off offset:32
	;; [unrolled: 1-line block ×3, first 2 shown]
	global_load_dwordx4 v[64:67], v[48:49], off
	global_load_dwordx4 v[0:3], v[48:49], off offset:112
	global_load_dwordx4 v[4:7], v[48:49], off offset:96
	;; [unrolled: 1-line block ×8, first 2 shown]
	global_load_dword v35, v[74:75], off
	v_mov_b32_e32 v73, v45
	v_add_u32_e32 v46, 64, v46
	v_cmp_ge_i32_e32 vcc, v46, v50
	v_add_u32_e32 v44, 0x800, v44
	s_or_b64 s[14:15], vcc, s[14:15]
	s_waitcnt vmcnt(9)
	v_xor_b32_e32 v80, 0x80000000, v67
	v_mov_b32_e32 v81, v66
	s_waitcnt vmcnt(5)
	v_xor_b32_e32 v86, 0x80000000, v69
	v_mov_b32_e32 v87, v68
	v_xor_b32_e32 v88, 0x80000000, v71
	v_mov_b32_e32 v89, v70
	s_waitcnt vmcnt(0)
	v_subrev_u32_e32 v35, s12, v35
	v_lshlrev_b32_e32 v72, 3, v35
	v_lshl_add_u64 v[82:83], v[72:73], 3, s[10:11]
	global_load_dwordx4 v[72:75], v[82:83], off
	global_load_dwordx4 v[76:79], v[82:83], off offset:16
	s_waitcnt vmcnt(1)
	v_pk_fma_f32 v[42:43], v[64:65], v[72:73], v[42:43] op_sel_hi:[1,0,1]
	v_pk_fma_f32 v[40:41], v[66:67], v[72:73], v[40:41] op_sel_hi:[1,0,1]
	v_xor_b32_e32 v66, 0x80000000, v63
	v_mov_b32_e32 v67, v62
	v_pk_fma_f32 v[38:39], v[60:61], v[72:73], v[38:39] op_sel_hi:[1,0,1]
	v_pk_fma_f32 v[62:63], v[62:63], v[72:73], v[36:37] op_sel_hi:[1,0,1]
	v_pk_fma_f32 v[64:65], v[64:65], v[72:73], v[42:43] op_sel:[1,1,0] op_sel_hi:[0,1,1] neg_lo:[1,0,0]
	v_pk_fma_f32 v[60:61], v[60:61], v[72:73], v[38:39] op_sel:[1,1,0] op_sel_hi:[0,1,1] neg_lo:[1,0,0]
	v_pk_fma_f32 v[80:81], v[80:81], v[72:73], v[40:41] op_sel:[0,1,0]
	v_pk_fma_f32 v[62:63], v[66:67], v[72:73], v[62:63] op_sel:[0,1,0]
	v_xor_b32_e32 v66, 0x80000000, v59
	v_mov_b32_e32 v67, v58
	v_pk_fma_f32 v[64:65], v[56:57], v[74:75], v[64:65] op_sel_hi:[1,0,1]
	v_pk_fma_f32 v[72:73], v[58:59], v[74:75], v[80:81] op_sel_hi:[1,0,1]
	;; [unrolled: 1-line block ×4, first 2 shown]
	v_mov_b32_e32 v74, v75
	v_pk_fma_f32 v[64:65], v[56:57], v[74:75], v[64:65] op_sel:[1,0,0] op_sel_hi:[0,0,1] neg_lo:[1,0,0]
	v_xor_b32_e32 v80, 0x80000000, v55
	v_mov_b32_e32 v81, v54
	v_pk_fma_f32 v[84:85], v[52:53], v[74:75], v[60:61] op_sel:[1,0,0] op_sel_hi:[0,0,1] neg_lo:[1,0,0]
	v_pk_fma_f32 v[52:53], v[66:67], v[74:75], v[72:73] op_sel_hi:[1,0,1]
	global_load_dwordx4 v[36:39], v[48:49], off offset:224
	global_load_dwordx4 v[40:43], v[48:49], off offset:192
	;; [unrolled: 1-line block ×3, first 2 shown]
	v_pk_fma_f32 v[72:73], v[80:81], v[74:75], v[62:63] op_sel_hi:[1,0,1]
	s_waitcnt vmcnt(3)
	v_pk_fma_f32 v[64:65], v[68:69], v[76:77], v[64:65] op_sel_hi:[1,0,1]
	v_pk_fma_f32 v[68:69], v[70:71], v[76:77], v[52:53] op_sel_hi:[1,0,1]
	global_load_dwordx4 v[52:55], v[82:83], off offset:32
	global_load_dwordx4 v[60:63], v[82:83], off offset:48
	v_xor_b32_e32 v66, 0x80000000, v17
	v_xor_b32_e32 v74, 0x80000000, v19
	v_mov_b32_e32 v67, v16
	v_mov_b32_e32 v75, v18
	v_pk_fma_f32 v[70:71], v[16:17], v[76:77], v[84:85] op_sel_hi:[1,0,1]
	v_pk_fma_f32 v[72:73], v[18:19], v[76:77], v[72:73] op_sel_hi:[1,0,1]
	global_load_dwordx4 v[16:19], v[48:49], off offset:240
	v_pk_fma_f32 v[64:65], v[86:87], v[76:77], v[64:65] op_sel:[0,1,0]
	v_pk_fma_f32 v[68:69], v[88:89], v[76:77], v[68:69] op_sel:[0,1,0]
	;; [unrolled: 1-line block ×4, first 2 shown]
	v_xor_b32_e32 v48, 0x80000000, v7
	v_mov_b32_e32 v49, v6
	v_xor_b32_e32 v80, 0x80000000, v3
	v_mov_b32_e32 v81, v2
	v_pk_fma_f32 v[64:65], v[4:5], v[78:79], v[64:65] op_sel_hi:[1,0,1]
	v_pk_fma_f32 v[6:7], v[6:7], v[78:79], v[68:69] op_sel_hi:[1,0,1]
	;; [unrolled: 1-line block ×4, first 2 shown]
	v_mov_b32_e32 v68, v79
	v_pk_fma_f32 v[4:5], v[4:5], v[68:69], v[64:65] op_sel:[1,0,0] op_sel_hi:[0,0,1] neg_lo:[1,0,0]
	v_pk_fma_f32 v[0:1], v[0:1], v[68:69], v[66:67] op_sel:[1,0,0] op_sel_hi:[0,0,1] neg_lo:[1,0,0]
	v_pk_fma_f32 v[6:7], v[48:49], v[68:69], v[6:7] op_sel_hi:[1,0,1]
	v_pk_fma_f32 v[2:3], v[80:81], v[68:69], v[2:3] op_sel_hi:[1,0,1]
	v_xor_b32_e32 v82, 0x80000000, v27
	v_mov_b32_e32 v83, v26
	v_xor_b32_e32 v64, 0x80000000, v23
	v_mov_b32_e32 v65, v22
	;; [unrolled: 2-line block ×4, first 2 shown]
	s_waitcnt vmcnt(5)
	v_xor_b32_e32 v72, 0x80000000, v39
	s_waitcnt vmcnt(4)
	v_xor_b32_e32 v74, 0x80000000, v43
	v_mov_b32_e32 v75, v42
	s_waitcnt vmcnt(3)
	v_xor_b32_e32 v66, 0x80000000, v59
	v_mov_b32_e32 v67, v58
	s_waitcnt vmcnt(2)
	v_pk_fma_f32 v[4:5], v[24:25], v[52:53], v[4:5] op_sel_hi:[1,0,1]
	v_pk_fma_f32 v[6:7], v[26:27], v[52:53], v[6:7] op_sel_hi:[1,0,1]
	;; [unrolled: 1-line block ×4, first 2 shown]
	v_pk_fma_f32 v[4:5], v[24:25], v[52:53], v[4:5] op_sel:[1,1,0] op_sel_hi:[0,1,1] neg_lo:[1,0,0]
	v_pk_fma_f32 v[0:1], v[20:21], v[52:53], v[0:1] op_sel:[1,1,0] op_sel_hi:[0,1,1] neg_lo:[1,0,0]
	v_pk_fma_f32 v[6:7], v[82:83], v[52:53], v[6:7] op_sel:[0,1,0]
	v_pk_fma_f32 v[2:3], v[64:65], v[52:53], v[2:3] op_sel:[0,1,0]
	v_mov_b32_e32 v48, v55
	v_pk_fma_f32 v[4:5], v[12:13], v[54:55], v[4:5] op_sel_hi:[1,0,1]
	v_pk_fma_f32 v[6:7], v[14:15], v[54:55], v[6:7] op_sel_hi:[1,0,1]
	;; [unrolled: 1-line block ×4, first 2 shown]
	v_pk_fma_f32 v[4:5], v[12:13], v[48:49], v[4:5] op_sel:[1,0,0] op_sel_hi:[0,0,1] neg_lo:[1,0,0]
	v_pk_fma_f32 v[6:7], v[70:71], v[48:49], v[6:7] op_sel_hi:[1,0,1]
	v_pk_fma_f32 v[0:1], v[8:9], v[48:49], v[0:1] op_sel:[1,0,0] op_sel_hi:[0,0,1] neg_lo:[1,0,0]
	v_pk_fma_f32 v[2:3], v[76:77], v[48:49], v[2:3] op_sel_hi:[1,0,1]
	s_waitcnt vmcnt(1)
	v_pk_fma_f32 v[4:5], v[40:41], v[60:61], v[4:5] op_sel_hi:[1,0,1]
	v_pk_fma_f32 v[6:7], v[42:43], v[60:61], v[6:7] op_sel_hi:[1,0,1]
	v_pk_fma_f32 v[0:1], v[56:57], v[60:61], v[0:1] op_sel_hi:[1,0,1]
	v_pk_fma_f32 v[2:3], v[58:59], v[60:61], v[2:3] op_sel_hi:[1,0,1]
	v_pk_fma_f32 v[4:5], v[40:41], v[60:61], v[4:5] op_sel:[1,1,0] op_sel_hi:[0,1,1] neg_lo:[1,0,0]
	v_pk_fma_f32 v[6:7], v[74:75], v[60:61], v[6:7] op_sel:[0,1,0]
	v_pk_fma_f32 v[0:1], v[56:57], v[60:61], v[0:1] op_sel:[1,1,0] op_sel_hi:[0,1,1] neg_lo:[1,0,0]
	v_pk_fma_f32 v[2:3], v[66:67], v[60:61], v[2:3] op_sel:[0,1,0]
	v_mov_b32_e32 v73, v38
	s_waitcnt vmcnt(0)
	v_xor_b32_e32 v78, 0x80000000, v19
	v_mov_b32_e32 v79, v18
	v_mov_b32_e32 v68, v63
	v_pk_fma_f32 v[4:5], v[36:37], v[62:63], v[4:5] op_sel_hi:[1,0,1]
	v_pk_fma_f32 v[6:7], v[38:39], v[62:63], v[6:7] op_sel_hi:[1,0,1]
	;; [unrolled: 1-line block ×4, first 2 shown]
	v_pk_fma_f32 v[42:43], v[36:37], v[68:69], v[4:5] op_sel:[1,0,0] op_sel_hi:[0,0,1] neg_lo:[1,0,0]
	v_pk_fma_f32 v[40:41], v[72:73], v[68:69], v[6:7] op_sel_hi:[1,0,1]
	v_pk_fma_f32 v[38:39], v[16:17], v[68:69], v[0:1] op_sel:[1,0,0] op_sel_hi:[0,0,1] neg_lo:[1,0,0]
	v_pk_fma_f32 v[36:37], v[78:79], v[68:69], v[2:3] op_sel_hi:[1,0,1]
	s_andn2_b64 exec, exec, s[14:15]
	s_cbranch_execnz .LBB108_5
; %bb.6:
	s_or_b64 exec, exec, s[14:15]
.LBB108_7:
	s_or_b64 exec, exec, s[4:5]
	s_cbranch_execz .LBB108_9
	s_branch .LBB108_14
.LBB108_8:
                                        ; implicit-def: $vgpr43
                                        ; implicit-def: $vgpr37
                                        ; implicit-def: $vgpr39
                                        ; implicit-def: $vgpr41
.LBB108_9:
	v_mov_b32_e32 v43, 0
	v_mov_b32_e32 v42, v43
	v_mov_b32_e32 v37, v43
	v_mov_b32_e32 v36, v43
	v_mov_b32_e32 v39, v43
	v_mov_b32_e32 v38, v43
	v_mov_b32_e32 v41, v43
	v_mov_b32_e32 v40, v43
	s_and_saveexec_b64 s[4:5], s[2:3]
	s_cbranch_execz .LBB108_13
; %bb.10:
	v_mov_b32_e32 v13, 0
	v_lshlrev_b32_e32 v12, 5, v34
	s_mov_b64 s[2:3], 0
	v_mov_b32_e32 v36, v13
	v_mov_b32_e32 v37, v13
	;; [unrolled: 1-line block ×8, first 2 shown]
.LBB108_11:                             ; =>This Inner Loop Header: Depth=1
	v_ashrrev_i32_e32 v35, 31, v34
	v_lshl_add_u64 v[14:15], v[12:13], 3, s[8:9]
	v_lshl_add_u64 v[64:65], v[34:35], 2, s[6:7]
	global_load_dwordx4 v[4:7], v[14:15], off offset:16
	global_load_dwordx4 v[16:19], v[14:15], off
	global_load_dwordx4 v[20:23], v[14:15], off offset:80
	global_load_dwordx4 v[24:27], v[14:15], off offset:64
	;; [unrolled: 1-line block ×8, first 2 shown]
	global_load_dword v35, v[64:65], off
	v_mov_b32_e32 v49, v13
	v_add_u32_e32 v34, 64, v34
	v_cmp_ge_i32_e32 vcc, v34, v50
	v_add_u32_e32 v12, 0x800, v12
	s_or_b64 s[2:3], vcc, s[2:3]
	s_waitcnt vmcnt(9)
	v_xor_b32_e32 v72, 0x80000000, v19
	v_mov_b32_e32 v73, v18
	s_waitcnt vmcnt(7)
	v_xor_b32_e32 v74, 0x80000000, v27
	v_mov_b32_e32 v75, v26
	;; [unrolled: 3-line block ×3, first 2 shown]
	s_waitcnt vmcnt(0)
	v_subrev_u32_e32 v35, s12, v35
	v_lshlrev_b32_e32 v48, 3, v35
	v_lshl_add_u64 v[48:49], v[48:49], 3, s[10:11]
	global_load_dwordx4 v[64:67], v[48:49], off
	global_load_dwordx4 v[68:71], v[48:49], off offset:16
	s_waitcnt vmcnt(1)
	v_pk_fma_f32 v[42:43], v[16:17], v[64:65], v[42:43] op_sel_hi:[1,0,1]
	s_nop 0
	v_pk_fma_f32 v[16:17], v[16:17], v[64:65], v[42:43] op_sel:[1,1,0] op_sel_hi:[0,1,1] neg_lo:[1,0,0]
	v_pk_fma_f32 v[42:43], v[18:19], v[66:67], v[16:17] op_sel_hi:[1,0,1]
	v_pk_fma_f32 v[16:17], v[24:25], v[64:65], v[40:41] op_sel_hi:[1,0,1]
	s_nop 0
	v_pk_fma_f32 v[16:17], v[24:25], v[64:65], v[16:17] op_sel:[1,1,0] op_sel_hi:[0,1,1] neg_lo:[1,0,0]
	v_pk_fma_f32 v[24:25], v[52:53], v[64:65], v[38:39] op_sel_hi:[1,0,1]
	v_pk_fma_f32 v[40:41], v[26:27], v[66:67], v[16:17] op_sel_hi:[1,0,1]
	v_pk_fma_f32 v[24:25], v[52:53], v[64:65], v[24:25] op_sel:[1,1,0] op_sel_hi:[0,1,1] neg_lo:[1,0,0]
	v_pk_fma_f32 v[52:53], v[54:55], v[66:67], v[24:25] op_sel_hi:[1,0,1]
	v_pk_fma_f32 v[24:25], v[60:61], v[64:65], v[36:37] op_sel_hi:[1,0,1]
	v_mov_b32_e32 v55, v62
	v_pk_fma_f32 v[24:25], v[60:61], v[64:65], v[24:25] op_sel:[1,1,0] op_sel_hi:[0,1,1] neg_lo:[1,0,0]
	v_pk_fma_f32 v[60:61], v[62:63], v[66:67], v[24:25] op_sel_hi:[1,0,1]
	v_mov_b32_e32 v62, v67
	v_xor_b32_e32 v54, 0x80000000, v63
	v_pk_fma_f32 v[64:65], v[72:73], v[62:63], v[42:43] op_sel_hi:[1,0,1]
	v_pk_fma_f32 v[66:67], v[74:75], v[62:63], v[40:41] op_sel_hi:[1,0,1]
	;; [unrolled: 1-line block ×4, first 2 shown]
	v_xor_b32_e32 v62, 0x80000000, v5
	v_mov_b32_e32 v63, v4
	s_waitcnt vmcnt(0)
	v_pk_fma_f32 v[4:5], v[4:5], v[68:69], v[64:65] op_sel_hi:[1,0,1]
	global_load_dwordx4 v[16:19], v[14:15], off offset:112
	global_load_dwordx4 v[24:27], v[14:15], off offset:96
	v_pk_fma_f32 v[4:5], v[62:63], v[68:69], v[4:5] op_sel:[0,1,0]
	global_load_dwordx4 v[36:39], v[14:15], off offset:176
	global_load_dwordx4 v[40:43], v[14:15], off offset:160
	global_load_dwordx4 v[52:55], v[14:15], off offset:240
	v_xor_b32_e32 v62, 0x80000000, v7
	v_mov_b32_e32 v63, v6
	v_pk_fma_f32 v[64:65], v[6:7], v[70:71], v[4:5] op_sel_hi:[1,0,1]
	global_load_dwordx4 v[4:7], v[14:15], off offset:224
	v_xor_b32_e32 v14, 0x80000000, v21
	v_mov_b32_e32 v15, v20
	v_pk_fma_f32 v[20:21], v[20:21], v[68:69], v[66:67] op_sel_hi:[1,0,1]
	v_xor_b32_e32 v66, 0x80000000, v23
	v_pk_fma_f32 v[14:15], v[14:15], v[68:69], v[20:21] op_sel:[0,1,0]
	v_mov_b32_e32 v67, v22
	v_pk_fma_f32 v[14:15], v[22:23], v[70:71], v[14:15] op_sel_hi:[1,0,1]
	v_xor_b32_e32 v20, 0x80000000, v45
	v_mov_b32_e32 v21, v44
	v_pk_fma_f32 v[22:23], v[44:45], v[68:69], v[72:73] op_sel_hi:[1,0,1]
	v_pk_fma_f32 v[44:45], v[56:57], v[68:69], v[60:61] op_sel_hi:[1,0,1]
	v_pk_fma_f32 v[20:21], v[20:21], v[68:69], v[22:23] op_sel:[0,1,0]
	v_xor_b32_e32 v22, 0x80000000, v57
	v_mov_b32_e32 v23, v56
	v_pk_fma_f32 v[44:45], v[22:23], v[68:69], v[44:45] op_sel:[0,1,0]
	v_pk_fma_f32 v[60:61], v[46:47], v[70:71], v[20:21] op_sel_hi:[1,0,1]
	global_load_dwordx4 v[20:23], v[48:49], off offset:32
	v_xor_b32_e32 v74, 0x80000000, v47
	v_mov_b32_e32 v75, v46
	v_xor_b32_e32 v56, 0x80000000, v59
	v_mov_b32_e32 v57, v58
	v_pk_fma_f32 v[58:59], v[58:59], v[70:71], v[44:45] op_sel_hi:[1,0,1]
	global_load_dwordx4 v[44:47], v[48:49], off offset:48
	v_mov_b32_e32 v68, v71
	v_pk_fma_f32 v[14:15], v[66:67], v[68:69], v[14:15] op_sel_hi:[1,0,1]
	v_pk_fma_f32 v[62:63], v[62:63], v[68:69], v[64:65] op_sel_hi:[1,0,1]
	;; [unrolled: 1-line block ×4, first 2 shown]
	v_xor_b32_e32 v48, 0x80000000, v11
	v_mov_b32_e32 v49, v10
	v_xor_b32_e32 v70, 0x80000000, v3
	v_mov_b32_e32 v71, v2
	s_waitcnt vmcnt(7)
	v_xor_b32_e32 v66, 0x80000000, v19
	s_waitcnt vmcnt(6)
	v_xor_b32_e32 v64, 0x80000000, v27
	v_mov_b32_e32 v65, v26
	v_mov_b32_e32 v67, v18
	s_waitcnt vmcnt(4)
	v_xor_b32_e32 v72, 0x80000000, v43
	v_mov_b32_e32 v73, v42
	v_xor_b32_e32 v58, 0x80000000, v39
	v_mov_b32_e32 v59, v38
	s_waitcnt vmcnt(2)
	v_xor_b32_e32 v68, 0x80000000, v7
	v_mov_b32_e32 v69, v6
	s_waitcnt vmcnt(1)
	v_pk_fma_f32 v[14:15], v[24:25], v[20:21], v[14:15] op_sel_hi:[1,0,1]
	s_nop 0
	v_pk_fma_f32 v[14:15], v[24:25], v[20:21], v[14:15] op_sel:[1,1,0] op_sel_hi:[0,1,1] neg_lo:[1,0,0]
	v_pk_fma_f32 v[62:63], v[8:9], v[20:21], v[62:63] op_sel_hi:[1,0,1]
	v_pk_fma_f32 v[14:15], v[26:27], v[22:23], v[14:15] op_sel_hi:[1,0,1]
	;; [unrolled: 1-line block ×4, first 2 shown]
	v_pk_fma_f32 v[8:9], v[8:9], v[20:21], v[62:63] op_sel:[1,1,0] op_sel_hi:[0,1,1] neg_lo:[1,0,0]
	v_pk_fma_f32 v[26:27], v[40:41], v[20:21], v[26:27] op_sel:[1,1,0] op_sel_hi:[0,1,1] neg_lo:[1,0,0]
	;; [unrolled: 1-line block ×3, first 2 shown]
	v_pk_fma_f32 v[8:9], v[10:11], v[22:23], v[8:9] op_sel_hi:[1,0,1]
	v_mov_b32_e32 v62, v23
	v_pk_fma_f32 v[20:21], v[42:43], v[22:23], v[26:27] op_sel_hi:[1,0,1]
	v_pk_fma_f32 v[4:5], v[6:7], v[22:23], v[4:5] op_sel_hi:[1,0,1]
	;; [unrolled: 1-line block ×6, first 2 shown]
	s_waitcnt vmcnt(0)
	v_pk_fma_f32 v[6:7], v[0:1], v[44:45], v[6:7] op_sel_hi:[1,0,1]
	v_pk_fma_f32 v[8:9], v[16:17], v[44:45], v[8:9] op_sel_hi:[1,0,1]
	v_pk_fma_f32 v[14:15], v[36:37], v[44:45], v[14:15] op_sel_hi:[1,0,1]
	v_pk_fma_f32 v[4:5], v[52:53], v[44:45], v[4:5] op_sel_hi:[1,0,1]
	v_pk_fma_f32 v[0:1], v[0:1], v[44:45], v[6:7] op_sel:[1,1,0] op_sel_hi:[0,1,1] neg_lo:[1,0,0]
	v_pk_fma_f32 v[6:7], v[16:17], v[44:45], v[8:9] op_sel:[1,1,0] op_sel_hi:[0,1,1] neg_lo:[1,0,0]
	;; [unrolled: 1-line block ×4, first 2 shown]
	v_xor_b32_e32 v10, 0x80000000, v55
	v_mov_b32_e32 v11, v54
	v_mov_b32_e32 v24, v47
	v_pk_fma_f32 v[0:1], v[2:3], v[46:47], v[0:1] op_sel_hi:[1,0,1]
	v_pk_fma_f32 v[2:3], v[18:19], v[46:47], v[6:7] op_sel_hi:[1,0,1]
	;; [unrolled: 1-line block ×8, first 2 shown]
	s_andn2_b64 exec, exec, s[2:3]
	s_cbranch_execnz .LBB108_11
; %bb.12:
	s_or_b64 exec, exec, s[2:3]
.LBB108_13:
	s_or_b64 exec, exec, s[4:5]
.LBB108_14:
	v_mov_b32_dpp v6, v41 row_shr:1 row_mask:0xf bank_mask:0xf
	v_add_f32_e32 v6, v41, v6
	v_mov_b32_dpp v0, v42 row_shr:1 row_mask:0xf bank_mask:0xf
	v_mov_b32_dpp v2, v43 row_shr:1 row_mask:0xf bank_mask:0xf
	v_mov_b32_dpp v7, v6 row_shr:2 row_mask:0xf bank_mask:0xf
	v_add_f32_e32 v6, v6, v7
	v_mov_b32_dpp v4, v40 row_shr:1 row_mask:0xf bank_mask:0xf
	v_add_f32_e32 v0, v42, v0
	v_mov_b32_dpp v7, v6 row_shr:4 row_mask:0xf bank_mask:0xe
	v_add_f32_e32 v6, v6, v7
	v_add_f32_e32 v2, v43, v2
	;; [unrolled: 1-line block ×3, first 2 shown]
	v_mov_b32_dpp v7, v6 row_shr:8 row_mask:0xf bank_mask:0xc
	v_add_f32_e32 v6, v6, v7
	v_mov_b32_dpp v1, v0 row_shr:2 row_mask:0xf bank_mask:0xf
	v_mov_b32_dpp v3, v2 row_shr:2 row_mask:0xf bank_mask:0xf
	v_mov_b32_dpp v7, v6 row_bcast:15 row_mask:0xa bank_mask:0xf
	v_add_f32_e32 v7, v6, v7
	v_mov_b32_dpp v6, v38 row_shr:1 row_mask:0xf bank_mask:0xf
	v_add_f32_e32 v6, v38, v6
	v_mov_b32_dpp v5, v4 row_shr:2 row_mask:0xf bank_mask:0xf
	;; [unrolled: 2-line block ×3, first 2 shown]
	v_add_f32_e32 v6, v6, v9
	v_add_f32_e32 v2, v2, v3
	;; [unrolled: 1-line block ×3, first 2 shown]
	v_mov_b32_dpp v9, v6 row_shr:4 row_mask:0xf bank_mask:0xe
	v_add_f32_e32 v6, v6, v9
	v_mov_b32_dpp v1, v0 row_shr:4 row_mask:0xf bank_mask:0xe
	v_mov_b32_dpp v3, v2 row_shr:4 row_mask:0xf bank_mask:0xe
	;; [unrolled: 1-line block ×3, first 2 shown]
	v_add_f32_e32 v6, v6, v9
	v_mov_b32_dpp v5, v4 row_shr:4 row_mask:0xf bank_mask:0xe
	v_add_f32_e32 v0, v0, v1
	v_mov_b32_dpp v9, v6 row_bcast:15 row_mask:0xa bank_mask:0xf
	v_add_f32_e32 v9, v6, v9
	v_mov_b32_dpp v6, v39 row_shr:1 row_mask:0xf bank_mask:0xf
	v_add_f32_e32 v6, v39, v6
	v_add_f32_e32 v2, v2, v3
	;; [unrolled: 1-line block ×3, first 2 shown]
	v_mov_b32_dpp v11, v6 row_shr:2 row_mask:0xf bank_mask:0xf
	v_add_f32_e32 v6, v6, v11
	v_mov_b32_dpp v1, v0 row_shr:8 row_mask:0xf bank_mask:0xc
	v_mov_b32_dpp v3, v2 row_shr:8 row_mask:0xf bank_mask:0xc
	;; [unrolled: 1-line block ×3, first 2 shown]
	v_add_f32_e32 v6, v6, v11
	v_mov_b32_dpp v5, v4 row_shr:8 row_mask:0xf bank_mask:0xc
	v_add_f32_e32 v0, v0, v1
	v_mov_b32_dpp v11, v6 row_shr:8 row_mask:0xf bank_mask:0xc
	v_add_f32_e32 v6, v6, v11
	v_add_f32_e32 v2, v2, v3
	;; [unrolled: 1-line block ×3, first 2 shown]
	v_mov_b32_dpp v11, v6 row_bcast:15 row_mask:0xa bank_mask:0xf
	v_add_f32_e32 v11, v6, v11
	v_mov_b32_dpp v6, v36 row_shr:1 row_mask:0xf bank_mask:0xf
	v_add_f32_e32 v6, v36, v6
	v_mov_b32_dpp v1, v0 row_bcast:15 row_mask:0xa bank_mask:0xf
	v_mov_b32_dpp v3, v2 row_bcast:15 row_mask:0xa bank_mask:0xf
	v_mov_b32_dpp v12, v6 row_shr:2 row_mask:0xf bank_mask:0xf
	v_add_f32_e32 v6, v6, v12
	v_mov_b32_dpp v5, v4 row_bcast:15 row_mask:0xa bank_mask:0xf
	v_add_f32_e32 v0, v0, v1
	v_mov_b32_dpp v12, v6 row_shr:4 row_mask:0xf bank_mask:0xe
	v_add_f32_e32 v6, v6, v12
	v_add_f32_e32 v2, v2, v3
	v_add_f32_e32 v4, v4, v5
	v_mov_b32_dpp v12, v6 row_shr:8 row_mask:0xf bank_mask:0xc
	v_add_f32_e32 v6, v6, v12
	v_mov_b32_dpp v1, v0 row_bcast:31 row_mask:0xc bank_mask:0xf
	v_mov_b32_dpp v3, v2 row_bcast:31 row_mask:0xc bank_mask:0xf
	;; [unrolled: 1-line block ×3, first 2 shown]
	v_add_f32_e32 v15, v6, v12
	v_mov_b32_dpp v6, v37 row_shr:1 row_mask:0xf bank_mask:0xf
	v_add_f32_e32 v6, v37, v6
	v_mov_b32_dpp v5, v4 row_bcast:31 row_mask:0xc bank_mask:0xf
	v_mov_b32_dpp v8, v7 row_bcast:31 row_mask:0xc bank_mask:0xf
	v_mov_b32_dpp v12, v6 row_shr:2 row_mask:0xf bank_mask:0xf
	v_add_f32_e32 v6, v6, v12
	v_mov_b32_dpp v10, v9 row_bcast:31 row_mask:0xc bank_mask:0xf
	v_mov_b32_dpp v13, v11 row_bcast:31 row_mask:0xc bank_mask:0xf
	v_mov_b32_dpp v12, v6 row_shr:4 row_mask:0xf bank_mask:0xe
	v_add_f32_e32 v6, v6, v12
	v_mov_b32_dpp v16, v15 row_bcast:31 row_mask:0xc bank_mask:0xf
	v_cmp_eq_u32_e32 vcc, 63, v33
	v_mov_b32_dpp v12, v6 row_shr:8 row_mask:0xf bank_mask:0xc
	v_add_f32_e32 v6, v6, v12
	s_nop 1
	v_mov_b32_dpp v12, v6 row_bcast:15 row_mask:0xa bank_mask:0xf
	v_add_f32_e32 v17, v6, v12
	s_nop 1
	v_mov_b32_dpp v18, v17 row_bcast:31 row_mask:0xc bank_mask:0xf
	s_and_b64 exec, exec, vcc
	s_cbranch_execz .LBB108_19
; %bb.15:
	s_load_dwordx2 s[2:3], s[0:1], 0x38
	v_cmp_eq_f32_e32 vcc, 0, v30
	v_cmp_eq_f32_e64 s[0:1], 0, v31
	v_add_f32_e32 v6, v0, v1
	v_add_f32_e32 v14, v2, v3
	;; [unrolled: 1-line block ×8, first 2 shown]
	s_and_b64 s[0:1], vcc, s[0:1]
	s_and_saveexec_b64 s[4:5], s[0:1]
	s_xor_b64 s[0:1], exec, s[4:5]
	s_cbranch_execz .LBB108_17
; %bb.16:
	v_xor_b32_e32 v18, 0x80000000, v29
	v_mov_b32_e32 v19, v28
	v_lshlrev_b32_e32 v16, 2, v32
	v_pk_mul_f32 v[14:15], v[14:15], v[18:19] op_sel_hi:[0,1]
	v_ashrrev_i32_e32 v17, 31, v16
	v_pk_fma_f32 v[14:15], v[28:29], v[6:7], v[14:15] op_sel_hi:[1,0,1]
	v_pk_mul_f32 v[6:7], v[12:13], v[18:19] op_sel_hi:[0,1]
	s_waitcnt lgkmcnt(0)
	v_lshl_add_u64 v[20:21], v[16:17], 3, s[2:3]
	v_pk_fma_f32 v[16:17], v[28:29], v[4:5], v[6:7] op_sel_hi:[1,0,1]
	v_pk_mul_f32 v[4:5], v[10:11], v[18:19] op_sel_hi:[0,1]
	v_pk_fma_f32 v[2:3], v[28:29], v[2:3], v[4:5] op_sel_hi:[1,0,1]
	v_pk_mul_f32 v[4:5], v[8:9], v[18:19] op_sel_hi:[0,1]
	v_pk_fma_f32 v[4:5], v[28:29], v[0:1], v[4:5] op_sel_hi:[1,0,1]
	global_store_dwordx4 v[20:21], v[14:17], off
	global_store_dwordx4 v[20:21], v[2:5], off offset:16
                                        ; implicit-def: $vgpr32
                                        ; implicit-def: $vgpr6
                                        ; implicit-def: $vgpr14
                                        ; implicit-def: $vgpr4
                                        ; implicit-def: $vgpr12
                                        ; implicit-def: $vgpr2
                                        ; implicit-def: $vgpr10
                                        ; implicit-def: $vgpr0
                                        ; implicit-def: $vgpr8
                                        ; implicit-def: $vgpr28_vgpr29
                                        ; implicit-def: $vgpr30_vgpr31
.LBB108_17:
	s_andn2_saveexec_b64 s[0:1], s[0:1]
	s_cbranch_execz .LBB108_19
; %bb.18:
	v_lshlrev_b32_e32 v16, 2, v32
	v_ashrrev_i32_e32 v17, 31, v16
	s_waitcnt lgkmcnt(0)
	v_lshl_add_u64 v[24:25], v[16:17], 3, s[2:3]
	global_load_dwordx4 v[16:19], v[24:25], off
	global_load_dwordx4 v[20:23], v[24:25], off offset:16
	v_xor_b32_e32 v26, 0x80000000, v29
	v_mov_b32_e32 v27, v28
	v_pk_mul_f32 v[14:15], v[14:15], v[26:27] op_sel_hi:[0,1]
	v_pk_mul_f32 v[12:13], v[12:13], v[26:27] op_sel_hi:[0,1]
	;; [unrolled: 1-line block ×4, first 2 shown]
	v_pk_fma_f32 v[6:7], v[28:29], v[6:7], v[14:15] op_sel_hi:[1,0,1]
	v_pk_fma_f32 v[4:5], v[28:29], v[4:5], v[12:13] op_sel_hi:[1,0,1]
	v_xor_b32_e32 v32, 0x80000000, v31
	v_mov_b32_e32 v33, v30
	v_pk_fma_f32 v[2:3], v[28:29], v[2:3], v[10:11] op_sel_hi:[1,0,1]
	v_pk_fma_f32 v[0:1], v[28:29], v[0:1], v[8:9] op_sel_hi:[1,0,1]
	s_waitcnt vmcnt(1)
	v_pk_fma_f32 v[6:7], v[30:31], v[16:17], v[6:7] op_sel_hi:[1,0,1]
	v_pk_fma_f32 v[4:5], v[30:31], v[18:19], v[4:5] op_sel_hi:[1,0,1]
	v_mov_b32_e32 v8, v19
	s_waitcnt vmcnt(0)
	v_pk_fma_f32 v[10:11], v[30:31], v[20:21], v[2:3] op_sel_hi:[1,0,1]
	v_pk_fma_f32 v[12:13], v[30:31], v[22:23], v[0:1] op_sel_hi:[1,0,1]
	v_mov_b32_e32 v14, v23
	v_pk_fma_f32 v[0:1], v[32:33], v[16:17], v[6:7] op_sel:[0,1,0]
	v_pk_fma_f32 v[2:3], v[32:33], v[8:9], v[4:5] op_sel_hi:[1,0,1]
	v_pk_fma_f32 v[4:5], v[32:33], v[20:21], v[10:11] op_sel:[0,1,0]
	v_pk_fma_f32 v[6:7], v[32:33], v[14:15], v[12:13] op_sel_hi:[1,0,1]
	global_store_dwordx4 v[24:25], v[0:3], off
	global_store_dwordx4 v[24:25], v[4:7], off offset:16
.LBB108_19:
	s_endpgm
	.section	.rodata,"a",@progbits
	.p2align	6, 0x0
	.amdhsa_kernel _ZN9rocsparseL19gebsrmvn_4xn_kernelILj128ELj8ELj64E21rocsparse_complex_numIfEEEvi20rocsparse_direction_NS_24const_host_device_scalarIT2_EEPKiS8_PKS5_SA_S6_PS5_21rocsparse_index_base_b
		.amdhsa_group_segment_fixed_size 0
		.amdhsa_private_segment_fixed_size 0
		.amdhsa_kernarg_size 72
		.amdhsa_user_sgpr_count 2
		.amdhsa_user_sgpr_dispatch_ptr 0
		.amdhsa_user_sgpr_queue_ptr 0
		.amdhsa_user_sgpr_kernarg_segment_ptr 1
		.amdhsa_user_sgpr_dispatch_id 0
		.amdhsa_user_sgpr_kernarg_preload_length 0
		.amdhsa_user_sgpr_kernarg_preload_offset 0
		.amdhsa_user_sgpr_private_segment_size 0
		.amdhsa_uses_dynamic_stack 0
		.amdhsa_enable_private_segment 0
		.amdhsa_system_sgpr_workgroup_id_x 1
		.amdhsa_system_sgpr_workgroup_id_y 0
		.amdhsa_system_sgpr_workgroup_id_z 0
		.amdhsa_system_sgpr_workgroup_info 0
		.amdhsa_system_vgpr_workitem_id 0
		.amdhsa_next_free_vgpr 90
		.amdhsa_next_free_sgpr 16
		.amdhsa_accum_offset 92
		.amdhsa_reserve_vcc 1
		.amdhsa_float_round_mode_32 0
		.amdhsa_float_round_mode_16_64 0
		.amdhsa_float_denorm_mode_32 3
		.amdhsa_float_denorm_mode_16_64 3
		.amdhsa_dx10_clamp 1
		.amdhsa_ieee_mode 1
		.amdhsa_fp16_overflow 0
		.amdhsa_tg_split 0
		.amdhsa_exception_fp_ieee_invalid_op 0
		.amdhsa_exception_fp_denorm_src 0
		.amdhsa_exception_fp_ieee_div_zero 0
		.amdhsa_exception_fp_ieee_overflow 0
		.amdhsa_exception_fp_ieee_underflow 0
		.amdhsa_exception_fp_ieee_inexact 0
		.amdhsa_exception_int_div_zero 0
	.end_amdhsa_kernel
	.section	.text._ZN9rocsparseL19gebsrmvn_4xn_kernelILj128ELj8ELj64E21rocsparse_complex_numIfEEEvi20rocsparse_direction_NS_24const_host_device_scalarIT2_EEPKiS8_PKS5_SA_S6_PS5_21rocsparse_index_base_b,"axG",@progbits,_ZN9rocsparseL19gebsrmvn_4xn_kernelILj128ELj8ELj64E21rocsparse_complex_numIfEEEvi20rocsparse_direction_NS_24const_host_device_scalarIT2_EEPKiS8_PKS5_SA_S6_PS5_21rocsparse_index_base_b,comdat
.Lfunc_end108:
	.size	_ZN9rocsparseL19gebsrmvn_4xn_kernelILj128ELj8ELj64E21rocsparse_complex_numIfEEEvi20rocsparse_direction_NS_24const_host_device_scalarIT2_EEPKiS8_PKS5_SA_S6_PS5_21rocsparse_index_base_b, .Lfunc_end108-_ZN9rocsparseL19gebsrmvn_4xn_kernelILj128ELj8ELj64E21rocsparse_complex_numIfEEEvi20rocsparse_direction_NS_24const_host_device_scalarIT2_EEPKiS8_PKS5_SA_S6_PS5_21rocsparse_index_base_b
                                        ; -- End function
	.set _ZN9rocsparseL19gebsrmvn_4xn_kernelILj128ELj8ELj64E21rocsparse_complex_numIfEEEvi20rocsparse_direction_NS_24const_host_device_scalarIT2_EEPKiS8_PKS5_SA_S6_PS5_21rocsparse_index_base_b.num_vgpr, 90
	.set _ZN9rocsparseL19gebsrmvn_4xn_kernelILj128ELj8ELj64E21rocsparse_complex_numIfEEEvi20rocsparse_direction_NS_24const_host_device_scalarIT2_EEPKiS8_PKS5_SA_S6_PS5_21rocsparse_index_base_b.num_agpr, 0
	.set _ZN9rocsparseL19gebsrmvn_4xn_kernelILj128ELj8ELj64E21rocsparse_complex_numIfEEEvi20rocsparse_direction_NS_24const_host_device_scalarIT2_EEPKiS8_PKS5_SA_S6_PS5_21rocsparse_index_base_b.numbered_sgpr, 16
	.set _ZN9rocsparseL19gebsrmvn_4xn_kernelILj128ELj8ELj64E21rocsparse_complex_numIfEEEvi20rocsparse_direction_NS_24const_host_device_scalarIT2_EEPKiS8_PKS5_SA_S6_PS5_21rocsparse_index_base_b.num_named_barrier, 0
	.set _ZN9rocsparseL19gebsrmvn_4xn_kernelILj128ELj8ELj64E21rocsparse_complex_numIfEEEvi20rocsparse_direction_NS_24const_host_device_scalarIT2_EEPKiS8_PKS5_SA_S6_PS5_21rocsparse_index_base_b.private_seg_size, 0
	.set _ZN9rocsparseL19gebsrmvn_4xn_kernelILj128ELj8ELj64E21rocsparse_complex_numIfEEEvi20rocsparse_direction_NS_24const_host_device_scalarIT2_EEPKiS8_PKS5_SA_S6_PS5_21rocsparse_index_base_b.uses_vcc, 1
	.set _ZN9rocsparseL19gebsrmvn_4xn_kernelILj128ELj8ELj64E21rocsparse_complex_numIfEEEvi20rocsparse_direction_NS_24const_host_device_scalarIT2_EEPKiS8_PKS5_SA_S6_PS5_21rocsparse_index_base_b.uses_flat_scratch, 0
	.set _ZN9rocsparseL19gebsrmvn_4xn_kernelILj128ELj8ELj64E21rocsparse_complex_numIfEEEvi20rocsparse_direction_NS_24const_host_device_scalarIT2_EEPKiS8_PKS5_SA_S6_PS5_21rocsparse_index_base_b.has_dyn_sized_stack, 0
	.set _ZN9rocsparseL19gebsrmvn_4xn_kernelILj128ELj8ELj64E21rocsparse_complex_numIfEEEvi20rocsparse_direction_NS_24const_host_device_scalarIT2_EEPKiS8_PKS5_SA_S6_PS5_21rocsparse_index_base_b.has_recursion, 0
	.set _ZN9rocsparseL19gebsrmvn_4xn_kernelILj128ELj8ELj64E21rocsparse_complex_numIfEEEvi20rocsparse_direction_NS_24const_host_device_scalarIT2_EEPKiS8_PKS5_SA_S6_PS5_21rocsparse_index_base_b.has_indirect_call, 0
	.section	.AMDGPU.csdata,"",@progbits
; Kernel info:
; codeLenInByte = 3516
; TotalNumSgprs: 22
; NumVgprs: 90
; NumAgprs: 0
; TotalNumVgprs: 90
; ScratchSize: 0
; MemoryBound: 0
; FloatMode: 240
; IeeeMode: 1
; LDSByteSize: 0 bytes/workgroup (compile time only)
; SGPRBlocks: 2
; VGPRBlocks: 11
; NumSGPRsForWavesPerEU: 22
; NumVGPRsForWavesPerEU: 90
; AccumOffset: 92
; Occupancy: 5
; WaveLimiterHint : 1
; COMPUTE_PGM_RSRC2:SCRATCH_EN: 0
; COMPUTE_PGM_RSRC2:USER_SGPR: 2
; COMPUTE_PGM_RSRC2:TRAP_HANDLER: 0
; COMPUTE_PGM_RSRC2:TGID_X_EN: 1
; COMPUTE_PGM_RSRC2:TGID_Y_EN: 0
; COMPUTE_PGM_RSRC2:TGID_Z_EN: 0
; COMPUTE_PGM_RSRC2:TIDIG_COMP_CNT: 0
; COMPUTE_PGM_RSRC3_GFX90A:ACCUM_OFFSET: 22
; COMPUTE_PGM_RSRC3_GFX90A:TG_SPLIT: 0
	.section	.text._ZN9rocsparseL23gebsrmvn_general_kernelILj64ELj16E21rocsparse_complex_numIfEEEvi20rocsparse_direction_NS_24const_host_device_scalarIT1_EEPKiS8_PKS5_iiSA_S6_PS5_21rocsparse_index_base_b,"axG",@progbits,_ZN9rocsparseL23gebsrmvn_general_kernelILj64ELj16E21rocsparse_complex_numIfEEEvi20rocsparse_direction_NS_24const_host_device_scalarIT1_EEPKiS8_PKS5_iiSA_S6_PS5_21rocsparse_index_base_b,comdat
	.globl	_ZN9rocsparseL23gebsrmvn_general_kernelILj64ELj16E21rocsparse_complex_numIfEEEvi20rocsparse_direction_NS_24const_host_device_scalarIT1_EEPKiS8_PKS5_iiSA_S6_PS5_21rocsparse_index_base_b ; -- Begin function _ZN9rocsparseL23gebsrmvn_general_kernelILj64ELj16E21rocsparse_complex_numIfEEEvi20rocsparse_direction_NS_24const_host_device_scalarIT1_EEPKiS8_PKS5_iiSA_S6_PS5_21rocsparse_index_base_b
	.p2align	8
	.type	_ZN9rocsparseL23gebsrmvn_general_kernelILj64ELj16E21rocsparse_complex_numIfEEEvi20rocsparse_direction_NS_24const_host_device_scalarIT1_EEPKiS8_PKS5_iiSA_S6_PS5_21rocsparse_index_base_b,@function
_ZN9rocsparseL23gebsrmvn_general_kernelILj64ELj16E21rocsparse_complex_numIfEEEvi20rocsparse_direction_NS_24const_host_device_scalarIT1_EEPKiS8_PKS5_iiSA_S6_PS5_21rocsparse_index_base_b: ; @_ZN9rocsparseL23gebsrmvn_general_kernelILj64ELj16E21rocsparse_complex_numIfEEEvi20rocsparse_direction_NS_24const_host_device_scalarIT1_EEPKiS8_PKS5_iiSA_S6_PS5_21rocsparse_index_base_b
; %bb.0:
	s_load_dwordx2 s[4:5], s[0:1], 0x8
	s_load_dwordx2 s[6:7], s[0:1], 0x38
	;; [unrolled: 1-line block ×3, first 2 shown]
	s_add_u32 s3, s0, 8
	s_addc_u32 s8, s1, 0
	s_add_u32 s9, s0, 56
	s_addc_u32 s10, s1, 0
	s_waitcnt lgkmcnt(0)
	s_bitcmp1_b32 s13, 0
	s_cselect_b32 s3, s3, s4
	s_cselect_b32 s5, s8, s5
	v_mov_b32_e32 v2, s3
	s_cselect_b32 s3, s10, s7
	s_cselect_b32 s4, s9, s6
	v_mov_b32_e32 v3, s5
	v_mov_b32_e32 v4, s4
	;; [unrolled: 1-line block ×3, first 2 shown]
	flat_load_dwordx2 v[2:3], v[2:3]
	s_waitcnt vmcnt(0) lgkmcnt(0)
	v_cmp_eq_f32_e32 vcc, 0, v2
	flat_load_dwordx2 v[4:5], v[4:5]
	v_cmp_eq_f32_e64 s[4:5], 0, v3
	s_and_b64 s[4:5], vcc, s[4:5]
	s_waitcnt vmcnt(0) lgkmcnt(0)
	v_cmp_eq_f32_e64 s[6:7], 1.0, v4
	v_cmp_eq_f32_e64 s[8:9], 0, v5
	s_and_b64 s[6:7], s[6:7], s[8:9]
	s_and_b64 s[4:5], s[4:5], s[6:7]
	s_xor_b64 s[4:5], s[4:5], -1
	s_and_saveexec_b64 s[6:7], s[4:5]
	s_cbranch_execz .LBB109_20
; %bb.1:
	s_load_dwordx2 s[14:15], s[0:1], 0x28
	v_lshrrev_b32_e32 v6, 4, v0
	s_waitcnt lgkmcnt(0)
	v_cmp_gt_i32_e32 vcc, s14, v6
	s_and_b64 exec, exec, vcc
	s_cbranch_execz .LBB109_20
; %bb.2:
	s_load_dwordx4 s[8:11], s[0:1], 0x10
	s_load_dword s20, s[0:1], 0x4
	s_ashr_i32 s3, s2, 31
	s_lshl_b64 s[4:5], s[2:3], 2
	s_mul_i32 s34, s14, s2
	s_waitcnt lgkmcnt(0)
	s_add_u32 s4, s8, s4
	s_addc_u32 s5, s9, s5
	s_load_dwordx2 s[6:7], s[4:5], 0x0
	s_load_dwordx2 s[8:9], s[0:1], 0x20
	s_load_dwordx2 s[16:17], s[0:1], 0x30
	s_load_dwordx2 s[18:19], s[0:1], 0x40
	v_and_b32_e32 v7, 15, v0
	s_waitcnt lgkmcnt(0)
	s_sub_i32 s13, s6, s12
	s_sub_i32 s33, s7, s12
	s_cmp_lt_i32 s6, s7
	s_mul_i32 s2, s14, s13
	s_cselect_b64 s[24:25], -1, 0
	v_add_u32_e32 v10, s2, v6
	s_cmp_lg_u32 s20, 0
	v_cmp_eq_f32_e32 vcc, 0, v4
	v_cmp_eq_f32_e64 s[4:5], 0, v5
	v_mul_lo_u32 v16, s15, v10
	v_cndmask_b32_e64 v10, 0, 1, s[24:25]
	v_cmp_gt_i32_e64 s[0:1], s15, v7
	s_cselect_b64 s[20:21], -1, 0
	v_cmp_eq_u32_e64 s[6:7], 15, v7
	s_and_b64 s[22:23], vcc, s[4:5]
	v_xor_b32_e32 v0, 0x80000000, v3
	v_xor_b32_e32 v8, 0x80000000, v5
	v_mov_b32_e32 v1, v2
	v_mov_b32_e32 v9, v4
	s_lshl_b32 s35, s15, 2
	s_mul_i32 s36, s15, s14
	s_mov_b64 s[2:3], 0
	v_mov_b32_e32 v18, 0
	v_cmp_ne_u32_e64 s[4:5], 1, v10
	s_branch .LBB109_4
.LBB109_3:                              ;   in Loop: Header=BB109_4 Depth=1
	s_or_b64 exec, exec, s[24:25]
	v_add_u32_e32 v6, 4, v6
	v_cmp_le_i32_e32 vcc, s14, v6
	s_or_b64 s[2:3], vcc, s[2:3]
	v_add_u32_e32 v16, s35, v16
	s_andn2_b64 exec, exec, s[2:3]
	s_cbranch_execz .LBB109_20
.LBB109_4:                              ; =>This Loop Header: Depth=1
                                        ;     Child Loop BB109_8 Depth 2
                                        ;       Child Loop BB109_11 Depth 3
	v_mov_b32_e32 v19, v18
	s_and_b64 vcc, exec, s[4:5]
	v_mov_b64_e32 v[10:11], v[18:19]
	s_cbranch_vccnz .LBB109_15
; %bb.5:                                ;   in Loop: Header=BB109_4 Depth=1
	v_mov_b32_e32 v19, v18
	v_mov_b32_e32 v14, v16
	s_mov_b32 s24, s13
	v_mov_b64_e32 v[10:11], v[18:19]
	s_branch .LBB109_8
.LBB109_6:                              ;   in Loop: Header=BB109_8 Depth=2
	s_or_b64 exec, exec, s[28:29]
.LBB109_7:                              ;   in Loop: Header=BB109_8 Depth=2
	s_or_b64 exec, exec, s[26:27]
	s_add_i32 s24, s24, 1
	s_cmp_ge_i32 s24, s33
	v_add_u32_e32 v14, s36, v14
	s_cbranch_scc1 .LBB109_15
.LBB109_8:                              ;   Parent Loop BB109_4 Depth=1
                                        ; =>  This Loop Header: Depth=2
                                        ;       Child Loop BB109_11 Depth 3
	s_and_saveexec_b64 s[26:27], s[0:1]
	s_cbranch_execz .LBB109_7
; %bb.9:                                ;   in Loop: Header=BB109_8 Depth=2
	s_ashr_i32 s25, s24, 31
	s_lshl_b64 s[28:29], s[24:25], 2
	s_add_u32 s28, s10, s28
	s_addc_u32 s29, s11, s29
	s_load_dword s30, s[28:29], 0x0
	s_mul_i32 s25, s24, s15
	s_mov_b64 s[28:29], 0
	v_mov_b32_e32 v15, v7
	s_waitcnt lgkmcnt(0)
	s_sub_i32 s37, s30, s12
	s_mul_i32 s37, s37, s15
	s_branch .LBB109_11
.LBB109_10:                             ;   in Loop: Header=BB109_11 Depth=3
	v_add_u32_e32 v20, s37, v15
	v_ashrrev_i32_e32 v13, 31, v12
	v_ashrrev_i32_e32 v21, 31, v20
	v_lshl_add_u64 v[12:13], v[12:13], 3, s[8:9]
	v_lshl_add_u64 v[20:21], v[20:21], 3, s[16:17]
	global_load_dwordx2 v[12:13], v[12:13], off
	v_add_u32_e32 v15, 16, v15
	global_load_dwordx2 v[20:21], v[20:21], off
	v_cmp_le_i32_e32 vcc, s15, v15
	s_or_b64 s[28:29], vcc, s[28:29]
	s_waitcnt vmcnt(1)
	v_xor_b32_e32 v22, 0x80000000, v13
	v_mov_b32_e32 v23, v12
	s_waitcnt vmcnt(0)
	v_pk_fma_f32 v[10:11], v[12:13], v[20:21], v[10:11] op_sel_hi:[1,0,1]
	s_nop 0
	v_pk_fma_f32 v[10:11], v[22:23], v[20:21], v[10:11] op_sel:[0,1,0]
	s_andn2_b64 exec, exec, s[28:29]
	s_cbranch_execz .LBB109_6
.LBB109_11:                             ;   Parent Loop BB109_4 Depth=1
                                        ;     Parent Loop BB109_8 Depth=2
                                        ; =>    This Inner Loop Header: Depth=3
	s_and_b64 vcc, exec, s[20:21]
	s_cbranch_vccz .LBB109_13
; %bb.12:                               ;   in Loop: Header=BB109_11 Depth=3
	v_add_u32_e32 v12, s25, v15
	v_mad_u64_u32 v[12:13], s[30:31], v12, s14, v[6:7]
	s_cbranch_execnz .LBB109_10
	s_branch .LBB109_14
.LBB109_13:                             ;   in Loop: Header=BB109_11 Depth=3
                                        ; implicit-def: $vgpr12
.LBB109_14:                             ;   in Loop: Header=BB109_11 Depth=3
	v_add_u32_e32 v12, v14, v15
	s_branch .LBB109_10
.LBB109_15:                             ;   in Loop: Header=BB109_4 Depth=1
	s_nop 0
	v_mov_b32_dpp v12, v10 row_shr:1 row_mask:0xf bank_mask:0xf
	v_mov_b32_dpp v13, v11 row_shr:1 row_mask:0xf bank_mask:0xf
	v_add_f32_e32 v10, v10, v12
	v_add_f32_e32 v11, v11, v13
	s_nop 0
	v_mov_b32_dpp v12, v10 row_shr:2 row_mask:0xf bank_mask:0xf
	v_mov_b32_dpp v13, v11 row_shr:2 row_mask:0xf bank_mask:0xf
	v_add_f32_e32 v10, v10, v12
	v_add_f32_e32 v11, v11, v13
	;; [unrolled: 5-line block ×3, first 2 shown]
	s_nop 0
	v_mov_b32_dpp v12, v10 row_shr:8 row_mask:0xf bank_mask:0xc
	v_mov_b32_dpp v13, v11 row_shr:8 row_mask:0xf bank_mask:0xc
	s_and_saveexec_b64 s[24:25], s[6:7]
	s_cbranch_execz .LBB109_3
; %bb.16:                               ;   in Loop: Header=BB109_4 Depth=1
	v_add_u32_e32 v14, s34, v6
	v_add_f32_e32 v10, v10, v12
	v_add_f32_e32 v12, v11, v13
	v_ashrrev_i32_e32 v15, 31, v14
	s_and_saveexec_b64 s[26:27], s[22:23]
	s_xor_b64 s[26:27], exec, s[26:27]
	s_cbranch_execz .LBB109_18
; %bb.17:                               ;   in Loop: Header=BB109_4 Depth=1
	v_pk_mul_f32 v[12:13], v[12:13], v[0:1] op_sel_hi:[0,1]
	v_lshl_add_u64 v[14:15], v[14:15], 3, s[18:19]
	v_pk_fma_f32 v[10:11], v[2:3], v[10:11], v[12:13] op_sel_hi:[1,0,1]
	global_store_dwordx2 v[14:15], v[10:11], off
                                        ; implicit-def: $vgpr14
                                        ; implicit-def: $vgpr12
                                        ; implicit-def: $vgpr10
.LBB109_18:                             ;   in Loop: Header=BB109_4 Depth=1
	s_andn2_saveexec_b64 s[26:27], s[26:27]
	s_cbranch_execz .LBB109_3
; %bb.19:                               ;   in Loop: Header=BB109_4 Depth=1
	v_lshl_add_u64 v[14:15], v[14:15], 3, s[18:19]
	global_load_dwordx2 v[20:21], v[14:15], off
	v_pk_mul_f32 v[12:13], v[12:13], v[0:1] op_sel_hi:[0,1]
	v_pk_fma_f32 v[10:11], v[2:3], v[10:11], v[12:13] op_sel_hi:[1,0,1]
	s_waitcnt vmcnt(0)
	v_pk_fma_f32 v[10:11], v[4:5], v[20:21], v[10:11] op_sel_hi:[1,0,1]
	s_nop 0
	v_pk_fma_f32 v[10:11], v[8:9], v[20:21], v[10:11] op_sel:[0,1,0]
	global_store_dwordx2 v[14:15], v[10:11], off
	s_branch .LBB109_3
.LBB109_20:
	s_endpgm
	.section	.rodata,"a",@progbits
	.p2align	6, 0x0
	.amdhsa_kernel _ZN9rocsparseL23gebsrmvn_general_kernelILj64ELj16E21rocsparse_complex_numIfEEEvi20rocsparse_direction_NS_24const_host_device_scalarIT1_EEPKiS8_PKS5_iiSA_S6_PS5_21rocsparse_index_base_b
		.amdhsa_group_segment_fixed_size 0
		.amdhsa_private_segment_fixed_size 0
		.amdhsa_kernarg_size 80
		.amdhsa_user_sgpr_count 2
		.amdhsa_user_sgpr_dispatch_ptr 0
		.amdhsa_user_sgpr_queue_ptr 0
		.amdhsa_user_sgpr_kernarg_segment_ptr 1
		.amdhsa_user_sgpr_dispatch_id 0
		.amdhsa_user_sgpr_kernarg_preload_length 0
		.amdhsa_user_sgpr_kernarg_preload_offset 0
		.amdhsa_user_sgpr_private_segment_size 0
		.amdhsa_uses_dynamic_stack 0
		.amdhsa_enable_private_segment 0
		.amdhsa_system_sgpr_workgroup_id_x 1
		.amdhsa_system_sgpr_workgroup_id_y 0
		.amdhsa_system_sgpr_workgroup_id_z 0
		.amdhsa_system_sgpr_workgroup_info 0
		.amdhsa_system_vgpr_workitem_id 0
		.amdhsa_next_free_vgpr 24
		.amdhsa_next_free_sgpr 38
		.amdhsa_accum_offset 24
		.amdhsa_reserve_vcc 1
		.amdhsa_float_round_mode_32 0
		.amdhsa_float_round_mode_16_64 0
		.amdhsa_float_denorm_mode_32 3
		.amdhsa_float_denorm_mode_16_64 3
		.amdhsa_dx10_clamp 1
		.amdhsa_ieee_mode 1
		.amdhsa_fp16_overflow 0
		.amdhsa_tg_split 0
		.amdhsa_exception_fp_ieee_invalid_op 0
		.amdhsa_exception_fp_denorm_src 0
		.amdhsa_exception_fp_ieee_div_zero 0
		.amdhsa_exception_fp_ieee_overflow 0
		.amdhsa_exception_fp_ieee_underflow 0
		.amdhsa_exception_fp_ieee_inexact 0
		.amdhsa_exception_int_div_zero 0
	.end_amdhsa_kernel
	.section	.text._ZN9rocsparseL23gebsrmvn_general_kernelILj64ELj16E21rocsparse_complex_numIfEEEvi20rocsparse_direction_NS_24const_host_device_scalarIT1_EEPKiS8_PKS5_iiSA_S6_PS5_21rocsparse_index_base_b,"axG",@progbits,_ZN9rocsparseL23gebsrmvn_general_kernelILj64ELj16E21rocsparse_complex_numIfEEEvi20rocsparse_direction_NS_24const_host_device_scalarIT1_EEPKiS8_PKS5_iiSA_S6_PS5_21rocsparse_index_base_b,comdat
.Lfunc_end109:
	.size	_ZN9rocsparseL23gebsrmvn_general_kernelILj64ELj16E21rocsparse_complex_numIfEEEvi20rocsparse_direction_NS_24const_host_device_scalarIT1_EEPKiS8_PKS5_iiSA_S6_PS5_21rocsparse_index_base_b, .Lfunc_end109-_ZN9rocsparseL23gebsrmvn_general_kernelILj64ELj16E21rocsparse_complex_numIfEEEvi20rocsparse_direction_NS_24const_host_device_scalarIT1_EEPKiS8_PKS5_iiSA_S6_PS5_21rocsparse_index_base_b
                                        ; -- End function
	.set _ZN9rocsparseL23gebsrmvn_general_kernelILj64ELj16E21rocsparse_complex_numIfEEEvi20rocsparse_direction_NS_24const_host_device_scalarIT1_EEPKiS8_PKS5_iiSA_S6_PS5_21rocsparse_index_base_b.num_vgpr, 24
	.set _ZN9rocsparseL23gebsrmvn_general_kernelILj64ELj16E21rocsparse_complex_numIfEEEvi20rocsparse_direction_NS_24const_host_device_scalarIT1_EEPKiS8_PKS5_iiSA_S6_PS5_21rocsparse_index_base_b.num_agpr, 0
	.set _ZN9rocsparseL23gebsrmvn_general_kernelILj64ELj16E21rocsparse_complex_numIfEEEvi20rocsparse_direction_NS_24const_host_device_scalarIT1_EEPKiS8_PKS5_iiSA_S6_PS5_21rocsparse_index_base_b.numbered_sgpr, 38
	.set _ZN9rocsparseL23gebsrmvn_general_kernelILj64ELj16E21rocsparse_complex_numIfEEEvi20rocsparse_direction_NS_24const_host_device_scalarIT1_EEPKiS8_PKS5_iiSA_S6_PS5_21rocsparse_index_base_b.num_named_barrier, 0
	.set _ZN9rocsparseL23gebsrmvn_general_kernelILj64ELj16E21rocsparse_complex_numIfEEEvi20rocsparse_direction_NS_24const_host_device_scalarIT1_EEPKiS8_PKS5_iiSA_S6_PS5_21rocsparse_index_base_b.private_seg_size, 0
	.set _ZN9rocsparseL23gebsrmvn_general_kernelILj64ELj16E21rocsparse_complex_numIfEEEvi20rocsparse_direction_NS_24const_host_device_scalarIT1_EEPKiS8_PKS5_iiSA_S6_PS5_21rocsparse_index_base_b.uses_vcc, 1
	.set _ZN9rocsparseL23gebsrmvn_general_kernelILj64ELj16E21rocsparse_complex_numIfEEEvi20rocsparse_direction_NS_24const_host_device_scalarIT1_EEPKiS8_PKS5_iiSA_S6_PS5_21rocsparse_index_base_b.uses_flat_scratch, 0
	.set _ZN9rocsparseL23gebsrmvn_general_kernelILj64ELj16E21rocsparse_complex_numIfEEEvi20rocsparse_direction_NS_24const_host_device_scalarIT1_EEPKiS8_PKS5_iiSA_S6_PS5_21rocsparse_index_base_b.has_dyn_sized_stack, 0
	.set _ZN9rocsparseL23gebsrmvn_general_kernelILj64ELj16E21rocsparse_complex_numIfEEEvi20rocsparse_direction_NS_24const_host_device_scalarIT1_EEPKiS8_PKS5_iiSA_S6_PS5_21rocsparse_index_base_b.has_recursion, 0
	.set _ZN9rocsparseL23gebsrmvn_general_kernelILj64ELj16E21rocsparse_complex_numIfEEEvi20rocsparse_direction_NS_24const_host_device_scalarIT1_EEPKiS8_PKS5_iiSA_S6_PS5_21rocsparse_index_base_b.has_indirect_call, 0
	.section	.AMDGPU.csdata,"",@progbits
; Kernel info:
; codeLenInByte = 936
; TotalNumSgprs: 44
; NumVgprs: 24
; NumAgprs: 0
; TotalNumVgprs: 24
; ScratchSize: 0
; MemoryBound: 0
; FloatMode: 240
; IeeeMode: 1
; LDSByteSize: 0 bytes/workgroup (compile time only)
; SGPRBlocks: 5
; VGPRBlocks: 2
; NumSGPRsForWavesPerEU: 44
; NumVGPRsForWavesPerEU: 24
; AccumOffset: 24
; Occupancy: 8
; WaveLimiterHint : 1
; COMPUTE_PGM_RSRC2:SCRATCH_EN: 0
; COMPUTE_PGM_RSRC2:USER_SGPR: 2
; COMPUTE_PGM_RSRC2:TRAP_HANDLER: 0
; COMPUTE_PGM_RSRC2:TGID_X_EN: 1
; COMPUTE_PGM_RSRC2:TGID_Y_EN: 0
; COMPUTE_PGM_RSRC2:TGID_Z_EN: 0
; COMPUTE_PGM_RSRC2:TIDIG_COMP_CNT: 0
; COMPUTE_PGM_RSRC3_GFX90A:ACCUM_OFFSET: 5
; COMPUTE_PGM_RSRC3_GFX90A:TG_SPLIT: 0
	.section	.text._ZN9rocsparseL23gebsrmvn_general_kernelILj128ELj32E21rocsparse_complex_numIfEEEvi20rocsparse_direction_NS_24const_host_device_scalarIT1_EEPKiS8_PKS5_iiSA_S6_PS5_21rocsparse_index_base_b,"axG",@progbits,_ZN9rocsparseL23gebsrmvn_general_kernelILj128ELj32E21rocsparse_complex_numIfEEEvi20rocsparse_direction_NS_24const_host_device_scalarIT1_EEPKiS8_PKS5_iiSA_S6_PS5_21rocsparse_index_base_b,comdat
	.globl	_ZN9rocsparseL23gebsrmvn_general_kernelILj128ELj32E21rocsparse_complex_numIfEEEvi20rocsparse_direction_NS_24const_host_device_scalarIT1_EEPKiS8_PKS5_iiSA_S6_PS5_21rocsparse_index_base_b ; -- Begin function _ZN9rocsparseL23gebsrmvn_general_kernelILj128ELj32E21rocsparse_complex_numIfEEEvi20rocsparse_direction_NS_24const_host_device_scalarIT1_EEPKiS8_PKS5_iiSA_S6_PS5_21rocsparse_index_base_b
	.p2align	8
	.type	_ZN9rocsparseL23gebsrmvn_general_kernelILj128ELj32E21rocsparse_complex_numIfEEEvi20rocsparse_direction_NS_24const_host_device_scalarIT1_EEPKiS8_PKS5_iiSA_S6_PS5_21rocsparse_index_base_b,@function
_ZN9rocsparseL23gebsrmvn_general_kernelILj128ELj32E21rocsparse_complex_numIfEEEvi20rocsparse_direction_NS_24const_host_device_scalarIT1_EEPKiS8_PKS5_iiSA_S6_PS5_21rocsparse_index_base_b: ; @_ZN9rocsparseL23gebsrmvn_general_kernelILj128ELj32E21rocsparse_complex_numIfEEEvi20rocsparse_direction_NS_24const_host_device_scalarIT1_EEPKiS8_PKS5_iiSA_S6_PS5_21rocsparse_index_base_b
; %bb.0:
	s_load_dwordx2 s[4:5], s[0:1], 0x8
	s_load_dwordx2 s[6:7], s[0:1], 0x38
	;; [unrolled: 1-line block ×3, first 2 shown]
	s_add_u32 s3, s0, 8
	s_addc_u32 s8, s1, 0
	s_add_u32 s9, s0, 56
	s_addc_u32 s10, s1, 0
	s_waitcnt lgkmcnt(0)
	s_bitcmp1_b32 s13, 0
	s_cselect_b32 s3, s3, s4
	s_cselect_b32 s5, s8, s5
	v_mov_b32_e32 v2, s3
	s_cselect_b32 s3, s10, s7
	s_cselect_b32 s4, s9, s6
	v_mov_b32_e32 v3, s5
	v_mov_b32_e32 v4, s4
	;; [unrolled: 1-line block ×3, first 2 shown]
	flat_load_dwordx2 v[2:3], v[2:3]
	s_waitcnt vmcnt(0) lgkmcnt(0)
	v_cmp_eq_f32_e32 vcc, 0, v2
	flat_load_dwordx2 v[4:5], v[4:5]
	v_cmp_eq_f32_e64 s[4:5], 0, v3
	s_and_b64 s[4:5], vcc, s[4:5]
	s_waitcnt vmcnt(0) lgkmcnt(0)
	v_cmp_eq_f32_e64 s[6:7], 1.0, v4
	v_cmp_eq_f32_e64 s[8:9], 0, v5
	s_and_b64 s[6:7], s[6:7], s[8:9]
	s_and_b64 s[4:5], s[4:5], s[6:7]
	s_xor_b64 s[4:5], s[4:5], -1
	s_and_saveexec_b64 s[6:7], s[4:5]
	s_cbranch_execz .LBB110_20
; %bb.1:
	s_load_dwordx2 s[14:15], s[0:1], 0x28
	v_lshrrev_b32_e32 v6, 5, v0
	s_waitcnt lgkmcnt(0)
	v_cmp_gt_i32_e32 vcc, s14, v6
	s_and_b64 exec, exec, vcc
	s_cbranch_execz .LBB110_20
; %bb.2:
	s_load_dwordx4 s[8:11], s[0:1], 0x10
	s_load_dword s20, s[0:1], 0x4
	s_ashr_i32 s3, s2, 31
	s_lshl_b64 s[4:5], s[2:3], 2
	s_mul_i32 s34, s14, s2
	s_waitcnt lgkmcnt(0)
	s_add_u32 s4, s8, s4
	s_addc_u32 s5, s9, s5
	s_load_dwordx2 s[6:7], s[4:5], 0x0
	s_load_dwordx2 s[8:9], s[0:1], 0x20
	;; [unrolled: 1-line block ×4, first 2 shown]
	v_and_b32_e32 v7, 31, v0
	s_waitcnt lgkmcnt(0)
	s_sub_i32 s13, s6, s12
	s_sub_i32 s33, s7, s12
	s_cmp_lt_i32 s6, s7
	s_mul_i32 s2, s14, s13
	s_cselect_b64 s[24:25], -1, 0
	v_add_u32_e32 v10, s2, v6
	s_cmp_lg_u32 s20, 0
	v_cmp_eq_f32_e32 vcc, 0, v4
	v_cmp_eq_f32_e64 s[4:5], 0, v5
	v_mul_lo_u32 v16, s15, v10
	v_cndmask_b32_e64 v10, 0, 1, s[24:25]
	v_cmp_gt_i32_e64 s[0:1], s15, v7
	s_cselect_b64 s[20:21], -1, 0
	v_cmp_eq_u32_e64 s[6:7], 31, v7
	s_and_b64 s[22:23], vcc, s[4:5]
	v_xor_b32_e32 v0, 0x80000000, v3
	v_xor_b32_e32 v8, 0x80000000, v5
	v_mov_b32_e32 v1, v2
	v_mov_b32_e32 v9, v4
	s_lshl_b32 s35, s15, 2
	s_mul_i32 s36, s15, s14
	s_mov_b64 s[2:3], 0
	v_mov_b32_e32 v18, 0
	v_cmp_ne_u32_e64 s[4:5], 1, v10
	s_branch .LBB110_4
.LBB110_3:                              ;   in Loop: Header=BB110_4 Depth=1
	s_or_b64 exec, exec, s[24:25]
	v_add_u32_e32 v6, 4, v6
	v_cmp_le_i32_e32 vcc, s14, v6
	s_or_b64 s[2:3], vcc, s[2:3]
	v_add_u32_e32 v16, s35, v16
	s_andn2_b64 exec, exec, s[2:3]
	s_cbranch_execz .LBB110_20
.LBB110_4:                              ; =>This Loop Header: Depth=1
                                        ;     Child Loop BB110_8 Depth 2
                                        ;       Child Loop BB110_11 Depth 3
	v_mov_b32_e32 v19, v18
	s_and_b64 vcc, exec, s[4:5]
	v_mov_b64_e32 v[10:11], v[18:19]
	s_cbranch_vccnz .LBB110_15
; %bb.5:                                ;   in Loop: Header=BB110_4 Depth=1
	v_mov_b32_e32 v19, v18
	v_mov_b32_e32 v14, v16
	s_mov_b32 s24, s13
	v_mov_b64_e32 v[10:11], v[18:19]
	s_branch .LBB110_8
.LBB110_6:                              ;   in Loop: Header=BB110_8 Depth=2
	s_or_b64 exec, exec, s[28:29]
.LBB110_7:                              ;   in Loop: Header=BB110_8 Depth=2
	s_or_b64 exec, exec, s[26:27]
	s_add_i32 s24, s24, 1
	s_cmp_ge_i32 s24, s33
	v_add_u32_e32 v14, s36, v14
	s_cbranch_scc1 .LBB110_15
.LBB110_8:                              ;   Parent Loop BB110_4 Depth=1
                                        ; =>  This Loop Header: Depth=2
                                        ;       Child Loop BB110_11 Depth 3
	s_and_saveexec_b64 s[26:27], s[0:1]
	s_cbranch_execz .LBB110_7
; %bb.9:                                ;   in Loop: Header=BB110_8 Depth=2
	s_ashr_i32 s25, s24, 31
	s_lshl_b64 s[28:29], s[24:25], 2
	s_add_u32 s28, s10, s28
	s_addc_u32 s29, s11, s29
	s_load_dword s30, s[28:29], 0x0
	s_mul_i32 s25, s24, s15
	s_mov_b64 s[28:29], 0
	v_mov_b32_e32 v15, v7
	s_waitcnt lgkmcnt(0)
	s_sub_i32 s37, s30, s12
	s_mul_i32 s37, s37, s15
	s_branch .LBB110_11
.LBB110_10:                             ;   in Loop: Header=BB110_11 Depth=3
	v_add_u32_e32 v20, s37, v15
	v_ashrrev_i32_e32 v13, 31, v12
	v_ashrrev_i32_e32 v21, 31, v20
	v_lshl_add_u64 v[12:13], v[12:13], 3, s[8:9]
	v_lshl_add_u64 v[20:21], v[20:21], 3, s[16:17]
	global_load_dwordx2 v[12:13], v[12:13], off
	v_add_u32_e32 v15, 32, v15
	global_load_dwordx2 v[20:21], v[20:21], off
	v_cmp_le_i32_e32 vcc, s15, v15
	s_or_b64 s[28:29], vcc, s[28:29]
	s_waitcnt vmcnt(1)
	v_xor_b32_e32 v22, 0x80000000, v13
	v_mov_b32_e32 v23, v12
	s_waitcnt vmcnt(0)
	v_pk_fma_f32 v[10:11], v[12:13], v[20:21], v[10:11] op_sel_hi:[1,0,1]
	s_nop 0
	v_pk_fma_f32 v[10:11], v[22:23], v[20:21], v[10:11] op_sel:[0,1,0]
	s_andn2_b64 exec, exec, s[28:29]
	s_cbranch_execz .LBB110_6
.LBB110_11:                             ;   Parent Loop BB110_4 Depth=1
                                        ;     Parent Loop BB110_8 Depth=2
                                        ; =>    This Inner Loop Header: Depth=3
	s_and_b64 vcc, exec, s[20:21]
	s_cbranch_vccz .LBB110_13
; %bb.12:                               ;   in Loop: Header=BB110_11 Depth=3
	v_add_u32_e32 v12, s25, v15
	v_mad_u64_u32 v[12:13], s[30:31], v12, s14, v[6:7]
	s_cbranch_execnz .LBB110_10
	s_branch .LBB110_14
.LBB110_13:                             ;   in Loop: Header=BB110_11 Depth=3
                                        ; implicit-def: $vgpr12
.LBB110_14:                             ;   in Loop: Header=BB110_11 Depth=3
	v_add_u32_e32 v12, v14, v15
	s_branch .LBB110_10
.LBB110_15:                             ;   in Loop: Header=BB110_4 Depth=1
	s_nop 0
	v_mov_b32_dpp v12, v10 row_shr:1 row_mask:0xf bank_mask:0xf
	v_mov_b32_dpp v13, v11 row_shr:1 row_mask:0xf bank_mask:0xf
	v_add_f32_e32 v10, v10, v12
	v_add_f32_e32 v11, v11, v13
	s_nop 0
	v_mov_b32_dpp v12, v10 row_shr:2 row_mask:0xf bank_mask:0xf
	v_mov_b32_dpp v13, v11 row_shr:2 row_mask:0xf bank_mask:0xf
	v_add_f32_e32 v10, v10, v12
	v_add_f32_e32 v11, v11, v13
	;; [unrolled: 5-line block ×4, first 2 shown]
	s_nop 0
	v_mov_b32_dpp v12, v10 row_bcast:15 row_mask:0xa bank_mask:0xf
	v_mov_b32_dpp v13, v11 row_bcast:15 row_mask:0xa bank_mask:0xf
	s_and_saveexec_b64 s[24:25], s[6:7]
	s_cbranch_execz .LBB110_3
; %bb.16:                               ;   in Loop: Header=BB110_4 Depth=1
	v_add_u32_e32 v14, s34, v6
	v_add_f32_e32 v10, v10, v12
	v_add_f32_e32 v12, v11, v13
	v_ashrrev_i32_e32 v15, 31, v14
	s_and_saveexec_b64 s[26:27], s[22:23]
	s_xor_b64 s[26:27], exec, s[26:27]
	s_cbranch_execz .LBB110_18
; %bb.17:                               ;   in Loop: Header=BB110_4 Depth=1
	v_pk_mul_f32 v[12:13], v[12:13], v[0:1] op_sel_hi:[0,1]
	v_lshl_add_u64 v[14:15], v[14:15], 3, s[18:19]
	v_pk_fma_f32 v[10:11], v[2:3], v[10:11], v[12:13] op_sel_hi:[1,0,1]
	global_store_dwordx2 v[14:15], v[10:11], off
                                        ; implicit-def: $vgpr14
                                        ; implicit-def: $vgpr12
                                        ; implicit-def: $vgpr10
.LBB110_18:                             ;   in Loop: Header=BB110_4 Depth=1
	s_andn2_saveexec_b64 s[26:27], s[26:27]
	s_cbranch_execz .LBB110_3
; %bb.19:                               ;   in Loop: Header=BB110_4 Depth=1
	v_lshl_add_u64 v[14:15], v[14:15], 3, s[18:19]
	global_load_dwordx2 v[20:21], v[14:15], off
	v_pk_mul_f32 v[12:13], v[12:13], v[0:1] op_sel_hi:[0,1]
	v_pk_fma_f32 v[10:11], v[2:3], v[10:11], v[12:13] op_sel_hi:[1,0,1]
	s_waitcnt vmcnt(0)
	v_pk_fma_f32 v[10:11], v[4:5], v[20:21], v[10:11] op_sel_hi:[1,0,1]
	s_nop 0
	v_pk_fma_f32 v[10:11], v[8:9], v[20:21], v[10:11] op_sel:[0,1,0]
	global_store_dwordx2 v[14:15], v[10:11], off
	s_branch .LBB110_3
.LBB110_20:
	s_endpgm
	.section	.rodata,"a",@progbits
	.p2align	6, 0x0
	.amdhsa_kernel _ZN9rocsparseL23gebsrmvn_general_kernelILj128ELj32E21rocsparse_complex_numIfEEEvi20rocsparse_direction_NS_24const_host_device_scalarIT1_EEPKiS8_PKS5_iiSA_S6_PS5_21rocsparse_index_base_b
		.amdhsa_group_segment_fixed_size 0
		.amdhsa_private_segment_fixed_size 0
		.amdhsa_kernarg_size 80
		.amdhsa_user_sgpr_count 2
		.amdhsa_user_sgpr_dispatch_ptr 0
		.amdhsa_user_sgpr_queue_ptr 0
		.amdhsa_user_sgpr_kernarg_segment_ptr 1
		.amdhsa_user_sgpr_dispatch_id 0
		.amdhsa_user_sgpr_kernarg_preload_length 0
		.amdhsa_user_sgpr_kernarg_preload_offset 0
		.amdhsa_user_sgpr_private_segment_size 0
		.amdhsa_uses_dynamic_stack 0
		.amdhsa_enable_private_segment 0
		.amdhsa_system_sgpr_workgroup_id_x 1
		.amdhsa_system_sgpr_workgroup_id_y 0
		.amdhsa_system_sgpr_workgroup_id_z 0
		.amdhsa_system_sgpr_workgroup_info 0
		.amdhsa_system_vgpr_workitem_id 0
		.amdhsa_next_free_vgpr 24
		.amdhsa_next_free_sgpr 38
		.amdhsa_accum_offset 24
		.amdhsa_reserve_vcc 1
		.amdhsa_float_round_mode_32 0
		.amdhsa_float_round_mode_16_64 0
		.amdhsa_float_denorm_mode_32 3
		.amdhsa_float_denorm_mode_16_64 3
		.amdhsa_dx10_clamp 1
		.amdhsa_ieee_mode 1
		.amdhsa_fp16_overflow 0
		.amdhsa_tg_split 0
		.amdhsa_exception_fp_ieee_invalid_op 0
		.amdhsa_exception_fp_denorm_src 0
		.amdhsa_exception_fp_ieee_div_zero 0
		.amdhsa_exception_fp_ieee_overflow 0
		.amdhsa_exception_fp_ieee_underflow 0
		.amdhsa_exception_fp_ieee_inexact 0
		.amdhsa_exception_int_div_zero 0
	.end_amdhsa_kernel
	.section	.text._ZN9rocsparseL23gebsrmvn_general_kernelILj128ELj32E21rocsparse_complex_numIfEEEvi20rocsparse_direction_NS_24const_host_device_scalarIT1_EEPKiS8_PKS5_iiSA_S6_PS5_21rocsparse_index_base_b,"axG",@progbits,_ZN9rocsparseL23gebsrmvn_general_kernelILj128ELj32E21rocsparse_complex_numIfEEEvi20rocsparse_direction_NS_24const_host_device_scalarIT1_EEPKiS8_PKS5_iiSA_S6_PS5_21rocsparse_index_base_b,comdat
.Lfunc_end110:
	.size	_ZN9rocsparseL23gebsrmvn_general_kernelILj128ELj32E21rocsparse_complex_numIfEEEvi20rocsparse_direction_NS_24const_host_device_scalarIT1_EEPKiS8_PKS5_iiSA_S6_PS5_21rocsparse_index_base_b, .Lfunc_end110-_ZN9rocsparseL23gebsrmvn_general_kernelILj128ELj32E21rocsparse_complex_numIfEEEvi20rocsparse_direction_NS_24const_host_device_scalarIT1_EEPKiS8_PKS5_iiSA_S6_PS5_21rocsparse_index_base_b
                                        ; -- End function
	.set _ZN9rocsparseL23gebsrmvn_general_kernelILj128ELj32E21rocsparse_complex_numIfEEEvi20rocsparse_direction_NS_24const_host_device_scalarIT1_EEPKiS8_PKS5_iiSA_S6_PS5_21rocsparse_index_base_b.num_vgpr, 24
	.set _ZN9rocsparseL23gebsrmvn_general_kernelILj128ELj32E21rocsparse_complex_numIfEEEvi20rocsparse_direction_NS_24const_host_device_scalarIT1_EEPKiS8_PKS5_iiSA_S6_PS5_21rocsparse_index_base_b.num_agpr, 0
	.set _ZN9rocsparseL23gebsrmvn_general_kernelILj128ELj32E21rocsparse_complex_numIfEEEvi20rocsparse_direction_NS_24const_host_device_scalarIT1_EEPKiS8_PKS5_iiSA_S6_PS5_21rocsparse_index_base_b.numbered_sgpr, 38
	.set _ZN9rocsparseL23gebsrmvn_general_kernelILj128ELj32E21rocsparse_complex_numIfEEEvi20rocsparse_direction_NS_24const_host_device_scalarIT1_EEPKiS8_PKS5_iiSA_S6_PS5_21rocsparse_index_base_b.num_named_barrier, 0
	.set _ZN9rocsparseL23gebsrmvn_general_kernelILj128ELj32E21rocsparse_complex_numIfEEEvi20rocsparse_direction_NS_24const_host_device_scalarIT1_EEPKiS8_PKS5_iiSA_S6_PS5_21rocsparse_index_base_b.private_seg_size, 0
	.set _ZN9rocsparseL23gebsrmvn_general_kernelILj128ELj32E21rocsparse_complex_numIfEEEvi20rocsparse_direction_NS_24const_host_device_scalarIT1_EEPKiS8_PKS5_iiSA_S6_PS5_21rocsparse_index_base_b.uses_vcc, 1
	.set _ZN9rocsparseL23gebsrmvn_general_kernelILj128ELj32E21rocsparse_complex_numIfEEEvi20rocsparse_direction_NS_24const_host_device_scalarIT1_EEPKiS8_PKS5_iiSA_S6_PS5_21rocsparse_index_base_b.uses_flat_scratch, 0
	.set _ZN9rocsparseL23gebsrmvn_general_kernelILj128ELj32E21rocsparse_complex_numIfEEEvi20rocsparse_direction_NS_24const_host_device_scalarIT1_EEPKiS8_PKS5_iiSA_S6_PS5_21rocsparse_index_base_b.has_dyn_sized_stack, 0
	.set _ZN9rocsparseL23gebsrmvn_general_kernelILj128ELj32E21rocsparse_complex_numIfEEEvi20rocsparse_direction_NS_24const_host_device_scalarIT1_EEPKiS8_PKS5_iiSA_S6_PS5_21rocsparse_index_base_b.has_recursion, 0
	.set _ZN9rocsparseL23gebsrmvn_general_kernelILj128ELj32E21rocsparse_complex_numIfEEEvi20rocsparse_direction_NS_24const_host_device_scalarIT1_EEPKiS8_PKS5_iiSA_S6_PS5_21rocsparse_index_base_b.has_indirect_call, 0
	.section	.AMDGPU.csdata,"",@progbits
; Kernel info:
; codeLenInByte = 964
; TotalNumSgprs: 44
; NumVgprs: 24
; NumAgprs: 0
; TotalNumVgprs: 24
; ScratchSize: 0
; MemoryBound: 0
; FloatMode: 240
; IeeeMode: 1
; LDSByteSize: 0 bytes/workgroup (compile time only)
; SGPRBlocks: 5
; VGPRBlocks: 2
; NumSGPRsForWavesPerEU: 44
; NumVGPRsForWavesPerEU: 24
; AccumOffset: 24
; Occupancy: 8
; WaveLimiterHint : 1
; COMPUTE_PGM_RSRC2:SCRATCH_EN: 0
; COMPUTE_PGM_RSRC2:USER_SGPR: 2
; COMPUTE_PGM_RSRC2:TRAP_HANDLER: 0
; COMPUTE_PGM_RSRC2:TGID_X_EN: 1
; COMPUTE_PGM_RSRC2:TGID_Y_EN: 0
; COMPUTE_PGM_RSRC2:TGID_Z_EN: 0
; COMPUTE_PGM_RSRC2:TIDIG_COMP_CNT: 0
; COMPUTE_PGM_RSRC3_GFX90A:ACCUM_OFFSET: 5
; COMPUTE_PGM_RSRC3_GFX90A:TG_SPLIT: 0
	.section	.text._ZN9rocsparseL19gebsrmvn_4xn_kernelILj128ELj1ELj4E21rocsparse_complex_numIdEEEvi20rocsparse_direction_NS_24const_host_device_scalarIT2_EEPKiS8_PKS5_SA_S6_PS5_21rocsparse_index_base_b,"axG",@progbits,_ZN9rocsparseL19gebsrmvn_4xn_kernelILj128ELj1ELj4E21rocsparse_complex_numIdEEEvi20rocsparse_direction_NS_24const_host_device_scalarIT2_EEPKiS8_PKS5_SA_S6_PS5_21rocsparse_index_base_b,comdat
	.globl	_ZN9rocsparseL19gebsrmvn_4xn_kernelILj128ELj1ELj4E21rocsparse_complex_numIdEEEvi20rocsparse_direction_NS_24const_host_device_scalarIT2_EEPKiS8_PKS5_SA_S6_PS5_21rocsparse_index_base_b ; -- Begin function _ZN9rocsparseL19gebsrmvn_4xn_kernelILj128ELj1ELj4E21rocsparse_complex_numIdEEEvi20rocsparse_direction_NS_24const_host_device_scalarIT2_EEPKiS8_PKS5_SA_S6_PS5_21rocsparse_index_base_b
	.p2align	8
	.type	_ZN9rocsparseL19gebsrmvn_4xn_kernelILj128ELj1ELj4E21rocsparse_complex_numIdEEEvi20rocsparse_direction_NS_24const_host_device_scalarIT2_EEPKiS8_PKS5_SA_S6_PS5_21rocsparse_index_base_b,@function
_ZN9rocsparseL19gebsrmvn_4xn_kernelILj128ELj1ELj4E21rocsparse_complex_numIdEEEvi20rocsparse_direction_NS_24const_host_device_scalarIT2_EEPKiS8_PKS5_SA_S6_PS5_21rocsparse_index_base_b: ; @_ZN9rocsparseL19gebsrmvn_4xn_kernelILj128ELj1ELj4E21rocsparse_complex_numIdEEEvi20rocsparse_direction_NS_24const_host_device_scalarIT2_EEPKiS8_PKS5_SA_S6_PS5_21rocsparse_index_base_b
; %bb.0:
	s_load_dwordx2 s[4:5], s[0:1], 0x8
	s_load_dwordx2 s[6:7], s[0:1], 0x38
	;; [unrolled: 1-line block ×3, first 2 shown]
	s_add_u32 s3, s0, 8
	s_addc_u32 s8, s1, 0
	s_add_u32 s9, s0, 56
	s_addc_u32 s10, s1, 0
	s_waitcnt lgkmcnt(0)
	s_bitcmp1_b32 s13, 0
	s_cselect_b32 s5, s8, s5
	s_cselect_b32 s3, s3, s4
	v_mov_b32_e32 v2, s3
	v_mov_b32_e32 v3, s5
	flat_load_dwordx4 v[2:5], v[2:3]
	s_cselect_b32 s3, s10, s7
	s_cselect_b32 s4, s9, s6
	v_mov_b32_e32 v6, s4
	v_mov_b32_e32 v7, s3
	flat_load_dwordx4 v[6:9], v[6:7]
	s_waitcnt vmcnt(0) lgkmcnt(0)
	v_cmp_eq_f64_e32 vcc, 0, v[2:3]
	v_cmp_eq_f64_e64 s[4:5], 0, v[4:5]
	s_and_b64 s[8:9], vcc, s[4:5]
	s_mov_b64 s[4:5], -1
	s_and_saveexec_b64 s[6:7], s[8:9]
; %bb.1:
	v_cmp_neq_f64_e32 vcc, 1.0, v[6:7]
	v_cmp_neq_f64_e64 s[4:5], 0, v[8:9]
	s_or_b64 s[4:5], vcc, s[4:5]
	s_orn2_b64 s[4:5], s[4:5], exec
; %bb.2:
	s_or_b64 exec, exec, s[6:7]
	s_and_saveexec_b64 s[6:7], s[4:5]
	s_cbranch_execz .LBB111_21
; %bb.3:
	s_load_dwordx2 s[14:15], s[0:1], 0x0
	v_lshrrev_b32_e32 v1, 2, v0
	v_lshl_or_b32 v10, s2, 5, v1
	s_waitcnt lgkmcnt(0)
	v_cmp_gt_i32_e32 vcc, s14, v10
	s_and_b64 exec, exec, vcc
	s_cbranch_execz .LBB111_21
; %bb.4:
	s_load_dwordx8 s[4:11], s[0:1], 0x18
	v_ashrrev_i32_e32 v11, 31, v10
	s_cmp_lg_u32 s15, 0
	s_waitcnt lgkmcnt(0)
	v_lshl_add_u64 v[12:13], v[10:11], 2, s[4:5]
	global_load_dwordx2 v[12:13], v[12:13], off
	v_and_b32_e32 v11, 3, v0
	s_waitcnt vmcnt(0)
	v_subrev_u32_e32 v0, s12, v12
	v_subrev_u32_e32 v32, s12, v13
	v_add_u32_e32 v26, v0, v11
	v_cmp_lt_i32_e64 s[2:3], v26, v32
	s_cbranch_scc0 .LBB111_10
; %bb.5:
	v_mov_b64_e32 v[14:15], 0
	v_mov_b64_e32 v[20:21], 0
	v_mov_b64_e32 v[12:13], 0
	v_mov_b64_e32 v[0:1], 0
	v_mov_b64_e32 v[18:19], 0
	v_mov_b64_e32 v[16:17], 0
	v_mov_b64_e32 v[24:25], 0
	v_mov_b64_e32 v[22:23], 0
	s_and_saveexec_b64 s[4:5], s[2:3]
	s_cbranch_execz .LBB111_9
; %bb.6:
	v_lshlrev_b32_e32 v28, 2, v26
	v_mov_b64_e32 v[14:15], 0
	s_mov_b64 s[14:15], 0
	v_mov_b32_e32 v29, 0
	v_mov_b32_e32 v30, v26
	v_mov_b64_e32 v[20:21], 0
	v_mov_b64_e32 v[12:13], 0
	v_mov_b64_e32 v[0:1], 0
	v_mov_b64_e32 v[18:19], 0
	v_mov_b64_e32 v[16:17], 0
	v_mov_b64_e32 v[24:25], 0
	v_mov_b64_e32 v[22:23], 0
.LBB111_7:                              ; =>This Inner Loop Header: Depth=1
	v_ashrrev_i32_e32 v31, 31, v30
	v_lshl_add_u64 v[34:35], v[30:31], 2, s[6:7]
	global_load_dword v27, v[34:35], off
	v_lshl_add_u64 v[50:51], v[28:29], 4, s[8:9]
	v_mov_b32_e32 v53, v29
	global_load_dwordx4 v[34:37], v[50:51], off offset:48
	global_load_dwordx4 v[38:41], v[50:51], off offset:32
	;; [unrolled: 1-line block ×3, first 2 shown]
	global_load_dwordx4 v[46:49], v[50:51], off
	v_add_u32_e32 v30, 4, v30
	v_cmp_ge_i32_e32 vcc, v30, v32
	v_add_u32_e32 v28, 16, v28
	s_or_b64 s[14:15], vcc, s[14:15]
	s_waitcnt vmcnt(4)
	v_subrev_u32_e32 v52, s12, v27
	v_lshl_add_u64 v[50:51], v[52:53], 4, s[10:11]
	global_load_dwordx4 v[50:53], v[50:51], off
	s_waitcnt vmcnt(0)
	v_fmac_f64_e32 v[20:21], v[46:47], v[50:51]
	v_fmac_f64_e32 v[14:15], v[48:49], v[50:51]
	;; [unrolled: 1-line block ×8, first 2 shown]
	v_fma_f64 v[20:21], -v[48:49], v[52:53], v[20:21]
	v_fmac_f64_e32 v[14:15], v[46:47], v[52:53]
	v_fma_f64 v[24:25], -v[44:45], v[52:53], v[24:25]
	v_fmac_f64_e32 v[22:23], v[42:43], v[52:53]
	v_fma_f64 v[18:19], -v[40:41], v[52:53], v[18:19]
	v_fmac_f64_e32 v[16:17], v[38:39], v[52:53]
	v_fma_f64 v[12:13], -v[36:37], v[52:53], v[12:13]
	v_fmac_f64_e32 v[0:1], v[34:35], v[52:53]
	s_andn2_b64 exec, exec, s[14:15]
	s_cbranch_execnz .LBB111_7
; %bb.8:
	s_or_b64 exec, exec, s[14:15]
.LBB111_9:
	s_or_b64 exec, exec, s[4:5]
	s_cbranch_execz .LBB111_11
	s_branch .LBB111_16
.LBB111_10:
                                        ; implicit-def: $vgpr14_vgpr15
                                        ; implicit-def: $vgpr20_vgpr21
                                        ; implicit-def: $vgpr12_vgpr13
                                        ; implicit-def: $vgpr0_vgpr1
                                        ; implicit-def: $vgpr18_vgpr19
                                        ; implicit-def: $vgpr16_vgpr17
                                        ; implicit-def: $vgpr24_vgpr25
                                        ; implicit-def: $vgpr22_vgpr23
.LBB111_11:
	v_mov_b64_e32 v[14:15], 0
	v_mov_b64_e32 v[20:21], 0
	;; [unrolled: 1-line block ×8, first 2 shown]
	s_and_saveexec_b64 s[4:5], s[2:3]
	s_cbranch_execz .LBB111_15
; %bb.12:
	v_lshlrev_b32_e32 v28, 2, v26
	v_mov_b64_e32 v[14:15], 0
	s_mov_b64 s[2:3], 0
	v_mov_b32_e32 v29, 0
	v_mov_b64_e32 v[20:21], 0
	v_mov_b64_e32 v[12:13], 0
	;; [unrolled: 1-line block ×7, first 2 shown]
.LBB111_13:                             ; =>This Inner Loop Header: Depth=1
	v_ashrrev_i32_e32 v27, 31, v26
	v_lshl_add_u64 v[30:31], v[26:27], 2, s[6:7]
	global_load_dword v27, v[30:31], off
	v_lshl_add_u64 v[30:31], v[28:29], 4, s[8:9]
	v_mov_b32_e32 v51, v29
	global_load_dwordx4 v[34:37], v[30:31], off offset:48
	global_load_dwordx4 v[38:41], v[30:31], off offset:32
	;; [unrolled: 1-line block ×3, first 2 shown]
	global_load_dwordx4 v[46:49], v[30:31], off
	v_add_u32_e32 v26, 4, v26
	v_cmp_ge_i32_e32 vcc, v26, v32
	v_add_u32_e32 v28, 16, v28
	s_or_b64 s[2:3], vcc, s[2:3]
	s_waitcnt vmcnt(4)
	v_subrev_u32_e32 v50, s12, v27
	v_lshl_add_u64 v[30:31], v[50:51], 4, s[10:11]
	global_load_dwordx4 v[50:53], v[30:31], off
	s_waitcnt vmcnt(0)
	v_fmac_f64_e32 v[20:21], v[46:47], v[50:51]
	v_fmac_f64_e32 v[14:15], v[48:49], v[50:51]
	;; [unrolled: 1-line block ×8, first 2 shown]
	v_fma_f64 v[20:21], -v[48:49], v[52:53], v[20:21]
	v_fmac_f64_e32 v[14:15], v[46:47], v[52:53]
	v_fma_f64 v[24:25], -v[44:45], v[52:53], v[24:25]
	v_fmac_f64_e32 v[22:23], v[42:43], v[52:53]
	;; [unrolled: 2-line block ×4, first 2 shown]
	s_andn2_b64 exec, exec, s[2:3]
	s_cbranch_execnz .LBB111_13
; %bb.14:
	s_or_b64 exec, exec, s[2:3]
.LBB111_15:
	s_or_b64 exec, exec, s[4:5]
.LBB111_16:
	v_mov_b32_dpp v30, v24 row_shr:1 row_mask:0xf bank_mask:0xf
	v_mov_b32_dpp v31, v25 row_shr:1 row_mask:0xf bank_mask:0xf
	v_add_f64 v[30:31], v[24:25], v[30:31]
	v_mov_b32_dpp v24, v22 row_shr:1 row_mask:0xf bank_mask:0xf
	v_mov_b32_dpp v25, v23 row_shr:1 row_mask:0xf bank_mask:0xf
	v_add_f64 v[22:23], v[22:23], v[24:25]
	;; [unrolled: 3-line block ×4, first 2 shown]
	v_mov_b32_dpp v18, v12 row_shr:1 row_mask:0xf bank_mask:0xf
	v_mov_b32_dpp v19, v13 row_shr:1 row_mask:0xf bank_mask:0xf
	v_mov_b32_dpp v26, v20 row_shr:1 row_mask:0xf bank_mask:0xf
	v_mov_b32_dpp v27, v21 row_shr:1 row_mask:0xf bank_mask:0xf
	v_mov_b32_dpp v28, v14 row_shr:1 row_mask:0xf bank_mask:0xf
	v_mov_b32_dpp v29, v15 row_shr:1 row_mask:0xf bank_mask:0xf
	v_add_f64 v[42:43], v[12:13], v[18:19]
	v_mov_b32_dpp v12, v0 row_shr:1 row_mask:0xf bank_mask:0xf
	v_mov_b32_dpp v13, v1 row_shr:1 row_mask:0xf bank_mask:0xf
	v_add_f64 v[20:21], v[20:21], v[26:27]
	v_add_f64 v[14:15], v[14:15], v[28:29]
	;; [unrolled: 1-line block ×3, first 2 shown]
	v_mov_b32_dpp v26, v20 row_shr:2 row_mask:0xf bank_mask:0xf
	v_mov_b32_dpp v27, v21 row_shr:2 row_mask:0xf bank_mask:0xf
	;; [unrolled: 1-line block ×16, first 2 shown]
	v_cmp_eq_u32_e32 vcc, 3, v11
	s_and_b64 exec, exec, vcc
	s_cbranch_execz .LBB111_21
; %bb.17:
	s_load_dwordx2 s[2:3], s[0:1], 0x48
	v_cmp_eq_f64_e32 vcc, 0, v[6:7]
	v_cmp_eq_f64_e64 s[0:1], 0, v[8:9]
	v_add_f64 v[18:19], v[20:21], v[26:27]
	v_add_f64 v[24:25], v[14:15], v[28:29]
	v_add_f64 v[14:15], v[30:31], v[32:33]
	v_add_f64 v[22:23], v[22:23], v[34:35]
	v_add_f64 v[12:13], v[36:37], v[38:39]
	v_add_f64 v[20:21], v[16:17], v[40:41]
	v_add_f64 v[0:1], v[42:43], v[44:45]
	v_add_f64 v[16:17], v[46:47], v[48:49]
	s_and_b64 s[0:1], vcc, s[0:1]
	s_and_saveexec_b64 s[4:5], s[0:1]
	s_xor_b64 s[0:1], exec, s[4:5]
	s_cbranch_execz .LBB111_19
; %bb.18:
	v_lshlrev_b32_e32 v10, 2, v10
	v_mul_f64 v[6:7], v[24:25], -v[4:5]
	v_mul_f64 v[8:9], v[2:3], v[24:25]
	v_ashrrev_i32_e32 v11, 31, v10
	v_fmac_f64_e32 v[6:7], v[2:3], v[18:19]
	v_fmac_f64_e32 v[8:9], v[4:5], v[18:19]
	s_waitcnt lgkmcnt(0)
	v_lshl_add_u64 v[10:11], v[10:11], 4, s[2:3]
	global_store_dwordx4 v[10:11], v[6:9], off
                                        ; implicit-def: $vgpr18_vgpr19
                                        ; implicit-def: $vgpr24_vgpr25
	s_nop 1
	v_mul_f64 v[6:7], v[22:23], -v[4:5]
	v_mul_f64 v[8:9], v[2:3], v[22:23]
	v_fmac_f64_e32 v[6:7], v[2:3], v[14:15]
	v_fmac_f64_e32 v[8:9], v[4:5], v[14:15]
	global_store_dwordx4 v[10:11], v[6:9], off offset:16
                                        ; implicit-def: $vgpr14_vgpr15
                                        ; implicit-def: $vgpr22_vgpr23
	s_nop 1
	v_mul_f64 v[6:7], v[20:21], -v[4:5]
	v_mul_f64 v[8:9], v[2:3], v[20:21]
	v_fmac_f64_e32 v[6:7], v[2:3], v[12:13]
	v_fmac_f64_e32 v[8:9], v[4:5], v[12:13]
	global_store_dwordx4 v[10:11], v[6:9], off offset:32
                                        ; implicit-def: $vgpr12_vgpr13
                                        ; implicit-def: $vgpr20_vgpr21
	s_nop 1
	v_mul_f64 v[6:7], v[16:17], -v[4:5]
	v_mul_f64 v[8:9], v[2:3], v[16:17]
	v_fmac_f64_e32 v[6:7], v[2:3], v[0:1]
	v_fmac_f64_e32 v[8:9], v[4:5], v[0:1]
	global_store_dwordx4 v[10:11], v[6:9], off offset:48
                                        ; implicit-def: $vgpr10
                                        ; implicit-def: $vgpr0_vgpr1
                                        ; implicit-def: $vgpr16_vgpr17
                                        ; implicit-def: $vgpr8_vgpr9
                                        ; implicit-def: $vgpr4_vgpr5
.LBB111_19:
	s_andn2_saveexec_b64 s[0:1], s[0:1]
	s_cbranch_execz .LBB111_21
; %bb.20:
	v_lshlrev_b32_e32 v10, 2, v10
	v_ashrrev_i32_e32 v11, 31, v10
	s_waitcnt lgkmcnt(0)
	v_lshl_add_u64 v[46:47], v[10:11], 4, s[2:3]
	global_load_dwordx4 v[26:29], v[46:47], off
	global_load_dwordx4 v[30:33], v[46:47], off offset:16
	global_load_dwordx4 v[34:37], v[46:47], off offset:32
	;; [unrolled: 1-line block ×3, first 2 shown]
	v_mul_f64 v[42:43], v[24:25], -v[4:5]
	v_mul_f64 v[24:25], v[2:3], v[24:25]
	v_mul_f64 v[48:49], v[22:23], -v[4:5]
	v_mul_f64 v[44:45], v[2:3], v[22:23]
	v_mul_f64 v[50:51], v[20:21], -v[4:5]
	v_mul_f64 v[20:21], v[2:3], v[20:21]
	v_mul_f64 v[52:53], v[16:17], -v[4:5]
	v_mul_f64 v[10:11], v[2:3], v[16:17]
	v_fmac_f64_e32 v[42:43], v[2:3], v[18:19]
	v_fmac_f64_e32 v[24:25], v[4:5], v[18:19]
	;; [unrolled: 1-line block ×8, first 2 shown]
	s_waitcnt vmcnt(3)
	v_fmac_f64_e32 v[42:43], v[6:7], v[26:27]
	v_fmac_f64_e32 v[24:25], v[8:9], v[26:27]
	s_waitcnt vmcnt(2)
	v_fmac_f64_e32 v[48:49], v[6:7], v[30:31]
	v_fmac_f64_e32 v[44:45], v[8:9], v[30:31]
	;; [unrolled: 3-line block ×4, first 2 shown]
	v_fma_f64 v[22:23], -v[8:9], v[28:29], v[42:43]
	v_fmac_f64_e32 v[24:25], v[6:7], v[28:29]
	v_fma_f64 v[42:43], -v[8:9], v[32:33], v[48:49]
	v_fmac_f64_e32 v[44:45], v[6:7], v[32:33]
	;; [unrolled: 2-line block ×4, first 2 shown]
	global_store_dwordx4 v[46:47], v[22:25], off
	global_store_dwordx4 v[46:47], v[42:45], off offset:16
	global_store_dwordx4 v[46:47], v[18:21], off offset:32
	;; [unrolled: 1-line block ×3, first 2 shown]
.LBB111_21:
	s_endpgm
	.section	.rodata,"a",@progbits
	.p2align	6, 0x0
	.amdhsa_kernel _ZN9rocsparseL19gebsrmvn_4xn_kernelILj128ELj1ELj4E21rocsparse_complex_numIdEEEvi20rocsparse_direction_NS_24const_host_device_scalarIT2_EEPKiS8_PKS5_SA_S6_PS5_21rocsparse_index_base_b
		.amdhsa_group_segment_fixed_size 0
		.amdhsa_private_segment_fixed_size 0
		.amdhsa_kernarg_size 88
		.amdhsa_user_sgpr_count 2
		.amdhsa_user_sgpr_dispatch_ptr 0
		.amdhsa_user_sgpr_queue_ptr 0
		.amdhsa_user_sgpr_kernarg_segment_ptr 1
		.amdhsa_user_sgpr_dispatch_id 0
		.amdhsa_user_sgpr_kernarg_preload_length 0
		.amdhsa_user_sgpr_kernarg_preload_offset 0
		.amdhsa_user_sgpr_private_segment_size 0
		.amdhsa_uses_dynamic_stack 0
		.amdhsa_enable_private_segment 0
		.amdhsa_system_sgpr_workgroup_id_x 1
		.amdhsa_system_sgpr_workgroup_id_y 0
		.amdhsa_system_sgpr_workgroup_id_z 0
		.amdhsa_system_sgpr_workgroup_info 0
		.amdhsa_system_vgpr_workitem_id 0
		.amdhsa_next_free_vgpr 54
		.amdhsa_next_free_sgpr 16
		.amdhsa_accum_offset 56
		.amdhsa_reserve_vcc 1
		.amdhsa_float_round_mode_32 0
		.amdhsa_float_round_mode_16_64 0
		.amdhsa_float_denorm_mode_32 3
		.amdhsa_float_denorm_mode_16_64 3
		.amdhsa_dx10_clamp 1
		.amdhsa_ieee_mode 1
		.amdhsa_fp16_overflow 0
		.amdhsa_tg_split 0
		.amdhsa_exception_fp_ieee_invalid_op 0
		.amdhsa_exception_fp_denorm_src 0
		.amdhsa_exception_fp_ieee_div_zero 0
		.amdhsa_exception_fp_ieee_overflow 0
		.amdhsa_exception_fp_ieee_underflow 0
		.amdhsa_exception_fp_ieee_inexact 0
		.amdhsa_exception_int_div_zero 0
	.end_amdhsa_kernel
	.section	.text._ZN9rocsparseL19gebsrmvn_4xn_kernelILj128ELj1ELj4E21rocsparse_complex_numIdEEEvi20rocsparse_direction_NS_24const_host_device_scalarIT2_EEPKiS8_PKS5_SA_S6_PS5_21rocsparse_index_base_b,"axG",@progbits,_ZN9rocsparseL19gebsrmvn_4xn_kernelILj128ELj1ELj4E21rocsparse_complex_numIdEEEvi20rocsparse_direction_NS_24const_host_device_scalarIT2_EEPKiS8_PKS5_SA_S6_PS5_21rocsparse_index_base_b,comdat
.Lfunc_end111:
	.size	_ZN9rocsparseL19gebsrmvn_4xn_kernelILj128ELj1ELj4E21rocsparse_complex_numIdEEEvi20rocsparse_direction_NS_24const_host_device_scalarIT2_EEPKiS8_PKS5_SA_S6_PS5_21rocsparse_index_base_b, .Lfunc_end111-_ZN9rocsparseL19gebsrmvn_4xn_kernelILj128ELj1ELj4E21rocsparse_complex_numIdEEEvi20rocsparse_direction_NS_24const_host_device_scalarIT2_EEPKiS8_PKS5_SA_S6_PS5_21rocsparse_index_base_b
                                        ; -- End function
	.set _ZN9rocsparseL19gebsrmvn_4xn_kernelILj128ELj1ELj4E21rocsparse_complex_numIdEEEvi20rocsparse_direction_NS_24const_host_device_scalarIT2_EEPKiS8_PKS5_SA_S6_PS5_21rocsparse_index_base_b.num_vgpr, 54
	.set _ZN9rocsparseL19gebsrmvn_4xn_kernelILj128ELj1ELj4E21rocsparse_complex_numIdEEEvi20rocsparse_direction_NS_24const_host_device_scalarIT2_EEPKiS8_PKS5_SA_S6_PS5_21rocsparse_index_base_b.num_agpr, 0
	.set _ZN9rocsparseL19gebsrmvn_4xn_kernelILj128ELj1ELj4E21rocsparse_complex_numIdEEEvi20rocsparse_direction_NS_24const_host_device_scalarIT2_EEPKiS8_PKS5_SA_S6_PS5_21rocsparse_index_base_b.numbered_sgpr, 16
	.set _ZN9rocsparseL19gebsrmvn_4xn_kernelILj128ELj1ELj4E21rocsparse_complex_numIdEEEvi20rocsparse_direction_NS_24const_host_device_scalarIT2_EEPKiS8_PKS5_SA_S6_PS5_21rocsparse_index_base_b.num_named_barrier, 0
	.set _ZN9rocsparseL19gebsrmvn_4xn_kernelILj128ELj1ELj4E21rocsparse_complex_numIdEEEvi20rocsparse_direction_NS_24const_host_device_scalarIT2_EEPKiS8_PKS5_SA_S6_PS5_21rocsparse_index_base_b.private_seg_size, 0
	.set _ZN9rocsparseL19gebsrmvn_4xn_kernelILj128ELj1ELj4E21rocsparse_complex_numIdEEEvi20rocsparse_direction_NS_24const_host_device_scalarIT2_EEPKiS8_PKS5_SA_S6_PS5_21rocsparse_index_base_b.uses_vcc, 1
	.set _ZN9rocsparseL19gebsrmvn_4xn_kernelILj128ELj1ELj4E21rocsparse_complex_numIdEEEvi20rocsparse_direction_NS_24const_host_device_scalarIT2_EEPKiS8_PKS5_SA_S6_PS5_21rocsparse_index_base_b.uses_flat_scratch, 0
	.set _ZN9rocsparseL19gebsrmvn_4xn_kernelILj128ELj1ELj4E21rocsparse_complex_numIdEEEvi20rocsparse_direction_NS_24const_host_device_scalarIT2_EEPKiS8_PKS5_SA_S6_PS5_21rocsparse_index_base_b.has_dyn_sized_stack, 0
	.set _ZN9rocsparseL19gebsrmvn_4xn_kernelILj128ELj1ELj4E21rocsparse_complex_numIdEEEvi20rocsparse_direction_NS_24const_host_device_scalarIT2_EEPKiS8_PKS5_SA_S6_PS5_21rocsparse_index_base_b.has_recursion, 0
	.set _ZN9rocsparseL19gebsrmvn_4xn_kernelILj128ELj1ELj4E21rocsparse_complex_numIdEEEvi20rocsparse_direction_NS_24const_host_device_scalarIT2_EEPKiS8_PKS5_SA_S6_PS5_21rocsparse_index_base_b.has_indirect_call, 0
	.section	.AMDGPU.csdata,"",@progbits
; Kernel info:
; codeLenInByte = 1728
; TotalNumSgprs: 22
; NumVgprs: 54
; NumAgprs: 0
; TotalNumVgprs: 54
; ScratchSize: 0
; MemoryBound: 0
; FloatMode: 240
; IeeeMode: 1
; LDSByteSize: 0 bytes/workgroup (compile time only)
; SGPRBlocks: 2
; VGPRBlocks: 6
; NumSGPRsForWavesPerEU: 22
; NumVGPRsForWavesPerEU: 54
; AccumOffset: 56
; Occupancy: 8
; WaveLimiterHint : 1
; COMPUTE_PGM_RSRC2:SCRATCH_EN: 0
; COMPUTE_PGM_RSRC2:USER_SGPR: 2
; COMPUTE_PGM_RSRC2:TRAP_HANDLER: 0
; COMPUTE_PGM_RSRC2:TGID_X_EN: 1
; COMPUTE_PGM_RSRC2:TGID_Y_EN: 0
; COMPUTE_PGM_RSRC2:TGID_Z_EN: 0
; COMPUTE_PGM_RSRC2:TIDIG_COMP_CNT: 0
; COMPUTE_PGM_RSRC3_GFX90A:ACCUM_OFFSET: 13
; COMPUTE_PGM_RSRC3_GFX90A:TG_SPLIT: 0
	.section	.text._ZN9rocsparseL19gebsrmvn_4xn_kernelILj128ELj1ELj8E21rocsparse_complex_numIdEEEvi20rocsparse_direction_NS_24const_host_device_scalarIT2_EEPKiS8_PKS5_SA_S6_PS5_21rocsparse_index_base_b,"axG",@progbits,_ZN9rocsparseL19gebsrmvn_4xn_kernelILj128ELj1ELj8E21rocsparse_complex_numIdEEEvi20rocsparse_direction_NS_24const_host_device_scalarIT2_EEPKiS8_PKS5_SA_S6_PS5_21rocsparse_index_base_b,comdat
	.globl	_ZN9rocsparseL19gebsrmvn_4xn_kernelILj128ELj1ELj8E21rocsparse_complex_numIdEEEvi20rocsparse_direction_NS_24const_host_device_scalarIT2_EEPKiS8_PKS5_SA_S6_PS5_21rocsparse_index_base_b ; -- Begin function _ZN9rocsparseL19gebsrmvn_4xn_kernelILj128ELj1ELj8E21rocsparse_complex_numIdEEEvi20rocsparse_direction_NS_24const_host_device_scalarIT2_EEPKiS8_PKS5_SA_S6_PS5_21rocsparse_index_base_b
	.p2align	8
	.type	_ZN9rocsparseL19gebsrmvn_4xn_kernelILj128ELj1ELj8E21rocsparse_complex_numIdEEEvi20rocsparse_direction_NS_24const_host_device_scalarIT2_EEPKiS8_PKS5_SA_S6_PS5_21rocsparse_index_base_b,@function
_ZN9rocsparseL19gebsrmvn_4xn_kernelILj128ELj1ELj8E21rocsparse_complex_numIdEEEvi20rocsparse_direction_NS_24const_host_device_scalarIT2_EEPKiS8_PKS5_SA_S6_PS5_21rocsparse_index_base_b: ; @_ZN9rocsparseL19gebsrmvn_4xn_kernelILj128ELj1ELj8E21rocsparse_complex_numIdEEEvi20rocsparse_direction_NS_24const_host_device_scalarIT2_EEPKiS8_PKS5_SA_S6_PS5_21rocsparse_index_base_b
; %bb.0:
	s_load_dwordx2 s[4:5], s[0:1], 0x8
	s_load_dwordx2 s[6:7], s[0:1], 0x38
	;; [unrolled: 1-line block ×3, first 2 shown]
	s_add_u32 s3, s0, 8
	s_addc_u32 s8, s1, 0
	s_add_u32 s9, s0, 56
	s_addc_u32 s10, s1, 0
	s_waitcnt lgkmcnt(0)
	s_bitcmp1_b32 s13, 0
	s_cselect_b32 s5, s8, s5
	s_cselect_b32 s3, s3, s4
	v_mov_b32_e32 v2, s3
	v_mov_b32_e32 v3, s5
	flat_load_dwordx4 v[2:5], v[2:3]
	s_cselect_b32 s3, s10, s7
	s_cselect_b32 s4, s9, s6
	v_mov_b32_e32 v6, s4
	v_mov_b32_e32 v7, s3
	flat_load_dwordx4 v[6:9], v[6:7]
	s_waitcnt vmcnt(0) lgkmcnt(0)
	v_cmp_eq_f64_e32 vcc, 0, v[2:3]
	v_cmp_eq_f64_e64 s[4:5], 0, v[4:5]
	s_and_b64 s[8:9], vcc, s[4:5]
	s_mov_b64 s[4:5], -1
	s_and_saveexec_b64 s[6:7], s[8:9]
; %bb.1:
	v_cmp_neq_f64_e32 vcc, 1.0, v[6:7]
	v_cmp_neq_f64_e64 s[4:5], 0, v[8:9]
	s_or_b64 s[4:5], vcc, s[4:5]
	s_orn2_b64 s[4:5], s[4:5], exec
; %bb.2:
	s_or_b64 exec, exec, s[6:7]
	s_and_saveexec_b64 s[6:7], s[4:5]
	s_cbranch_execz .LBB112_21
; %bb.3:
	s_load_dwordx2 s[14:15], s[0:1], 0x0
	v_lshrrev_b32_e32 v1, 3, v0
	v_lshl_or_b32 v10, s2, 4, v1
	s_waitcnt lgkmcnt(0)
	v_cmp_gt_i32_e32 vcc, s14, v10
	s_and_b64 exec, exec, vcc
	s_cbranch_execz .LBB112_21
; %bb.4:
	s_load_dwordx8 s[4:11], s[0:1], 0x18
	v_ashrrev_i32_e32 v11, 31, v10
	s_cmp_lg_u32 s15, 0
	s_waitcnt lgkmcnt(0)
	v_lshl_add_u64 v[12:13], v[10:11], 2, s[4:5]
	global_load_dwordx2 v[12:13], v[12:13], off
	v_and_b32_e32 v11, 7, v0
	s_waitcnt vmcnt(0)
	v_subrev_u32_e32 v0, s12, v12
	v_subrev_u32_e32 v32, s12, v13
	v_add_u32_e32 v26, v0, v11
	v_cmp_lt_i32_e64 s[2:3], v26, v32
	s_cbranch_scc0 .LBB112_10
; %bb.5:
	v_mov_b64_e32 v[18:19], 0
	v_mov_b64_e32 v[22:23], 0
	;; [unrolled: 1-line block ×8, first 2 shown]
	s_and_saveexec_b64 s[4:5], s[2:3]
	s_cbranch_execz .LBB112_9
; %bb.6:
	v_lshlrev_b32_e32 v28, 2, v26
	v_mov_b64_e32 v[18:19], 0
	s_mov_b64 s[14:15], 0
	v_mov_b32_e32 v29, 0
	v_mov_b32_e32 v30, v26
	v_mov_b64_e32 v[22:23], 0
	v_mov_b64_e32 v[12:13], 0
	;; [unrolled: 1-line block ×7, first 2 shown]
.LBB112_7:                              ; =>This Inner Loop Header: Depth=1
	v_ashrrev_i32_e32 v31, 31, v30
	v_lshl_add_u64 v[34:35], v[30:31], 2, s[6:7]
	global_load_dword v27, v[34:35], off
	v_lshl_add_u64 v[50:51], v[28:29], 4, s[8:9]
	v_mov_b32_e32 v53, v29
	global_load_dwordx4 v[34:37], v[50:51], off offset:48
	global_load_dwordx4 v[38:41], v[50:51], off offset:32
	;; [unrolled: 1-line block ×3, first 2 shown]
	global_load_dwordx4 v[46:49], v[50:51], off
	v_add_u32_e32 v30, 8, v30
	v_cmp_ge_i32_e32 vcc, v30, v32
	v_add_u32_e32 v28, 32, v28
	s_or_b64 s[14:15], vcc, s[14:15]
	s_waitcnt vmcnt(4)
	v_subrev_u32_e32 v52, s12, v27
	v_lshl_add_u64 v[50:51], v[52:53], 4, s[10:11]
	global_load_dwordx4 v[50:53], v[50:51], off
	s_waitcnt vmcnt(0)
	v_fmac_f64_e32 v[22:23], v[46:47], v[50:51]
	v_fmac_f64_e32 v[18:19], v[48:49], v[50:51]
	v_fmac_f64_e32 v[24:25], v[42:43], v[50:51]
	v_fmac_f64_e32 v[20:21], v[44:45], v[50:51]
	v_fmac_f64_e32 v[16:17], v[38:39], v[50:51]
	v_fmac_f64_e32 v[14:15], v[40:41], v[50:51]
	v_fmac_f64_e32 v[12:13], v[34:35], v[50:51]
	v_fmac_f64_e32 v[0:1], v[36:37], v[50:51]
	v_fma_f64 v[22:23], -v[48:49], v[52:53], v[22:23]
	v_fmac_f64_e32 v[18:19], v[46:47], v[52:53]
	v_fma_f64 v[24:25], -v[44:45], v[52:53], v[24:25]
	v_fmac_f64_e32 v[20:21], v[42:43], v[52:53]
	;; [unrolled: 2-line block ×4, first 2 shown]
	s_andn2_b64 exec, exec, s[14:15]
	s_cbranch_execnz .LBB112_7
; %bb.8:
	s_or_b64 exec, exec, s[14:15]
.LBB112_9:
	s_or_b64 exec, exec, s[4:5]
	s_cbranch_execz .LBB112_11
	s_branch .LBB112_16
.LBB112_10:
                                        ; implicit-def: $vgpr18_vgpr19
                                        ; implicit-def: $vgpr22_vgpr23
                                        ; implicit-def: $vgpr12_vgpr13
                                        ; implicit-def: $vgpr0_vgpr1
                                        ; implicit-def: $vgpr16_vgpr17
                                        ; implicit-def: $vgpr14_vgpr15
                                        ; implicit-def: $vgpr24_vgpr25
                                        ; implicit-def: $vgpr20_vgpr21
.LBB112_11:
	v_mov_b64_e32 v[18:19], 0
	v_mov_b64_e32 v[22:23], 0
	;; [unrolled: 1-line block ×8, first 2 shown]
	s_and_saveexec_b64 s[4:5], s[2:3]
	s_cbranch_execz .LBB112_15
; %bb.12:
	v_lshlrev_b32_e32 v28, 2, v26
	v_mov_b64_e32 v[18:19], 0
	s_mov_b64 s[2:3], 0
	v_mov_b32_e32 v29, 0
	v_mov_b64_e32 v[22:23], 0
	v_mov_b64_e32 v[12:13], 0
	;; [unrolled: 1-line block ×7, first 2 shown]
.LBB112_13:                             ; =>This Inner Loop Header: Depth=1
	v_ashrrev_i32_e32 v27, 31, v26
	v_lshl_add_u64 v[30:31], v[26:27], 2, s[6:7]
	global_load_dword v27, v[30:31], off
	v_lshl_add_u64 v[30:31], v[28:29], 4, s[8:9]
	v_mov_b32_e32 v51, v29
	global_load_dwordx4 v[34:37], v[30:31], off offset:48
	global_load_dwordx4 v[38:41], v[30:31], off offset:32
	;; [unrolled: 1-line block ×3, first 2 shown]
	global_load_dwordx4 v[46:49], v[30:31], off
	v_add_u32_e32 v26, 8, v26
	v_cmp_ge_i32_e32 vcc, v26, v32
	v_add_u32_e32 v28, 32, v28
	s_or_b64 s[2:3], vcc, s[2:3]
	s_waitcnt vmcnt(4)
	v_subrev_u32_e32 v50, s12, v27
	v_lshl_add_u64 v[30:31], v[50:51], 4, s[10:11]
	global_load_dwordx4 v[50:53], v[30:31], off
	s_waitcnt vmcnt(0)
	v_fmac_f64_e32 v[22:23], v[46:47], v[50:51]
	v_fmac_f64_e32 v[18:19], v[48:49], v[50:51]
	;; [unrolled: 1-line block ×8, first 2 shown]
	v_fma_f64 v[22:23], -v[48:49], v[52:53], v[22:23]
	v_fmac_f64_e32 v[18:19], v[46:47], v[52:53]
	v_fma_f64 v[24:25], -v[44:45], v[52:53], v[24:25]
	v_fmac_f64_e32 v[20:21], v[42:43], v[52:53]
	;; [unrolled: 2-line block ×4, first 2 shown]
	s_andn2_b64 exec, exec, s[2:3]
	s_cbranch_execnz .LBB112_13
; %bb.14:
	s_or_b64 exec, exec, s[2:3]
.LBB112_15:
	s_or_b64 exec, exec, s[4:5]
.LBB112_16:
	v_mov_b32_dpp v28, v18 row_shr:1 row_mask:0xf bank_mask:0xf
	v_mov_b32_dpp v29, v19 row_shr:1 row_mask:0xf bank_mask:0xf
	v_add_f64 v[18:19], v[18:19], v[28:29]
	v_mov_b32_dpp v26, v22 row_shr:1 row_mask:0xf bank_mask:0xf
	v_mov_b32_dpp v27, v23 row_shr:1 row_mask:0xf bank_mask:0xf
	;; [unrolled: 1-line block ×4, first 2 shown]
	v_add_f64 v[28:29], v[18:19], v[28:29]
	v_mov_b32_dpp v18, v24 row_shr:1 row_mask:0xf bank_mask:0xf
	v_mov_b32_dpp v19, v25 row_shr:1 row_mask:0xf bank_mask:0xf
	v_add_f64 v[18:19], v[24:25], v[18:19]
	v_add_f64 v[22:23], v[22:23], v[26:27]
	v_mov_b32_dpp v30, v28 row_shr:4 row_mask:0xf bank_mask:0xe
	v_mov_b32_dpp v24, v18 row_shr:2 row_mask:0xf bank_mask:0xf
	;; [unrolled: 1-line block ×3, first 2 shown]
	v_add_f64 v[32:33], v[18:19], v[24:25]
	v_mov_b32_dpp v18, v20 row_shr:1 row_mask:0xf bank_mask:0xf
	v_mov_b32_dpp v19, v21 row_shr:1 row_mask:0xf bank_mask:0xf
	v_add_f64 v[18:19], v[20:21], v[18:19]
	v_mov_b32_dpp v26, v22 row_shr:2 row_mask:0xf bank_mask:0xf
	v_mov_b32_dpp v27, v23 row_shr:2 row_mask:0xf bank_mask:0xf
	;; [unrolled: 1-line block ×4, first 2 shown]
	v_add_f64 v[20:21], v[18:19], v[20:21]
	v_mov_b32_dpp v18, v16 row_shr:1 row_mask:0xf bank_mask:0xf
	v_mov_b32_dpp v19, v17 row_shr:1 row_mask:0xf bank_mask:0xf
	v_add_f64 v[16:17], v[16:17], v[18:19]
	v_add_f64 v[22:23], v[22:23], v[26:27]
	v_mov_b32_dpp v31, v29 row_shr:4 row_mask:0xf bank_mask:0xe
	v_mov_b32_dpp v18, v16 row_shr:2 row_mask:0xf bank_mask:0xf
	v_mov_b32_dpp v19, v17 row_shr:2 row_mask:0xf bank_mask:0xf
	v_add_f64 v[16:17], v[16:17], v[18:19]
	v_mov_b32_dpp v18, v14 row_shr:1 row_mask:0xf bank_mask:0xf
	v_mov_b32_dpp v19, v15 row_shr:1 row_mask:0xf bank_mask:0xf
	v_add_f64 v[14:15], v[14:15], v[18:19]
	v_mov_b32_dpp v26, v22 row_shr:4 row_mask:0xf bank_mask:0xe
	v_mov_b32_dpp v27, v23 row_shr:4 row_mask:0xf bank_mask:0xe
	v_mov_b32_dpp v18, v14 row_shr:2 row_mask:0xf bank_mask:0xf
	v_mov_b32_dpp v19, v15 row_shr:2 row_mask:0xf bank_mask:0xf
	v_add_f64 v[40:41], v[14:15], v[18:19]
	v_mov_b32_dpp v14, v12 row_shr:1 row_mask:0xf bank_mask:0xf
	v_mov_b32_dpp v15, v13 row_shr:1 row_mask:0xf bank_mask:0xf
	v_add_f64 v[12:13], v[12:13], v[14:15]
	v_mov_b32_dpp v34, v32 row_shr:4 row_mask:0xf bank_mask:0xe
	;; [unrolled: 8-line block ×3, first 2 shown]
	v_mov_b32_dpp v37, v21 row_shr:4 row_mask:0xf bank_mask:0xe
	v_mov_b32_dpp v12, v0 row_shr:2 row_mask:0xf bank_mask:0xf
	;; [unrolled: 1-line block ×3, first 2 shown]
	v_add_f64 v[48:49], v[0:1], v[12:13]
	v_mov_b32_dpp v38, v16 row_shr:4 row_mask:0xf bank_mask:0xe
	v_mov_b32_dpp v39, v17 row_shr:4 row_mask:0xf bank_mask:0xe
	;; [unrolled: 1-line block ×8, first 2 shown]
	v_cmp_eq_u32_e32 vcc, 7, v11
	s_and_b64 exec, exec, vcc
	s_cbranch_execz .LBB112_21
; %bb.17:
	s_load_dwordx2 s[2:3], s[0:1], 0x48
	v_cmp_eq_f64_e32 vcc, 0, v[6:7]
	v_cmp_eq_f64_e64 s[0:1], 0, v[8:9]
	v_add_f64 v[18:19], v[22:23], v[26:27]
	v_add_f64 v[24:25], v[28:29], v[30:31]
	;; [unrolled: 1-line block ×8, first 2 shown]
	s_and_b64 s[0:1], vcc, s[0:1]
	s_and_saveexec_b64 s[4:5], s[0:1]
	s_xor_b64 s[0:1], exec, s[4:5]
	s_cbranch_execz .LBB112_19
; %bb.18:
	v_lshlrev_b32_e32 v10, 2, v10
	v_mul_f64 v[6:7], v[24:25], -v[4:5]
	v_mul_f64 v[8:9], v[2:3], v[24:25]
	v_ashrrev_i32_e32 v11, 31, v10
	v_fmac_f64_e32 v[6:7], v[2:3], v[18:19]
	v_fmac_f64_e32 v[8:9], v[4:5], v[18:19]
	s_waitcnt lgkmcnt(0)
	v_lshl_add_u64 v[10:11], v[10:11], 4, s[2:3]
	global_store_dwordx4 v[10:11], v[6:9], off
                                        ; implicit-def: $vgpr18_vgpr19
                                        ; implicit-def: $vgpr24_vgpr25
	s_nop 1
	v_mul_f64 v[6:7], v[22:23], -v[4:5]
	v_mul_f64 v[8:9], v[2:3], v[22:23]
	v_fmac_f64_e32 v[6:7], v[2:3], v[14:15]
	v_fmac_f64_e32 v[8:9], v[4:5], v[14:15]
	global_store_dwordx4 v[10:11], v[6:9], off offset:16
                                        ; implicit-def: $vgpr14_vgpr15
                                        ; implicit-def: $vgpr22_vgpr23
	s_nop 1
	v_mul_f64 v[6:7], v[20:21], -v[4:5]
	v_mul_f64 v[8:9], v[2:3], v[20:21]
	v_fmac_f64_e32 v[6:7], v[2:3], v[12:13]
	v_fmac_f64_e32 v[8:9], v[4:5], v[12:13]
	global_store_dwordx4 v[10:11], v[6:9], off offset:32
                                        ; implicit-def: $vgpr12_vgpr13
                                        ; implicit-def: $vgpr20_vgpr21
	s_nop 1
	v_mul_f64 v[6:7], v[16:17], -v[4:5]
	v_mul_f64 v[8:9], v[2:3], v[16:17]
	v_fmac_f64_e32 v[6:7], v[2:3], v[0:1]
	v_fmac_f64_e32 v[8:9], v[4:5], v[0:1]
	global_store_dwordx4 v[10:11], v[6:9], off offset:48
                                        ; implicit-def: $vgpr10
                                        ; implicit-def: $vgpr0_vgpr1
                                        ; implicit-def: $vgpr16_vgpr17
                                        ; implicit-def: $vgpr8_vgpr9
                                        ; implicit-def: $vgpr4_vgpr5
.LBB112_19:
	s_andn2_saveexec_b64 s[0:1], s[0:1]
	s_cbranch_execz .LBB112_21
; %bb.20:
	v_lshlrev_b32_e32 v10, 2, v10
	v_ashrrev_i32_e32 v11, 31, v10
	s_waitcnt lgkmcnt(0)
	v_lshl_add_u64 v[46:47], v[10:11], 4, s[2:3]
	global_load_dwordx4 v[26:29], v[46:47], off
	global_load_dwordx4 v[30:33], v[46:47], off offset:16
	global_load_dwordx4 v[34:37], v[46:47], off offset:32
	;; [unrolled: 1-line block ×3, first 2 shown]
	v_mul_f64 v[42:43], v[24:25], -v[4:5]
	v_mul_f64 v[24:25], v[2:3], v[24:25]
	v_mul_f64 v[48:49], v[22:23], -v[4:5]
	v_mul_f64 v[44:45], v[2:3], v[22:23]
	;; [unrolled: 2-line block ×4, first 2 shown]
	v_fmac_f64_e32 v[42:43], v[2:3], v[18:19]
	v_fmac_f64_e32 v[24:25], v[4:5], v[18:19]
	;; [unrolled: 1-line block ×8, first 2 shown]
	s_waitcnt vmcnt(3)
	v_fmac_f64_e32 v[42:43], v[6:7], v[26:27]
	v_fmac_f64_e32 v[24:25], v[8:9], v[26:27]
	s_waitcnt vmcnt(2)
	v_fmac_f64_e32 v[48:49], v[6:7], v[30:31]
	v_fmac_f64_e32 v[44:45], v[8:9], v[30:31]
	;; [unrolled: 3-line block ×4, first 2 shown]
	v_fma_f64 v[22:23], -v[8:9], v[28:29], v[42:43]
	v_fmac_f64_e32 v[24:25], v[6:7], v[28:29]
	v_fma_f64 v[42:43], -v[8:9], v[32:33], v[48:49]
	v_fmac_f64_e32 v[44:45], v[6:7], v[32:33]
	v_fma_f64 v[18:19], -v[8:9], v[36:37], v[50:51]
	v_fmac_f64_e32 v[20:21], v[6:7], v[36:37]
	v_fma_f64 v[8:9], -v[8:9], v[40:41], v[52:53]
	v_fmac_f64_e32 v[10:11], v[6:7], v[40:41]
	global_store_dwordx4 v[46:47], v[22:25], off
	global_store_dwordx4 v[46:47], v[42:45], off offset:16
	global_store_dwordx4 v[46:47], v[18:21], off offset:32
	;; [unrolled: 1-line block ×3, first 2 shown]
.LBB112_21:
	s_endpgm
	.section	.rodata,"a",@progbits
	.p2align	6, 0x0
	.amdhsa_kernel _ZN9rocsparseL19gebsrmvn_4xn_kernelILj128ELj1ELj8E21rocsparse_complex_numIdEEEvi20rocsparse_direction_NS_24const_host_device_scalarIT2_EEPKiS8_PKS5_SA_S6_PS5_21rocsparse_index_base_b
		.amdhsa_group_segment_fixed_size 0
		.amdhsa_private_segment_fixed_size 0
		.amdhsa_kernarg_size 88
		.amdhsa_user_sgpr_count 2
		.amdhsa_user_sgpr_dispatch_ptr 0
		.amdhsa_user_sgpr_queue_ptr 0
		.amdhsa_user_sgpr_kernarg_segment_ptr 1
		.amdhsa_user_sgpr_dispatch_id 0
		.amdhsa_user_sgpr_kernarg_preload_length 0
		.amdhsa_user_sgpr_kernarg_preload_offset 0
		.amdhsa_user_sgpr_private_segment_size 0
		.amdhsa_uses_dynamic_stack 0
		.amdhsa_enable_private_segment 0
		.amdhsa_system_sgpr_workgroup_id_x 1
		.amdhsa_system_sgpr_workgroup_id_y 0
		.amdhsa_system_sgpr_workgroup_id_z 0
		.amdhsa_system_sgpr_workgroup_info 0
		.amdhsa_system_vgpr_workitem_id 0
		.amdhsa_next_free_vgpr 54
		.amdhsa_next_free_sgpr 16
		.amdhsa_accum_offset 56
		.amdhsa_reserve_vcc 1
		.amdhsa_float_round_mode_32 0
		.amdhsa_float_round_mode_16_64 0
		.amdhsa_float_denorm_mode_32 3
		.amdhsa_float_denorm_mode_16_64 3
		.amdhsa_dx10_clamp 1
		.amdhsa_ieee_mode 1
		.amdhsa_fp16_overflow 0
		.amdhsa_tg_split 0
		.amdhsa_exception_fp_ieee_invalid_op 0
		.amdhsa_exception_fp_denorm_src 0
		.amdhsa_exception_fp_ieee_div_zero 0
		.amdhsa_exception_fp_ieee_overflow 0
		.amdhsa_exception_fp_ieee_underflow 0
		.amdhsa_exception_fp_ieee_inexact 0
		.amdhsa_exception_int_div_zero 0
	.end_amdhsa_kernel
	.section	.text._ZN9rocsparseL19gebsrmvn_4xn_kernelILj128ELj1ELj8E21rocsparse_complex_numIdEEEvi20rocsparse_direction_NS_24const_host_device_scalarIT2_EEPKiS8_PKS5_SA_S6_PS5_21rocsparse_index_base_b,"axG",@progbits,_ZN9rocsparseL19gebsrmvn_4xn_kernelILj128ELj1ELj8E21rocsparse_complex_numIdEEEvi20rocsparse_direction_NS_24const_host_device_scalarIT2_EEPKiS8_PKS5_SA_S6_PS5_21rocsparse_index_base_b,comdat
.Lfunc_end112:
	.size	_ZN9rocsparseL19gebsrmvn_4xn_kernelILj128ELj1ELj8E21rocsparse_complex_numIdEEEvi20rocsparse_direction_NS_24const_host_device_scalarIT2_EEPKiS8_PKS5_SA_S6_PS5_21rocsparse_index_base_b, .Lfunc_end112-_ZN9rocsparseL19gebsrmvn_4xn_kernelILj128ELj1ELj8E21rocsparse_complex_numIdEEEvi20rocsparse_direction_NS_24const_host_device_scalarIT2_EEPKiS8_PKS5_SA_S6_PS5_21rocsparse_index_base_b
                                        ; -- End function
	.set _ZN9rocsparseL19gebsrmvn_4xn_kernelILj128ELj1ELj8E21rocsparse_complex_numIdEEEvi20rocsparse_direction_NS_24const_host_device_scalarIT2_EEPKiS8_PKS5_SA_S6_PS5_21rocsparse_index_base_b.num_vgpr, 54
	.set _ZN9rocsparseL19gebsrmvn_4xn_kernelILj128ELj1ELj8E21rocsparse_complex_numIdEEEvi20rocsparse_direction_NS_24const_host_device_scalarIT2_EEPKiS8_PKS5_SA_S6_PS5_21rocsparse_index_base_b.num_agpr, 0
	.set _ZN9rocsparseL19gebsrmvn_4xn_kernelILj128ELj1ELj8E21rocsparse_complex_numIdEEEvi20rocsparse_direction_NS_24const_host_device_scalarIT2_EEPKiS8_PKS5_SA_S6_PS5_21rocsparse_index_base_b.numbered_sgpr, 16
	.set _ZN9rocsparseL19gebsrmvn_4xn_kernelILj128ELj1ELj8E21rocsparse_complex_numIdEEEvi20rocsparse_direction_NS_24const_host_device_scalarIT2_EEPKiS8_PKS5_SA_S6_PS5_21rocsparse_index_base_b.num_named_barrier, 0
	.set _ZN9rocsparseL19gebsrmvn_4xn_kernelILj128ELj1ELj8E21rocsparse_complex_numIdEEEvi20rocsparse_direction_NS_24const_host_device_scalarIT2_EEPKiS8_PKS5_SA_S6_PS5_21rocsparse_index_base_b.private_seg_size, 0
	.set _ZN9rocsparseL19gebsrmvn_4xn_kernelILj128ELj1ELj8E21rocsparse_complex_numIdEEEvi20rocsparse_direction_NS_24const_host_device_scalarIT2_EEPKiS8_PKS5_SA_S6_PS5_21rocsparse_index_base_b.uses_vcc, 1
	.set _ZN9rocsparseL19gebsrmvn_4xn_kernelILj128ELj1ELj8E21rocsparse_complex_numIdEEEvi20rocsparse_direction_NS_24const_host_device_scalarIT2_EEPKiS8_PKS5_SA_S6_PS5_21rocsparse_index_base_b.uses_flat_scratch, 0
	.set _ZN9rocsparseL19gebsrmvn_4xn_kernelILj128ELj1ELj8E21rocsparse_complex_numIdEEEvi20rocsparse_direction_NS_24const_host_device_scalarIT2_EEPKiS8_PKS5_SA_S6_PS5_21rocsparse_index_base_b.has_dyn_sized_stack, 0
	.set _ZN9rocsparseL19gebsrmvn_4xn_kernelILj128ELj1ELj8E21rocsparse_complex_numIdEEEvi20rocsparse_direction_NS_24const_host_device_scalarIT2_EEPKiS8_PKS5_SA_S6_PS5_21rocsparse_index_base_b.has_recursion, 0
	.set _ZN9rocsparseL19gebsrmvn_4xn_kernelILj128ELj1ELj8E21rocsparse_complex_numIdEEEvi20rocsparse_direction_NS_24const_host_device_scalarIT2_EEPKiS8_PKS5_SA_S6_PS5_21rocsparse_index_base_b.has_indirect_call, 0
	.section	.AMDGPU.csdata,"",@progbits
; Kernel info:
; codeLenInByte = 1920
; TotalNumSgprs: 22
; NumVgprs: 54
; NumAgprs: 0
; TotalNumVgprs: 54
; ScratchSize: 0
; MemoryBound: 0
; FloatMode: 240
; IeeeMode: 1
; LDSByteSize: 0 bytes/workgroup (compile time only)
; SGPRBlocks: 2
; VGPRBlocks: 6
; NumSGPRsForWavesPerEU: 22
; NumVGPRsForWavesPerEU: 54
; AccumOffset: 56
; Occupancy: 8
; WaveLimiterHint : 1
; COMPUTE_PGM_RSRC2:SCRATCH_EN: 0
; COMPUTE_PGM_RSRC2:USER_SGPR: 2
; COMPUTE_PGM_RSRC2:TRAP_HANDLER: 0
; COMPUTE_PGM_RSRC2:TGID_X_EN: 1
; COMPUTE_PGM_RSRC2:TGID_Y_EN: 0
; COMPUTE_PGM_RSRC2:TGID_Z_EN: 0
; COMPUTE_PGM_RSRC2:TIDIG_COMP_CNT: 0
; COMPUTE_PGM_RSRC3_GFX90A:ACCUM_OFFSET: 13
; COMPUTE_PGM_RSRC3_GFX90A:TG_SPLIT: 0
	.section	.text._ZN9rocsparseL19gebsrmvn_4xn_kernelILj128ELj1ELj16E21rocsparse_complex_numIdEEEvi20rocsparse_direction_NS_24const_host_device_scalarIT2_EEPKiS8_PKS5_SA_S6_PS5_21rocsparse_index_base_b,"axG",@progbits,_ZN9rocsparseL19gebsrmvn_4xn_kernelILj128ELj1ELj16E21rocsparse_complex_numIdEEEvi20rocsparse_direction_NS_24const_host_device_scalarIT2_EEPKiS8_PKS5_SA_S6_PS5_21rocsparse_index_base_b,comdat
	.globl	_ZN9rocsparseL19gebsrmvn_4xn_kernelILj128ELj1ELj16E21rocsparse_complex_numIdEEEvi20rocsparse_direction_NS_24const_host_device_scalarIT2_EEPKiS8_PKS5_SA_S6_PS5_21rocsparse_index_base_b ; -- Begin function _ZN9rocsparseL19gebsrmvn_4xn_kernelILj128ELj1ELj16E21rocsparse_complex_numIdEEEvi20rocsparse_direction_NS_24const_host_device_scalarIT2_EEPKiS8_PKS5_SA_S6_PS5_21rocsparse_index_base_b
	.p2align	8
	.type	_ZN9rocsparseL19gebsrmvn_4xn_kernelILj128ELj1ELj16E21rocsparse_complex_numIdEEEvi20rocsparse_direction_NS_24const_host_device_scalarIT2_EEPKiS8_PKS5_SA_S6_PS5_21rocsparse_index_base_b,@function
_ZN9rocsparseL19gebsrmvn_4xn_kernelILj128ELj1ELj16E21rocsparse_complex_numIdEEEvi20rocsparse_direction_NS_24const_host_device_scalarIT2_EEPKiS8_PKS5_SA_S6_PS5_21rocsparse_index_base_b: ; @_ZN9rocsparseL19gebsrmvn_4xn_kernelILj128ELj1ELj16E21rocsparse_complex_numIdEEEvi20rocsparse_direction_NS_24const_host_device_scalarIT2_EEPKiS8_PKS5_SA_S6_PS5_21rocsparse_index_base_b
; %bb.0:
	s_load_dwordx2 s[4:5], s[0:1], 0x8
	s_load_dwordx2 s[6:7], s[0:1], 0x38
	;; [unrolled: 1-line block ×3, first 2 shown]
	s_add_u32 s3, s0, 8
	s_addc_u32 s8, s1, 0
	s_add_u32 s9, s0, 56
	s_addc_u32 s10, s1, 0
	s_waitcnt lgkmcnt(0)
	s_bitcmp1_b32 s13, 0
	s_cselect_b32 s5, s8, s5
	s_cselect_b32 s3, s3, s4
	v_mov_b32_e32 v2, s3
	v_mov_b32_e32 v3, s5
	flat_load_dwordx4 v[2:5], v[2:3]
	s_cselect_b32 s3, s10, s7
	s_cselect_b32 s4, s9, s6
	v_mov_b32_e32 v6, s4
	v_mov_b32_e32 v7, s3
	flat_load_dwordx4 v[6:9], v[6:7]
	s_waitcnt vmcnt(0) lgkmcnt(0)
	v_cmp_eq_f64_e32 vcc, 0, v[2:3]
	v_cmp_eq_f64_e64 s[4:5], 0, v[4:5]
	s_and_b64 s[8:9], vcc, s[4:5]
	s_mov_b64 s[4:5], -1
	s_and_saveexec_b64 s[6:7], s[8:9]
; %bb.1:
	v_cmp_neq_f64_e32 vcc, 1.0, v[6:7]
	v_cmp_neq_f64_e64 s[4:5], 0, v[8:9]
	s_or_b64 s[4:5], vcc, s[4:5]
	s_orn2_b64 s[4:5], s[4:5], exec
; %bb.2:
	s_or_b64 exec, exec, s[6:7]
	s_and_saveexec_b64 s[6:7], s[4:5]
	s_cbranch_execz .LBB113_21
; %bb.3:
	s_load_dwordx2 s[14:15], s[0:1], 0x0
	v_lshrrev_b32_e32 v1, 4, v0
	v_lshl_or_b32 v10, s2, 3, v1
	s_waitcnt lgkmcnt(0)
	v_cmp_gt_i32_e32 vcc, s14, v10
	s_and_b64 exec, exec, vcc
	s_cbranch_execz .LBB113_21
; %bb.4:
	s_load_dwordx8 s[4:11], s[0:1], 0x18
	v_ashrrev_i32_e32 v11, 31, v10
	s_cmp_lg_u32 s15, 0
	s_waitcnt lgkmcnt(0)
	v_lshl_add_u64 v[12:13], v[10:11], 2, s[4:5]
	global_load_dwordx2 v[12:13], v[12:13], off
	v_and_b32_e32 v11, 15, v0
	s_waitcnt vmcnt(0)
	v_subrev_u32_e32 v0, s12, v12
	v_subrev_u32_e32 v32, s12, v13
	v_add_u32_e32 v26, v0, v11
	v_cmp_lt_i32_e64 s[2:3], v26, v32
	s_cbranch_scc0 .LBB113_10
; %bb.5:
	v_mov_b64_e32 v[18:19], 0
	v_mov_b64_e32 v[24:25], 0
	;; [unrolled: 1-line block ×8, first 2 shown]
	s_and_saveexec_b64 s[4:5], s[2:3]
	s_cbranch_execz .LBB113_9
; %bb.6:
	v_lshlrev_b32_e32 v28, 2, v26
	v_mov_b64_e32 v[18:19], 0
	s_mov_b64 s[14:15], 0
	v_mov_b32_e32 v29, 0
	v_mov_b32_e32 v30, v26
	v_mov_b64_e32 v[24:25], 0
	v_mov_b64_e32 v[12:13], 0
	;; [unrolled: 1-line block ×7, first 2 shown]
.LBB113_7:                              ; =>This Inner Loop Header: Depth=1
	v_ashrrev_i32_e32 v31, 31, v30
	v_lshl_add_u64 v[34:35], v[30:31], 2, s[6:7]
	global_load_dword v27, v[34:35], off
	v_lshl_add_u64 v[50:51], v[28:29], 4, s[8:9]
	v_mov_b32_e32 v53, v29
	global_load_dwordx4 v[34:37], v[50:51], off offset:48
	global_load_dwordx4 v[38:41], v[50:51], off offset:32
	;; [unrolled: 1-line block ×3, first 2 shown]
	global_load_dwordx4 v[46:49], v[50:51], off
	v_add_u32_e32 v30, 16, v30
	v_cmp_ge_i32_e32 vcc, v30, v32
	v_add_u32_e32 v28, 64, v28
	s_or_b64 s[14:15], vcc, s[14:15]
	s_waitcnt vmcnt(4)
	v_subrev_u32_e32 v52, s12, v27
	v_lshl_add_u64 v[50:51], v[52:53], 4, s[10:11]
	global_load_dwordx4 v[50:53], v[50:51], off
	s_waitcnt vmcnt(0)
	v_fmac_f64_e32 v[24:25], v[46:47], v[50:51]
	v_fmac_f64_e32 v[18:19], v[48:49], v[50:51]
	;; [unrolled: 1-line block ×8, first 2 shown]
	v_fma_f64 v[24:25], -v[48:49], v[52:53], v[24:25]
	v_fmac_f64_e32 v[18:19], v[46:47], v[52:53]
	v_fma_f64 v[22:23], -v[44:45], v[52:53], v[22:23]
	v_fmac_f64_e32 v[20:21], v[42:43], v[52:53]
	;; [unrolled: 2-line block ×4, first 2 shown]
	s_andn2_b64 exec, exec, s[14:15]
	s_cbranch_execnz .LBB113_7
; %bb.8:
	s_or_b64 exec, exec, s[14:15]
.LBB113_9:
	s_or_b64 exec, exec, s[4:5]
	s_cbranch_execz .LBB113_11
	s_branch .LBB113_16
.LBB113_10:
                                        ; implicit-def: $vgpr18_vgpr19
                                        ; implicit-def: $vgpr24_vgpr25
                                        ; implicit-def: $vgpr12_vgpr13
                                        ; implicit-def: $vgpr0_vgpr1
                                        ; implicit-def: $vgpr16_vgpr17
                                        ; implicit-def: $vgpr14_vgpr15
                                        ; implicit-def: $vgpr22_vgpr23
                                        ; implicit-def: $vgpr20_vgpr21
.LBB113_11:
	v_mov_b64_e32 v[18:19], 0
	v_mov_b64_e32 v[24:25], 0
	;; [unrolled: 1-line block ×8, first 2 shown]
	s_and_saveexec_b64 s[4:5], s[2:3]
	s_cbranch_execz .LBB113_15
; %bb.12:
	v_lshlrev_b32_e32 v28, 2, v26
	v_mov_b64_e32 v[18:19], 0
	s_mov_b64 s[2:3], 0
	v_mov_b32_e32 v29, 0
	v_mov_b64_e32 v[24:25], 0
	v_mov_b64_e32 v[12:13], 0
	;; [unrolled: 1-line block ×7, first 2 shown]
.LBB113_13:                             ; =>This Inner Loop Header: Depth=1
	v_ashrrev_i32_e32 v27, 31, v26
	v_lshl_add_u64 v[30:31], v[26:27], 2, s[6:7]
	global_load_dword v27, v[30:31], off
	v_lshl_add_u64 v[30:31], v[28:29], 4, s[8:9]
	v_mov_b32_e32 v51, v29
	global_load_dwordx4 v[34:37], v[30:31], off offset:48
	global_load_dwordx4 v[38:41], v[30:31], off offset:32
	global_load_dwordx4 v[42:45], v[30:31], off offset:16
	global_load_dwordx4 v[46:49], v[30:31], off
	v_add_u32_e32 v26, 16, v26
	v_cmp_ge_i32_e32 vcc, v26, v32
	v_add_u32_e32 v28, 64, v28
	s_or_b64 s[2:3], vcc, s[2:3]
	s_waitcnt vmcnt(4)
	v_subrev_u32_e32 v50, s12, v27
	v_lshl_add_u64 v[30:31], v[50:51], 4, s[10:11]
	global_load_dwordx4 v[50:53], v[30:31], off
	s_waitcnt vmcnt(0)
	v_fmac_f64_e32 v[24:25], v[46:47], v[50:51]
	v_fmac_f64_e32 v[18:19], v[48:49], v[50:51]
	;; [unrolled: 1-line block ×8, first 2 shown]
	v_fma_f64 v[24:25], -v[48:49], v[52:53], v[24:25]
	v_fmac_f64_e32 v[18:19], v[46:47], v[52:53]
	v_fma_f64 v[22:23], -v[44:45], v[52:53], v[22:23]
	v_fmac_f64_e32 v[20:21], v[42:43], v[52:53]
	;; [unrolled: 2-line block ×4, first 2 shown]
	s_andn2_b64 exec, exec, s[2:3]
	s_cbranch_execnz .LBB113_13
; %bb.14:
	s_or_b64 exec, exec, s[2:3]
.LBB113_15:
	s_or_b64 exec, exec, s[4:5]
.LBB113_16:
	v_mov_b32_dpp v28, v18 row_shr:1 row_mask:0xf bank_mask:0xf
	v_mov_b32_dpp v29, v19 row_shr:1 row_mask:0xf bank_mask:0xf
	v_add_f64 v[18:19], v[18:19], v[28:29]
	v_mov_b32_dpp v26, v24 row_shr:1 row_mask:0xf bank_mask:0xf
	v_mov_b32_dpp v27, v25 row_shr:1 row_mask:0xf bank_mask:0xf
	v_mov_b32_dpp v28, v18 row_shr:2 row_mask:0xf bank_mask:0xf
	v_mov_b32_dpp v29, v19 row_shr:2 row_mask:0xf bank_mask:0xf
	v_add_f64 v[18:19], v[18:19], v[28:29]
	v_add_f64 v[24:25], v[24:25], v[26:27]
	v_cmp_eq_u32_e32 vcc, 15, v11
	v_mov_b32_dpp v28, v18 row_shr:4 row_mask:0xf bank_mask:0xe
	v_mov_b32_dpp v29, v19 row_shr:4 row_mask:0xf bank_mask:0xe
	v_add_f64 v[28:29], v[18:19], v[28:29]
	v_mov_b32_dpp v18, v22 row_shr:1 row_mask:0xf bank_mask:0xf
	v_mov_b32_dpp v19, v23 row_shr:1 row_mask:0xf bank_mask:0xf
	v_add_f64 v[18:19], v[22:23], v[18:19]
	v_mov_b32_dpp v26, v24 row_shr:2 row_mask:0xf bank_mask:0xf
	v_mov_b32_dpp v27, v25 row_shr:2 row_mask:0xf bank_mask:0xf
	;; [unrolled: 1-line block ×4, first 2 shown]
	v_add_f64 v[18:19], v[18:19], v[22:23]
	v_add_f64 v[24:25], v[24:25], v[26:27]
	v_mov_b32_dpp v30, v28 row_shr:8 row_mask:0xf bank_mask:0xc
	v_mov_b32_dpp v22, v18 row_shr:4 row_mask:0xf bank_mask:0xe
	;; [unrolled: 1-line block ×3, first 2 shown]
	v_add_f64 v[22:23], v[18:19], v[22:23]
	v_mov_b32_dpp v18, v20 row_shr:1 row_mask:0xf bank_mask:0xf
	v_mov_b32_dpp v19, v21 row_shr:1 row_mask:0xf bank_mask:0xf
	v_add_f64 v[18:19], v[20:21], v[18:19]
	v_mov_b32_dpp v26, v24 row_shr:4 row_mask:0xf bank_mask:0xe
	v_mov_b32_dpp v27, v25 row_shr:4 row_mask:0xf bank_mask:0xe
	;; [unrolled: 1-line block ×4, first 2 shown]
	v_add_f64 v[18:19], v[18:19], v[20:21]
	v_add_f64 v[24:25], v[24:25], v[26:27]
	v_mov_b32_dpp v31, v29 row_shr:8 row_mask:0xf bank_mask:0xc
	v_mov_b32_dpp v20, v18 row_shr:4 row_mask:0xf bank_mask:0xe
	v_mov_b32_dpp v21, v19 row_shr:4 row_mask:0xf bank_mask:0xe
	v_add_f64 v[20:21], v[18:19], v[20:21]
	v_mov_b32_dpp v18, v16 row_shr:1 row_mask:0xf bank_mask:0xf
	v_mov_b32_dpp v19, v17 row_shr:1 row_mask:0xf bank_mask:0xf
	v_add_f64 v[16:17], v[16:17], v[18:19]
	v_mov_b32_dpp v26, v24 row_shr:8 row_mask:0xf bank_mask:0xc
	v_mov_b32_dpp v27, v25 row_shr:8 row_mask:0xf bank_mask:0xc
	v_mov_b32_dpp v18, v16 row_shr:2 row_mask:0xf bank_mask:0xf
	v_mov_b32_dpp v19, v17 row_shr:2 row_mask:0xf bank_mask:0xf
	v_add_f64 v[16:17], v[16:17], v[18:19]
	v_mov_b32_dpp v32, v22 row_shr:8 row_mask:0xf bank_mask:0xc
	v_mov_b32_dpp v33, v23 row_shr:8 row_mask:0xf bank_mask:0xc
	;; [unrolled: 5-line block ×3, first 2 shown]
	v_add_f64 v[14:15], v[14:15], v[18:19]
	v_mov_b32_dpp v34, v20 row_shr:8 row_mask:0xf bank_mask:0xc
	v_mov_b32_dpp v35, v21 row_shr:8 row_mask:0xf bank_mask:0xc
	;; [unrolled: 1-line block ×4, first 2 shown]
	v_add_f64 v[14:15], v[14:15], v[18:19]
	v_mov_b32_dpp v36, v16 row_shr:8 row_mask:0xf bank_mask:0xc
	v_mov_b32_dpp v37, v17 row_shr:8 row_mask:0xf bank_mask:0xc
	;; [unrolled: 1-line block ×4, first 2 shown]
	v_add_f64 v[38:39], v[14:15], v[18:19]
	v_mov_b32_dpp v14, v12 row_shr:1 row_mask:0xf bank_mask:0xf
	v_mov_b32_dpp v15, v13 row_shr:1 row_mask:0xf bank_mask:0xf
	v_add_f64 v[12:13], v[12:13], v[14:15]
	v_mov_b32_dpp v40, v38 row_shr:8 row_mask:0xf bank_mask:0xc
	v_mov_b32_dpp v41, v39 row_shr:8 row_mask:0xf bank_mask:0xc
	;; [unrolled: 1-line block ×4, first 2 shown]
	v_add_f64 v[12:13], v[12:13], v[14:15]
	s_nop 1
	v_mov_b32_dpp v14, v12 row_shr:4 row_mask:0xf bank_mask:0xe
	v_mov_b32_dpp v15, v13 row_shr:4 row_mask:0xf bank_mask:0xe
	v_add_f64 v[42:43], v[12:13], v[14:15]
	v_mov_b32_dpp v12, v0 row_shr:1 row_mask:0xf bank_mask:0xf
	v_mov_b32_dpp v13, v1 row_shr:1 row_mask:0xf bank_mask:0xf
	v_add_f64 v[0:1], v[0:1], v[12:13]
	v_mov_b32_dpp v44, v42 row_shr:8 row_mask:0xf bank_mask:0xc
	v_mov_b32_dpp v45, v43 row_shr:8 row_mask:0xf bank_mask:0xc
	;; [unrolled: 1-line block ×4, first 2 shown]
	v_add_f64 v[0:1], v[0:1], v[12:13]
	s_nop 1
	v_mov_b32_dpp v12, v0 row_shr:4 row_mask:0xf bank_mask:0xe
	v_mov_b32_dpp v13, v1 row_shr:4 row_mask:0xf bank_mask:0xe
	v_add_f64 v[46:47], v[0:1], v[12:13]
	s_nop 1
	v_mov_b32_dpp v48, v46 row_shr:8 row_mask:0xf bank_mask:0xc
	v_mov_b32_dpp v49, v47 row_shr:8 row_mask:0xf bank_mask:0xc
	s_and_b64 exec, exec, vcc
	s_cbranch_execz .LBB113_21
; %bb.17:
	s_load_dwordx2 s[2:3], s[0:1], 0x48
	v_cmp_eq_f64_e32 vcc, 0, v[6:7]
	v_cmp_eq_f64_e64 s[0:1], 0, v[8:9]
	v_add_f64 v[18:19], v[24:25], v[26:27]
	v_add_f64 v[24:25], v[28:29], v[30:31]
	;; [unrolled: 1-line block ×8, first 2 shown]
	s_and_b64 s[0:1], vcc, s[0:1]
	s_and_saveexec_b64 s[4:5], s[0:1]
	s_xor_b64 s[0:1], exec, s[4:5]
	s_cbranch_execz .LBB113_19
; %bb.18:
	v_lshlrev_b32_e32 v10, 2, v10
	v_mul_f64 v[6:7], v[24:25], -v[4:5]
	v_mul_f64 v[8:9], v[2:3], v[24:25]
	v_ashrrev_i32_e32 v11, 31, v10
	v_fmac_f64_e32 v[6:7], v[2:3], v[18:19]
	v_fmac_f64_e32 v[8:9], v[4:5], v[18:19]
	s_waitcnt lgkmcnt(0)
	v_lshl_add_u64 v[10:11], v[10:11], 4, s[2:3]
	global_store_dwordx4 v[10:11], v[6:9], off
                                        ; implicit-def: $vgpr18_vgpr19
                                        ; implicit-def: $vgpr24_vgpr25
	s_nop 1
	v_mul_f64 v[6:7], v[22:23], -v[4:5]
	v_mul_f64 v[8:9], v[2:3], v[22:23]
	v_fmac_f64_e32 v[6:7], v[2:3], v[14:15]
	v_fmac_f64_e32 v[8:9], v[4:5], v[14:15]
	global_store_dwordx4 v[10:11], v[6:9], off offset:16
                                        ; implicit-def: $vgpr14_vgpr15
                                        ; implicit-def: $vgpr22_vgpr23
	s_nop 1
	v_mul_f64 v[6:7], v[20:21], -v[4:5]
	v_mul_f64 v[8:9], v[2:3], v[20:21]
	v_fmac_f64_e32 v[6:7], v[2:3], v[12:13]
	v_fmac_f64_e32 v[8:9], v[4:5], v[12:13]
	global_store_dwordx4 v[10:11], v[6:9], off offset:32
                                        ; implicit-def: $vgpr12_vgpr13
                                        ; implicit-def: $vgpr20_vgpr21
	s_nop 1
	v_mul_f64 v[6:7], v[16:17], -v[4:5]
	v_mul_f64 v[8:9], v[2:3], v[16:17]
	v_fmac_f64_e32 v[6:7], v[2:3], v[0:1]
	v_fmac_f64_e32 v[8:9], v[4:5], v[0:1]
	global_store_dwordx4 v[10:11], v[6:9], off offset:48
                                        ; implicit-def: $vgpr10
                                        ; implicit-def: $vgpr0_vgpr1
                                        ; implicit-def: $vgpr16_vgpr17
                                        ; implicit-def: $vgpr8_vgpr9
                                        ; implicit-def: $vgpr4_vgpr5
.LBB113_19:
	s_andn2_saveexec_b64 s[0:1], s[0:1]
	s_cbranch_execz .LBB113_21
; %bb.20:
	v_lshlrev_b32_e32 v10, 2, v10
	v_ashrrev_i32_e32 v11, 31, v10
	s_waitcnt lgkmcnt(0)
	v_lshl_add_u64 v[46:47], v[10:11], 4, s[2:3]
	global_load_dwordx4 v[26:29], v[46:47], off
	global_load_dwordx4 v[30:33], v[46:47], off offset:16
	global_load_dwordx4 v[34:37], v[46:47], off offset:32
	;; [unrolled: 1-line block ×3, first 2 shown]
	v_mul_f64 v[42:43], v[24:25], -v[4:5]
	v_mul_f64 v[24:25], v[2:3], v[24:25]
	v_mul_f64 v[48:49], v[22:23], -v[4:5]
	v_mul_f64 v[44:45], v[2:3], v[22:23]
	;; [unrolled: 2-line block ×4, first 2 shown]
	v_fmac_f64_e32 v[42:43], v[2:3], v[18:19]
	v_fmac_f64_e32 v[24:25], v[4:5], v[18:19]
	;; [unrolled: 1-line block ×8, first 2 shown]
	s_waitcnt vmcnt(3)
	v_fmac_f64_e32 v[42:43], v[6:7], v[26:27]
	v_fmac_f64_e32 v[24:25], v[8:9], v[26:27]
	s_waitcnt vmcnt(2)
	v_fmac_f64_e32 v[48:49], v[6:7], v[30:31]
	v_fmac_f64_e32 v[44:45], v[8:9], v[30:31]
	;; [unrolled: 3-line block ×4, first 2 shown]
	v_fma_f64 v[22:23], -v[8:9], v[28:29], v[42:43]
	v_fmac_f64_e32 v[24:25], v[6:7], v[28:29]
	v_fma_f64 v[42:43], -v[8:9], v[32:33], v[48:49]
	v_fmac_f64_e32 v[44:45], v[6:7], v[32:33]
	;; [unrolled: 2-line block ×4, first 2 shown]
	global_store_dwordx4 v[46:47], v[22:25], off
	global_store_dwordx4 v[46:47], v[42:45], off offset:16
	global_store_dwordx4 v[46:47], v[18:21], off offset:32
	;; [unrolled: 1-line block ×3, first 2 shown]
.LBB113_21:
	s_endpgm
	.section	.rodata,"a",@progbits
	.p2align	6, 0x0
	.amdhsa_kernel _ZN9rocsparseL19gebsrmvn_4xn_kernelILj128ELj1ELj16E21rocsparse_complex_numIdEEEvi20rocsparse_direction_NS_24const_host_device_scalarIT2_EEPKiS8_PKS5_SA_S6_PS5_21rocsparse_index_base_b
		.amdhsa_group_segment_fixed_size 0
		.amdhsa_private_segment_fixed_size 0
		.amdhsa_kernarg_size 88
		.amdhsa_user_sgpr_count 2
		.amdhsa_user_sgpr_dispatch_ptr 0
		.amdhsa_user_sgpr_queue_ptr 0
		.amdhsa_user_sgpr_kernarg_segment_ptr 1
		.amdhsa_user_sgpr_dispatch_id 0
		.amdhsa_user_sgpr_kernarg_preload_length 0
		.amdhsa_user_sgpr_kernarg_preload_offset 0
		.amdhsa_user_sgpr_private_segment_size 0
		.amdhsa_uses_dynamic_stack 0
		.amdhsa_enable_private_segment 0
		.amdhsa_system_sgpr_workgroup_id_x 1
		.amdhsa_system_sgpr_workgroup_id_y 0
		.amdhsa_system_sgpr_workgroup_id_z 0
		.amdhsa_system_sgpr_workgroup_info 0
		.amdhsa_system_vgpr_workitem_id 0
		.amdhsa_next_free_vgpr 54
		.amdhsa_next_free_sgpr 16
		.amdhsa_accum_offset 56
		.amdhsa_reserve_vcc 1
		.amdhsa_float_round_mode_32 0
		.amdhsa_float_round_mode_16_64 0
		.amdhsa_float_denorm_mode_32 3
		.amdhsa_float_denorm_mode_16_64 3
		.amdhsa_dx10_clamp 1
		.amdhsa_ieee_mode 1
		.amdhsa_fp16_overflow 0
		.amdhsa_tg_split 0
		.amdhsa_exception_fp_ieee_invalid_op 0
		.amdhsa_exception_fp_denorm_src 0
		.amdhsa_exception_fp_ieee_div_zero 0
		.amdhsa_exception_fp_ieee_overflow 0
		.amdhsa_exception_fp_ieee_underflow 0
		.amdhsa_exception_fp_ieee_inexact 0
		.amdhsa_exception_int_div_zero 0
	.end_amdhsa_kernel
	.section	.text._ZN9rocsparseL19gebsrmvn_4xn_kernelILj128ELj1ELj16E21rocsparse_complex_numIdEEEvi20rocsparse_direction_NS_24const_host_device_scalarIT2_EEPKiS8_PKS5_SA_S6_PS5_21rocsparse_index_base_b,"axG",@progbits,_ZN9rocsparseL19gebsrmvn_4xn_kernelILj128ELj1ELj16E21rocsparse_complex_numIdEEEvi20rocsparse_direction_NS_24const_host_device_scalarIT2_EEPKiS8_PKS5_SA_S6_PS5_21rocsparse_index_base_b,comdat
.Lfunc_end113:
	.size	_ZN9rocsparseL19gebsrmvn_4xn_kernelILj128ELj1ELj16E21rocsparse_complex_numIdEEEvi20rocsparse_direction_NS_24const_host_device_scalarIT2_EEPKiS8_PKS5_SA_S6_PS5_21rocsparse_index_base_b, .Lfunc_end113-_ZN9rocsparseL19gebsrmvn_4xn_kernelILj128ELj1ELj16E21rocsparse_complex_numIdEEEvi20rocsparse_direction_NS_24const_host_device_scalarIT2_EEPKiS8_PKS5_SA_S6_PS5_21rocsparse_index_base_b
                                        ; -- End function
	.set _ZN9rocsparseL19gebsrmvn_4xn_kernelILj128ELj1ELj16E21rocsparse_complex_numIdEEEvi20rocsparse_direction_NS_24const_host_device_scalarIT2_EEPKiS8_PKS5_SA_S6_PS5_21rocsparse_index_base_b.num_vgpr, 54
	.set _ZN9rocsparseL19gebsrmvn_4xn_kernelILj128ELj1ELj16E21rocsparse_complex_numIdEEEvi20rocsparse_direction_NS_24const_host_device_scalarIT2_EEPKiS8_PKS5_SA_S6_PS5_21rocsparse_index_base_b.num_agpr, 0
	.set _ZN9rocsparseL19gebsrmvn_4xn_kernelILj128ELj1ELj16E21rocsparse_complex_numIdEEEvi20rocsparse_direction_NS_24const_host_device_scalarIT2_EEPKiS8_PKS5_SA_S6_PS5_21rocsparse_index_base_b.numbered_sgpr, 16
	.set _ZN9rocsparseL19gebsrmvn_4xn_kernelILj128ELj1ELj16E21rocsparse_complex_numIdEEEvi20rocsparse_direction_NS_24const_host_device_scalarIT2_EEPKiS8_PKS5_SA_S6_PS5_21rocsparse_index_base_b.num_named_barrier, 0
	.set _ZN9rocsparseL19gebsrmvn_4xn_kernelILj128ELj1ELj16E21rocsparse_complex_numIdEEEvi20rocsparse_direction_NS_24const_host_device_scalarIT2_EEPKiS8_PKS5_SA_S6_PS5_21rocsparse_index_base_b.private_seg_size, 0
	.set _ZN9rocsparseL19gebsrmvn_4xn_kernelILj128ELj1ELj16E21rocsparse_complex_numIdEEEvi20rocsparse_direction_NS_24const_host_device_scalarIT2_EEPKiS8_PKS5_SA_S6_PS5_21rocsparse_index_base_b.uses_vcc, 1
	.set _ZN9rocsparseL19gebsrmvn_4xn_kernelILj128ELj1ELj16E21rocsparse_complex_numIdEEEvi20rocsparse_direction_NS_24const_host_device_scalarIT2_EEPKiS8_PKS5_SA_S6_PS5_21rocsparse_index_base_b.uses_flat_scratch, 0
	.set _ZN9rocsparseL19gebsrmvn_4xn_kernelILj128ELj1ELj16E21rocsparse_complex_numIdEEEvi20rocsparse_direction_NS_24const_host_device_scalarIT2_EEPKiS8_PKS5_SA_S6_PS5_21rocsparse_index_base_b.has_dyn_sized_stack, 0
	.set _ZN9rocsparseL19gebsrmvn_4xn_kernelILj128ELj1ELj16E21rocsparse_complex_numIdEEEvi20rocsparse_direction_NS_24const_host_device_scalarIT2_EEPKiS8_PKS5_SA_S6_PS5_21rocsparse_index_base_b.has_recursion, 0
	.set _ZN9rocsparseL19gebsrmvn_4xn_kernelILj128ELj1ELj16E21rocsparse_complex_numIdEEEvi20rocsparse_direction_NS_24const_host_device_scalarIT2_EEPKiS8_PKS5_SA_S6_PS5_21rocsparse_index_base_b.has_indirect_call, 0
	.section	.AMDGPU.csdata,"",@progbits
; Kernel info:
; codeLenInByte = 2124
; TotalNumSgprs: 22
; NumVgprs: 54
; NumAgprs: 0
; TotalNumVgprs: 54
; ScratchSize: 0
; MemoryBound: 0
; FloatMode: 240
; IeeeMode: 1
; LDSByteSize: 0 bytes/workgroup (compile time only)
; SGPRBlocks: 2
; VGPRBlocks: 6
; NumSGPRsForWavesPerEU: 22
; NumVGPRsForWavesPerEU: 54
; AccumOffset: 56
; Occupancy: 8
; WaveLimiterHint : 1
; COMPUTE_PGM_RSRC2:SCRATCH_EN: 0
; COMPUTE_PGM_RSRC2:USER_SGPR: 2
; COMPUTE_PGM_RSRC2:TRAP_HANDLER: 0
; COMPUTE_PGM_RSRC2:TGID_X_EN: 1
; COMPUTE_PGM_RSRC2:TGID_Y_EN: 0
; COMPUTE_PGM_RSRC2:TGID_Z_EN: 0
; COMPUTE_PGM_RSRC2:TIDIG_COMP_CNT: 0
; COMPUTE_PGM_RSRC3_GFX90A:ACCUM_OFFSET: 13
; COMPUTE_PGM_RSRC3_GFX90A:TG_SPLIT: 0
	.section	.text._ZN9rocsparseL19gebsrmvn_4xn_kernelILj128ELj1ELj32E21rocsparse_complex_numIdEEEvi20rocsparse_direction_NS_24const_host_device_scalarIT2_EEPKiS8_PKS5_SA_S6_PS5_21rocsparse_index_base_b,"axG",@progbits,_ZN9rocsparseL19gebsrmvn_4xn_kernelILj128ELj1ELj32E21rocsparse_complex_numIdEEEvi20rocsparse_direction_NS_24const_host_device_scalarIT2_EEPKiS8_PKS5_SA_S6_PS5_21rocsparse_index_base_b,comdat
	.globl	_ZN9rocsparseL19gebsrmvn_4xn_kernelILj128ELj1ELj32E21rocsparse_complex_numIdEEEvi20rocsparse_direction_NS_24const_host_device_scalarIT2_EEPKiS8_PKS5_SA_S6_PS5_21rocsparse_index_base_b ; -- Begin function _ZN9rocsparseL19gebsrmvn_4xn_kernelILj128ELj1ELj32E21rocsparse_complex_numIdEEEvi20rocsparse_direction_NS_24const_host_device_scalarIT2_EEPKiS8_PKS5_SA_S6_PS5_21rocsparse_index_base_b
	.p2align	8
	.type	_ZN9rocsparseL19gebsrmvn_4xn_kernelILj128ELj1ELj32E21rocsparse_complex_numIdEEEvi20rocsparse_direction_NS_24const_host_device_scalarIT2_EEPKiS8_PKS5_SA_S6_PS5_21rocsparse_index_base_b,@function
_ZN9rocsparseL19gebsrmvn_4xn_kernelILj128ELj1ELj32E21rocsparse_complex_numIdEEEvi20rocsparse_direction_NS_24const_host_device_scalarIT2_EEPKiS8_PKS5_SA_S6_PS5_21rocsparse_index_base_b: ; @_ZN9rocsparseL19gebsrmvn_4xn_kernelILj128ELj1ELj32E21rocsparse_complex_numIdEEEvi20rocsparse_direction_NS_24const_host_device_scalarIT2_EEPKiS8_PKS5_SA_S6_PS5_21rocsparse_index_base_b
; %bb.0:
	s_load_dwordx2 s[4:5], s[0:1], 0x8
	s_load_dwordx2 s[6:7], s[0:1], 0x38
	;; [unrolled: 1-line block ×3, first 2 shown]
	s_add_u32 s3, s0, 8
	s_addc_u32 s8, s1, 0
	s_add_u32 s9, s0, 56
	s_addc_u32 s10, s1, 0
	s_waitcnt lgkmcnt(0)
	s_bitcmp1_b32 s13, 0
	s_cselect_b32 s5, s8, s5
	s_cselect_b32 s3, s3, s4
	v_mov_b32_e32 v2, s3
	v_mov_b32_e32 v3, s5
	flat_load_dwordx4 v[2:5], v[2:3]
	s_cselect_b32 s3, s10, s7
	s_cselect_b32 s4, s9, s6
	v_mov_b32_e32 v6, s4
	v_mov_b32_e32 v7, s3
	flat_load_dwordx4 v[6:9], v[6:7]
	s_waitcnt vmcnt(0) lgkmcnt(0)
	v_cmp_eq_f64_e32 vcc, 0, v[2:3]
	v_cmp_eq_f64_e64 s[4:5], 0, v[4:5]
	s_and_b64 s[8:9], vcc, s[4:5]
	s_mov_b64 s[4:5], -1
	s_and_saveexec_b64 s[6:7], s[8:9]
; %bb.1:
	v_cmp_neq_f64_e32 vcc, 1.0, v[6:7]
	v_cmp_neq_f64_e64 s[4:5], 0, v[8:9]
	s_or_b64 s[4:5], vcc, s[4:5]
	s_orn2_b64 s[4:5], s[4:5], exec
; %bb.2:
	s_or_b64 exec, exec, s[6:7]
	s_and_saveexec_b64 s[6:7], s[4:5]
	s_cbranch_execz .LBB114_21
; %bb.3:
	s_load_dwordx2 s[14:15], s[0:1], 0x0
	v_lshrrev_b32_e32 v1, 5, v0
	v_lshl_or_b32 v10, s2, 2, v1
	s_waitcnt lgkmcnt(0)
	v_cmp_gt_i32_e32 vcc, s14, v10
	s_and_b64 exec, exec, vcc
	s_cbranch_execz .LBB114_21
; %bb.4:
	s_load_dwordx8 s[4:11], s[0:1], 0x18
	v_ashrrev_i32_e32 v11, 31, v10
	s_cmp_lg_u32 s15, 0
	s_waitcnt lgkmcnt(0)
	v_lshl_add_u64 v[12:13], v[10:11], 2, s[4:5]
	global_load_dwordx2 v[12:13], v[12:13], off
	v_and_b32_e32 v11, 31, v0
	s_waitcnt vmcnt(0)
	v_subrev_u32_e32 v0, s12, v12
	v_subrev_u32_e32 v32, s12, v13
	v_add_u32_e32 v26, v0, v11
	v_cmp_lt_i32_e64 s[2:3], v26, v32
	s_cbranch_scc0 .LBB114_10
; %bb.5:
	v_mov_b64_e32 v[18:19], 0
	v_mov_b64_e32 v[24:25], 0
	;; [unrolled: 1-line block ×8, first 2 shown]
	s_and_saveexec_b64 s[4:5], s[2:3]
	s_cbranch_execz .LBB114_9
; %bb.6:
	v_lshlrev_b32_e32 v28, 2, v26
	v_mov_b64_e32 v[18:19], 0
	s_mov_b64 s[14:15], 0
	v_mov_b32_e32 v29, 0
	v_mov_b32_e32 v30, v26
	v_mov_b64_e32 v[24:25], 0
	v_mov_b64_e32 v[12:13], 0
	;; [unrolled: 1-line block ×7, first 2 shown]
.LBB114_7:                              ; =>This Inner Loop Header: Depth=1
	v_ashrrev_i32_e32 v31, 31, v30
	v_lshl_add_u64 v[34:35], v[30:31], 2, s[6:7]
	global_load_dword v27, v[34:35], off
	v_lshl_add_u64 v[50:51], v[28:29], 4, s[8:9]
	v_mov_b32_e32 v53, v29
	global_load_dwordx4 v[34:37], v[50:51], off offset:48
	global_load_dwordx4 v[38:41], v[50:51], off offset:32
	;; [unrolled: 1-line block ×3, first 2 shown]
	global_load_dwordx4 v[46:49], v[50:51], off
	v_add_u32_e32 v30, 32, v30
	v_cmp_ge_i32_e32 vcc, v30, v32
	v_add_u32_e32 v28, 0x80, v28
	s_or_b64 s[14:15], vcc, s[14:15]
	s_waitcnt vmcnt(4)
	v_subrev_u32_e32 v52, s12, v27
	v_lshl_add_u64 v[50:51], v[52:53], 4, s[10:11]
	global_load_dwordx4 v[50:53], v[50:51], off
	s_waitcnt vmcnt(0)
	v_fmac_f64_e32 v[24:25], v[46:47], v[50:51]
	v_fmac_f64_e32 v[18:19], v[48:49], v[50:51]
	;; [unrolled: 1-line block ×8, first 2 shown]
	v_fma_f64 v[24:25], -v[48:49], v[52:53], v[24:25]
	v_fmac_f64_e32 v[18:19], v[46:47], v[52:53]
	v_fma_f64 v[22:23], -v[44:45], v[52:53], v[22:23]
	v_fmac_f64_e32 v[20:21], v[42:43], v[52:53]
	;; [unrolled: 2-line block ×4, first 2 shown]
	s_andn2_b64 exec, exec, s[14:15]
	s_cbranch_execnz .LBB114_7
; %bb.8:
	s_or_b64 exec, exec, s[14:15]
.LBB114_9:
	s_or_b64 exec, exec, s[4:5]
	s_cbranch_execz .LBB114_11
	s_branch .LBB114_16
.LBB114_10:
                                        ; implicit-def: $vgpr18_vgpr19
                                        ; implicit-def: $vgpr24_vgpr25
                                        ; implicit-def: $vgpr12_vgpr13
                                        ; implicit-def: $vgpr0_vgpr1
                                        ; implicit-def: $vgpr16_vgpr17
                                        ; implicit-def: $vgpr14_vgpr15
                                        ; implicit-def: $vgpr22_vgpr23
                                        ; implicit-def: $vgpr20_vgpr21
.LBB114_11:
	v_mov_b64_e32 v[18:19], 0
	v_mov_b64_e32 v[24:25], 0
	;; [unrolled: 1-line block ×8, first 2 shown]
	s_and_saveexec_b64 s[4:5], s[2:3]
	s_cbranch_execz .LBB114_15
; %bb.12:
	v_lshlrev_b32_e32 v28, 2, v26
	v_mov_b64_e32 v[18:19], 0
	s_mov_b64 s[2:3], 0
	v_mov_b32_e32 v29, 0
	v_mov_b64_e32 v[24:25], 0
	v_mov_b64_e32 v[12:13], 0
	;; [unrolled: 1-line block ×7, first 2 shown]
.LBB114_13:                             ; =>This Inner Loop Header: Depth=1
	v_ashrrev_i32_e32 v27, 31, v26
	v_lshl_add_u64 v[30:31], v[26:27], 2, s[6:7]
	global_load_dword v27, v[30:31], off
	v_lshl_add_u64 v[30:31], v[28:29], 4, s[8:9]
	v_mov_b32_e32 v51, v29
	global_load_dwordx4 v[34:37], v[30:31], off offset:48
	global_load_dwordx4 v[38:41], v[30:31], off offset:32
	;; [unrolled: 1-line block ×3, first 2 shown]
	global_load_dwordx4 v[46:49], v[30:31], off
	v_add_u32_e32 v26, 32, v26
	v_cmp_ge_i32_e32 vcc, v26, v32
	v_add_u32_e32 v28, 0x80, v28
	s_or_b64 s[2:3], vcc, s[2:3]
	s_waitcnt vmcnt(4)
	v_subrev_u32_e32 v50, s12, v27
	v_lshl_add_u64 v[30:31], v[50:51], 4, s[10:11]
	global_load_dwordx4 v[50:53], v[30:31], off
	s_waitcnt vmcnt(0)
	v_fmac_f64_e32 v[24:25], v[46:47], v[50:51]
	v_fmac_f64_e32 v[18:19], v[48:49], v[50:51]
	;; [unrolled: 1-line block ×8, first 2 shown]
	v_fma_f64 v[24:25], -v[48:49], v[52:53], v[24:25]
	v_fmac_f64_e32 v[18:19], v[46:47], v[52:53]
	v_fma_f64 v[22:23], -v[44:45], v[52:53], v[22:23]
	v_fmac_f64_e32 v[20:21], v[42:43], v[52:53]
	;; [unrolled: 2-line block ×4, first 2 shown]
	s_andn2_b64 exec, exec, s[2:3]
	s_cbranch_execnz .LBB114_13
; %bb.14:
	s_or_b64 exec, exec, s[2:3]
.LBB114_15:
	s_or_b64 exec, exec, s[4:5]
.LBB114_16:
	v_mov_b32_dpp v28, v18 row_shr:1 row_mask:0xf bank_mask:0xf
	v_mov_b32_dpp v29, v19 row_shr:1 row_mask:0xf bank_mask:0xf
	v_add_f64 v[18:19], v[18:19], v[28:29]
	v_mov_b32_dpp v26, v24 row_shr:1 row_mask:0xf bank_mask:0xf
	v_mov_b32_dpp v27, v25 row_shr:1 row_mask:0xf bank_mask:0xf
	;; [unrolled: 1-line block ×4, first 2 shown]
	v_add_f64 v[18:19], v[18:19], v[28:29]
	v_add_f64 v[24:25], v[24:25], v[26:27]
	v_cmp_eq_u32_e32 vcc, 31, v11
	v_mov_b32_dpp v28, v18 row_shr:4 row_mask:0xf bank_mask:0xe
	v_mov_b32_dpp v29, v19 row_shr:4 row_mask:0xf bank_mask:0xe
	v_add_f64 v[18:19], v[18:19], v[28:29]
	v_mov_b32_dpp v26, v24 row_shr:2 row_mask:0xf bank_mask:0xf
	v_mov_b32_dpp v27, v25 row_shr:2 row_mask:0xf bank_mask:0xf
	;; [unrolled: 1-line block ×4, first 2 shown]
	v_add_f64 v[28:29], v[18:19], v[28:29]
	v_mov_b32_dpp v18, v22 row_shr:1 row_mask:0xf bank_mask:0xf
	v_mov_b32_dpp v19, v23 row_shr:1 row_mask:0xf bank_mask:0xf
	v_add_f64 v[18:19], v[22:23], v[18:19]
	v_add_f64 v[24:25], v[24:25], v[26:27]
	v_mov_b32_dpp v30, v28 row_bcast:15 row_mask:0xa bank_mask:0xf
	v_mov_b32_dpp v22, v18 row_shr:2 row_mask:0xf bank_mask:0xf
	v_mov_b32_dpp v23, v19 row_shr:2 row_mask:0xf bank_mask:0xf
	v_add_f64 v[18:19], v[18:19], v[22:23]
	v_mov_b32_dpp v26, v24 row_shr:4 row_mask:0xf bank_mask:0xe
	v_mov_b32_dpp v27, v25 row_shr:4 row_mask:0xf bank_mask:0xe
	;; [unrolled: 1-line block ×4, first 2 shown]
	v_add_f64 v[18:19], v[18:19], v[22:23]
	v_add_f64 v[24:25], v[24:25], v[26:27]
	v_mov_b32_dpp v31, v29 row_bcast:15 row_mask:0xa bank_mask:0xf
	v_mov_b32_dpp v22, v18 row_shr:8 row_mask:0xf bank_mask:0xc
	v_mov_b32_dpp v23, v19 row_shr:8 row_mask:0xf bank_mask:0xc
	v_add_f64 v[22:23], v[18:19], v[22:23]
	v_mov_b32_dpp v18, v20 row_shr:1 row_mask:0xf bank_mask:0xf
	v_mov_b32_dpp v19, v21 row_shr:1 row_mask:0xf bank_mask:0xf
	v_add_f64 v[18:19], v[20:21], v[18:19]
	v_mov_b32_dpp v26, v24 row_shr:8 row_mask:0xf bank_mask:0xc
	v_mov_b32_dpp v27, v25 row_shr:8 row_mask:0xf bank_mask:0xc
	;; [unrolled: 1-line block ×4, first 2 shown]
	v_add_f64 v[18:19], v[18:19], v[20:21]
	v_add_f64 v[24:25], v[24:25], v[26:27]
	v_mov_b32_dpp v32, v22 row_bcast:15 row_mask:0xa bank_mask:0xf
	v_mov_b32_dpp v20, v18 row_shr:4 row_mask:0xf bank_mask:0xe
	v_mov_b32_dpp v21, v19 row_shr:4 row_mask:0xf bank_mask:0xe
	v_add_f64 v[18:19], v[18:19], v[20:21]
	v_mov_b32_dpp v26, v24 row_bcast:15 row_mask:0xa bank_mask:0xf
	v_mov_b32_dpp v27, v25 row_bcast:15 row_mask:0xa bank_mask:0xf
	v_mov_b32_dpp v20, v18 row_shr:8 row_mask:0xf bank_mask:0xc
	v_mov_b32_dpp v21, v19 row_shr:8 row_mask:0xf bank_mask:0xc
	v_add_f64 v[20:21], v[18:19], v[20:21]
	v_mov_b32_dpp v18, v16 row_shr:1 row_mask:0xf bank_mask:0xf
	v_mov_b32_dpp v19, v17 row_shr:1 row_mask:0xf bank_mask:0xf
	v_add_f64 v[16:17], v[16:17], v[18:19]
	v_mov_b32_dpp v33, v23 row_bcast:15 row_mask:0xa bank_mask:0xf
	v_mov_b32_dpp v34, v20 row_bcast:15 row_mask:0xa bank_mask:0xf
	v_mov_b32_dpp v18, v16 row_shr:2 row_mask:0xf bank_mask:0xf
	v_mov_b32_dpp v19, v17 row_shr:2 row_mask:0xf bank_mask:0xf
	v_add_f64 v[16:17], v[16:17], v[18:19]
	v_mov_b32_dpp v35, v21 row_bcast:15 row_mask:0xa bank_mask:0xf
	s_nop 0
	v_mov_b32_dpp v18, v16 row_shr:4 row_mask:0xf bank_mask:0xe
	v_mov_b32_dpp v19, v17 row_shr:4 row_mask:0xf bank_mask:0xe
	v_add_f64 v[16:17], v[16:17], v[18:19]
	s_nop 1
	v_mov_b32_dpp v18, v16 row_shr:8 row_mask:0xf bank_mask:0xc
	v_mov_b32_dpp v19, v17 row_shr:8 row_mask:0xf bank_mask:0xc
	v_add_f64 v[16:17], v[16:17], v[18:19]
	v_mov_b32_dpp v18, v14 row_shr:1 row_mask:0xf bank_mask:0xf
	v_mov_b32_dpp v19, v15 row_shr:1 row_mask:0xf bank_mask:0xf
	v_add_f64 v[14:15], v[14:15], v[18:19]
	v_mov_b32_dpp v36, v16 row_bcast:15 row_mask:0xa bank_mask:0xf
	v_mov_b32_dpp v37, v17 row_bcast:15 row_mask:0xa bank_mask:0xf
	v_mov_b32_dpp v18, v14 row_shr:2 row_mask:0xf bank_mask:0xf
	v_mov_b32_dpp v19, v15 row_shr:2 row_mask:0xf bank_mask:0xf
	v_add_f64 v[14:15], v[14:15], v[18:19]
	s_nop 1
	v_mov_b32_dpp v18, v14 row_shr:4 row_mask:0xf bank_mask:0xe
	v_mov_b32_dpp v19, v15 row_shr:4 row_mask:0xf bank_mask:0xe
	v_add_f64 v[14:15], v[14:15], v[18:19]
	s_nop 1
	v_mov_b32_dpp v18, v14 row_shr:8 row_mask:0xf bank_mask:0xc
	v_mov_b32_dpp v19, v15 row_shr:8 row_mask:0xf bank_mask:0xc
	v_add_f64 v[38:39], v[14:15], v[18:19]
	v_mov_b32_dpp v14, v12 row_shr:1 row_mask:0xf bank_mask:0xf
	v_mov_b32_dpp v15, v13 row_shr:1 row_mask:0xf bank_mask:0xf
	v_add_f64 v[12:13], v[12:13], v[14:15]
	v_mov_b32_dpp v40, v38 row_bcast:15 row_mask:0xa bank_mask:0xf
	v_mov_b32_dpp v41, v39 row_bcast:15 row_mask:0xa bank_mask:0xf
	v_mov_b32_dpp v14, v12 row_shr:2 row_mask:0xf bank_mask:0xf
	v_mov_b32_dpp v15, v13 row_shr:2 row_mask:0xf bank_mask:0xf
	v_add_f64 v[12:13], v[12:13], v[14:15]
	;; [unrolled: 16-line block ×3, first 2 shown]
	s_nop 1
	v_mov_b32_dpp v12, v0 row_shr:4 row_mask:0xf bank_mask:0xe
	v_mov_b32_dpp v13, v1 row_shr:4 row_mask:0xf bank_mask:0xe
	v_add_f64 v[0:1], v[0:1], v[12:13]
	s_nop 1
	v_mov_b32_dpp v12, v0 row_shr:8 row_mask:0xf bank_mask:0xc
	v_mov_b32_dpp v13, v1 row_shr:8 row_mask:0xf bank_mask:0xc
	v_add_f64 v[46:47], v[0:1], v[12:13]
	s_nop 1
	v_mov_b32_dpp v48, v46 row_bcast:15 row_mask:0xa bank_mask:0xf
	v_mov_b32_dpp v49, v47 row_bcast:15 row_mask:0xa bank_mask:0xf
	s_and_b64 exec, exec, vcc
	s_cbranch_execz .LBB114_21
; %bb.17:
	s_load_dwordx2 s[2:3], s[0:1], 0x48
	v_cmp_eq_f64_e32 vcc, 0, v[6:7]
	v_cmp_eq_f64_e64 s[0:1], 0, v[8:9]
	v_add_f64 v[18:19], v[24:25], v[26:27]
	v_add_f64 v[24:25], v[28:29], v[30:31]
	;; [unrolled: 1-line block ×8, first 2 shown]
	s_and_b64 s[0:1], vcc, s[0:1]
	s_and_saveexec_b64 s[4:5], s[0:1]
	s_xor_b64 s[0:1], exec, s[4:5]
	s_cbranch_execz .LBB114_19
; %bb.18:
	v_lshlrev_b32_e32 v10, 2, v10
	v_mul_f64 v[6:7], v[24:25], -v[4:5]
	v_mul_f64 v[8:9], v[2:3], v[24:25]
	v_ashrrev_i32_e32 v11, 31, v10
	v_fmac_f64_e32 v[6:7], v[2:3], v[18:19]
	v_fmac_f64_e32 v[8:9], v[4:5], v[18:19]
	s_waitcnt lgkmcnt(0)
	v_lshl_add_u64 v[10:11], v[10:11], 4, s[2:3]
	global_store_dwordx4 v[10:11], v[6:9], off
                                        ; implicit-def: $vgpr18_vgpr19
                                        ; implicit-def: $vgpr24_vgpr25
	s_nop 1
	v_mul_f64 v[6:7], v[22:23], -v[4:5]
	v_mul_f64 v[8:9], v[2:3], v[22:23]
	v_fmac_f64_e32 v[6:7], v[2:3], v[14:15]
	v_fmac_f64_e32 v[8:9], v[4:5], v[14:15]
	global_store_dwordx4 v[10:11], v[6:9], off offset:16
                                        ; implicit-def: $vgpr14_vgpr15
                                        ; implicit-def: $vgpr22_vgpr23
	s_nop 1
	v_mul_f64 v[6:7], v[20:21], -v[4:5]
	v_mul_f64 v[8:9], v[2:3], v[20:21]
	v_fmac_f64_e32 v[6:7], v[2:3], v[12:13]
	v_fmac_f64_e32 v[8:9], v[4:5], v[12:13]
	global_store_dwordx4 v[10:11], v[6:9], off offset:32
                                        ; implicit-def: $vgpr12_vgpr13
                                        ; implicit-def: $vgpr20_vgpr21
	s_nop 1
	v_mul_f64 v[6:7], v[16:17], -v[4:5]
	v_mul_f64 v[8:9], v[2:3], v[16:17]
	v_fmac_f64_e32 v[6:7], v[2:3], v[0:1]
	v_fmac_f64_e32 v[8:9], v[4:5], v[0:1]
	global_store_dwordx4 v[10:11], v[6:9], off offset:48
                                        ; implicit-def: $vgpr10
                                        ; implicit-def: $vgpr0_vgpr1
                                        ; implicit-def: $vgpr16_vgpr17
                                        ; implicit-def: $vgpr8_vgpr9
                                        ; implicit-def: $vgpr4_vgpr5
.LBB114_19:
	s_andn2_saveexec_b64 s[0:1], s[0:1]
	s_cbranch_execz .LBB114_21
; %bb.20:
	v_lshlrev_b32_e32 v10, 2, v10
	v_ashrrev_i32_e32 v11, 31, v10
	s_waitcnt lgkmcnt(0)
	v_lshl_add_u64 v[46:47], v[10:11], 4, s[2:3]
	global_load_dwordx4 v[26:29], v[46:47], off
	global_load_dwordx4 v[30:33], v[46:47], off offset:16
	global_load_dwordx4 v[34:37], v[46:47], off offset:32
	global_load_dwordx4 v[38:41], v[46:47], off offset:48
	v_mul_f64 v[42:43], v[24:25], -v[4:5]
	v_mul_f64 v[24:25], v[2:3], v[24:25]
	v_mul_f64 v[48:49], v[22:23], -v[4:5]
	v_mul_f64 v[44:45], v[2:3], v[22:23]
	;; [unrolled: 2-line block ×4, first 2 shown]
	v_fmac_f64_e32 v[42:43], v[2:3], v[18:19]
	v_fmac_f64_e32 v[24:25], v[4:5], v[18:19]
	;; [unrolled: 1-line block ×8, first 2 shown]
	s_waitcnt vmcnt(3)
	v_fmac_f64_e32 v[42:43], v[6:7], v[26:27]
	v_fmac_f64_e32 v[24:25], v[8:9], v[26:27]
	s_waitcnt vmcnt(2)
	v_fmac_f64_e32 v[48:49], v[6:7], v[30:31]
	v_fmac_f64_e32 v[44:45], v[8:9], v[30:31]
	;; [unrolled: 3-line block ×4, first 2 shown]
	v_fma_f64 v[22:23], -v[8:9], v[28:29], v[42:43]
	v_fmac_f64_e32 v[24:25], v[6:7], v[28:29]
	v_fma_f64 v[42:43], -v[8:9], v[32:33], v[48:49]
	v_fmac_f64_e32 v[44:45], v[6:7], v[32:33]
	;; [unrolled: 2-line block ×4, first 2 shown]
	global_store_dwordx4 v[46:47], v[22:25], off
	global_store_dwordx4 v[46:47], v[42:45], off offset:16
	global_store_dwordx4 v[46:47], v[18:21], off offset:32
	;; [unrolled: 1-line block ×3, first 2 shown]
.LBB114_21:
	s_endpgm
	.section	.rodata,"a",@progbits
	.p2align	6, 0x0
	.amdhsa_kernel _ZN9rocsparseL19gebsrmvn_4xn_kernelILj128ELj1ELj32E21rocsparse_complex_numIdEEEvi20rocsparse_direction_NS_24const_host_device_scalarIT2_EEPKiS8_PKS5_SA_S6_PS5_21rocsparse_index_base_b
		.amdhsa_group_segment_fixed_size 0
		.amdhsa_private_segment_fixed_size 0
		.amdhsa_kernarg_size 88
		.amdhsa_user_sgpr_count 2
		.amdhsa_user_sgpr_dispatch_ptr 0
		.amdhsa_user_sgpr_queue_ptr 0
		.amdhsa_user_sgpr_kernarg_segment_ptr 1
		.amdhsa_user_sgpr_dispatch_id 0
		.amdhsa_user_sgpr_kernarg_preload_length 0
		.amdhsa_user_sgpr_kernarg_preload_offset 0
		.amdhsa_user_sgpr_private_segment_size 0
		.amdhsa_uses_dynamic_stack 0
		.amdhsa_enable_private_segment 0
		.amdhsa_system_sgpr_workgroup_id_x 1
		.amdhsa_system_sgpr_workgroup_id_y 0
		.amdhsa_system_sgpr_workgroup_id_z 0
		.amdhsa_system_sgpr_workgroup_info 0
		.amdhsa_system_vgpr_workitem_id 0
		.amdhsa_next_free_vgpr 54
		.amdhsa_next_free_sgpr 16
		.amdhsa_accum_offset 56
		.amdhsa_reserve_vcc 1
		.amdhsa_float_round_mode_32 0
		.amdhsa_float_round_mode_16_64 0
		.amdhsa_float_denorm_mode_32 3
		.amdhsa_float_denorm_mode_16_64 3
		.amdhsa_dx10_clamp 1
		.amdhsa_ieee_mode 1
		.amdhsa_fp16_overflow 0
		.amdhsa_tg_split 0
		.amdhsa_exception_fp_ieee_invalid_op 0
		.amdhsa_exception_fp_denorm_src 0
		.amdhsa_exception_fp_ieee_div_zero 0
		.amdhsa_exception_fp_ieee_overflow 0
		.amdhsa_exception_fp_ieee_underflow 0
		.amdhsa_exception_fp_ieee_inexact 0
		.amdhsa_exception_int_div_zero 0
	.end_amdhsa_kernel
	.section	.text._ZN9rocsparseL19gebsrmvn_4xn_kernelILj128ELj1ELj32E21rocsparse_complex_numIdEEEvi20rocsparse_direction_NS_24const_host_device_scalarIT2_EEPKiS8_PKS5_SA_S6_PS5_21rocsparse_index_base_b,"axG",@progbits,_ZN9rocsparseL19gebsrmvn_4xn_kernelILj128ELj1ELj32E21rocsparse_complex_numIdEEEvi20rocsparse_direction_NS_24const_host_device_scalarIT2_EEPKiS8_PKS5_SA_S6_PS5_21rocsparse_index_base_b,comdat
.Lfunc_end114:
	.size	_ZN9rocsparseL19gebsrmvn_4xn_kernelILj128ELj1ELj32E21rocsparse_complex_numIdEEEvi20rocsparse_direction_NS_24const_host_device_scalarIT2_EEPKiS8_PKS5_SA_S6_PS5_21rocsparse_index_base_b, .Lfunc_end114-_ZN9rocsparseL19gebsrmvn_4xn_kernelILj128ELj1ELj32E21rocsparse_complex_numIdEEEvi20rocsparse_direction_NS_24const_host_device_scalarIT2_EEPKiS8_PKS5_SA_S6_PS5_21rocsparse_index_base_b
                                        ; -- End function
	.set _ZN9rocsparseL19gebsrmvn_4xn_kernelILj128ELj1ELj32E21rocsparse_complex_numIdEEEvi20rocsparse_direction_NS_24const_host_device_scalarIT2_EEPKiS8_PKS5_SA_S6_PS5_21rocsparse_index_base_b.num_vgpr, 54
	.set _ZN9rocsparseL19gebsrmvn_4xn_kernelILj128ELj1ELj32E21rocsparse_complex_numIdEEEvi20rocsparse_direction_NS_24const_host_device_scalarIT2_EEPKiS8_PKS5_SA_S6_PS5_21rocsparse_index_base_b.num_agpr, 0
	.set _ZN9rocsparseL19gebsrmvn_4xn_kernelILj128ELj1ELj32E21rocsparse_complex_numIdEEEvi20rocsparse_direction_NS_24const_host_device_scalarIT2_EEPKiS8_PKS5_SA_S6_PS5_21rocsparse_index_base_b.numbered_sgpr, 16
	.set _ZN9rocsparseL19gebsrmvn_4xn_kernelILj128ELj1ELj32E21rocsparse_complex_numIdEEEvi20rocsparse_direction_NS_24const_host_device_scalarIT2_EEPKiS8_PKS5_SA_S6_PS5_21rocsparse_index_base_b.num_named_barrier, 0
	.set _ZN9rocsparseL19gebsrmvn_4xn_kernelILj128ELj1ELj32E21rocsparse_complex_numIdEEEvi20rocsparse_direction_NS_24const_host_device_scalarIT2_EEPKiS8_PKS5_SA_S6_PS5_21rocsparse_index_base_b.private_seg_size, 0
	.set _ZN9rocsparseL19gebsrmvn_4xn_kernelILj128ELj1ELj32E21rocsparse_complex_numIdEEEvi20rocsparse_direction_NS_24const_host_device_scalarIT2_EEPKiS8_PKS5_SA_S6_PS5_21rocsparse_index_base_b.uses_vcc, 1
	.set _ZN9rocsparseL19gebsrmvn_4xn_kernelILj128ELj1ELj32E21rocsparse_complex_numIdEEEvi20rocsparse_direction_NS_24const_host_device_scalarIT2_EEPKiS8_PKS5_SA_S6_PS5_21rocsparse_index_base_b.uses_flat_scratch, 0
	.set _ZN9rocsparseL19gebsrmvn_4xn_kernelILj128ELj1ELj32E21rocsparse_complex_numIdEEEvi20rocsparse_direction_NS_24const_host_device_scalarIT2_EEPKiS8_PKS5_SA_S6_PS5_21rocsparse_index_base_b.has_dyn_sized_stack, 0
	.set _ZN9rocsparseL19gebsrmvn_4xn_kernelILj128ELj1ELj32E21rocsparse_complex_numIdEEEvi20rocsparse_direction_NS_24const_host_device_scalarIT2_EEPKiS8_PKS5_SA_S6_PS5_21rocsparse_index_base_b.has_recursion, 0
	.set _ZN9rocsparseL19gebsrmvn_4xn_kernelILj128ELj1ELj32E21rocsparse_complex_numIdEEEvi20rocsparse_direction_NS_24const_host_device_scalarIT2_EEPKiS8_PKS5_SA_S6_PS5_21rocsparse_index_base_b.has_indirect_call, 0
	.section	.AMDGPU.csdata,"",@progbits
; Kernel info:
; codeLenInByte = 2348
; TotalNumSgprs: 22
; NumVgprs: 54
; NumAgprs: 0
; TotalNumVgprs: 54
; ScratchSize: 0
; MemoryBound: 0
; FloatMode: 240
; IeeeMode: 1
; LDSByteSize: 0 bytes/workgroup (compile time only)
; SGPRBlocks: 2
; VGPRBlocks: 6
; NumSGPRsForWavesPerEU: 22
; NumVGPRsForWavesPerEU: 54
; AccumOffset: 56
; Occupancy: 8
; WaveLimiterHint : 1
; COMPUTE_PGM_RSRC2:SCRATCH_EN: 0
; COMPUTE_PGM_RSRC2:USER_SGPR: 2
; COMPUTE_PGM_RSRC2:TRAP_HANDLER: 0
; COMPUTE_PGM_RSRC2:TGID_X_EN: 1
; COMPUTE_PGM_RSRC2:TGID_Y_EN: 0
; COMPUTE_PGM_RSRC2:TGID_Z_EN: 0
; COMPUTE_PGM_RSRC2:TIDIG_COMP_CNT: 0
; COMPUTE_PGM_RSRC3_GFX90A:ACCUM_OFFSET: 13
; COMPUTE_PGM_RSRC3_GFX90A:TG_SPLIT: 0
	.section	.text._ZN9rocsparseL19gebsrmvn_4xn_kernelILj128ELj1ELj64E21rocsparse_complex_numIdEEEvi20rocsparse_direction_NS_24const_host_device_scalarIT2_EEPKiS8_PKS5_SA_S6_PS5_21rocsparse_index_base_b,"axG",@progbits,_ZN9rocsparseL19gebsrmvn_4xn_kernelILj128ELj1ELj64E21rocsparse_complex_numIdEEEvi20rocsparse_direction_NS_24const_host_device_scalarIT2_EEPKiS8_PKS5_SA_S6_PS5_21rocsparse_index_base_b,comdat
	.globl	_ZN9rocsparseL19gebsrmvn_4xn_kernelILj128ELj1ELj64E21rocsparse_complex_numIdEEEvi20rocsparse_direction_NS_24const_host_device_scalarIT2_EEPKiS8_PKS5_SA_S6_PS5_21rocsparse_index_base_b ; -- Begin function _ZN9rocsparseL19gebsrmvn_4xn_kernelILj128ELj1ELj64E21rocsparse_complex_numIdEEEvi20rocsparse_direction_NS_24const_host_device_scalarIT2_EEPKiS8_PKS5_SA_S6_PS5_21rocsparse_index_base_b
	.p2align	8
	.type	_ZN9rocsparseL19gebsrmvn_4xn_kernelILj128ELj1ELj64E21rocsparse_complex_numIdEEEvi20rocsparse_direction_NS_24const_host_device_scalarIT2_EEPKiS8_PKS5_SA_S6_PS5_21rocsparse_index_base_b,@function
_ZN9rocsparseL19gebsrmvn_4xn_kernelILj128ELj1ELj64E21rocsparse_complex_numIdEEEvi20rocsparse_direction_NS_24const_host_device_scalarIT2_EEPKiS8_PKS5_SA_S6_PS5_21rocsparse_index_base_b: ; @_ZN9rocsparseL19gebsrmvn_4xn_kernelILj128ELj1ELj64E21rocsparse_complex_numIdEEEvi20rocsparse_direction_NS_24const_host_device_scalarIT2_EEPKiS8_PKS5_SA_S6_PS5_21rocsparse_index_base_b
; %bb.0:
	s_load_dwordx2 s[4:5], s[0:1], 0x8
	s_load_dwordx2 s[6:7], s[0:1], 0x38
	;; [unrolled: 1-line block ×3, first 2 shown]
	s_add_u32 s3, s0, 8
	s_addc_u32 s8, s1, 0
	s_add_u32 s9, s0, 56
	s_addc_u32 s10, s1, 0
	s_waitcnt lgkmcnt(0)
	s_bitcmp1_b32 s13, 0
	s_cselect_b32 s5, s8, s5
	s_cselect_b32 s3, s3, s4
	v_mov_b32_e32 v2, s3
	v_mov_b32_e32 v3, s5
	flat_load_dwordx4 v[2:5], v[2:3]
	s_cselect_b32 s3, s10, s7
	s_cselect_b32 s4, s9, s6
	v_mov_b32_e32 v6, s4
	v_mov_b32_e32 v7, s3
	flat_load_dwordx4 v[6:9], v[6:7]
	s_waitcnt vmcnt(0) lgkmcnt(0)
	v_cmp_eq_f64_e32 vcc, 0, v[2:3]
	v_cmp_eq_f64_e64 s[4:5], 0, v[4:5]
	s_and_b64 s[8:9], vcc, s[4:5]
	s_mov_b64 s[4:5], -1
	s_and_saveexec_b64 s[6:7], s[8:9]
; %bb.1:
	v_cmp_neq_f64_e32 vcc, 1.0, v[6:7]
	v_cmp_neq_f64_e64 s[4:5], 0, v[8:9]
	s_or_b64 s[4:5], vcc, s[4:5]
	s_orn2_b64 s[4:5], s[4:5], exec
; %bb.2:
	s_or_b64 exec, exec, s[6:7]
	s_and_saveexec_b64 s[6:7], s[4:5]
	s_cbranch_execz .LBB115_21
; %bb.3:
	s_load_dwordx2 s[14:15], s[0:1], 0x0
	v_lshrrev_b32_e32 v1, 6, v0
	v_lshl_or_b32 v10, s2, 1, v1
	s_waitcnt lgkmcnt(0)
	v_cmp_gt_i32_e32 vcc, s14, v10
	s_and_b64 exec, exec, vcc
	s_cbranch_execz .LBB115_21
; %bb.4:
	s_load_dwordx8 s[4:11], s[0:1], 0x18
	v_ashrrev_i32_e32 v11, 31, v10
	s_cmp_lg_u32 s15, 0
	s_waitcnt lgkmcnt(0)
	v_lshl_add_u64 v[12:13], v[10:11], 2, s[4:5]
	global_load_dwordx2 v[12:13], v[12:13], off
	v_and_b32_e32 v11, 63, v0
	s_waitcnt vmcnt(0)
	v_subrev_u32_e32 v0, s12, v12
	v_subrev_u32_e32 v32, s12, v13
	v_add_u32_e32 v26, v0, v11
	v_cmp_lt_i32_e64 s[2:3], v26, v32
	s_cbranch_scc0 .LBB115_10
; %bb.5:
	v_mov_b64_e32 v[20:21], 0
	v_mov_b64_e32 v[24:25], 0
	;; [unrolled: 1-line block ×8, first 2 shown]
	s_and_saveexec_b64 s[4:5], s[2:3]
	s_cbranch_execz .LBB115_9
; %bb.6:
	v_lshlrev_b32_e32 v28, 2, v26
	v_mov_b64_e32 v[20:21], 0
	s_mov_b64 s[14:15], 0
	v_mov_b32_e32 v29, 0
	v_mov_b32_e32 v30, v26
	v_mov_b64_e32 v[24:25], 0
	v_mov_b64_e32 v[12:13], 0
	;; [unrolled: 1-line block ×7, first 2 shown]
.LBB115_7:                              ; =>This Inner Loop Header: Depth=1
	v_ashrrev_i32_e32 v31, 31, v30
	v_lshl_add_u64 v[34:35], v[30:31], 2, s[6:7]
	global_load_dword v27, v[34:35], off
	v_lshl_add_u64 v[50:51], v[28:29], 4, s[8:9]
	v_mov_b32_e32 v53, v29
	global_load_dwordx4 v[34:37], v[50:51], off offset:48
	global_load_dwordx4 v[38:41], v[50:51], off offset:32
	;; [unrolled: 1-line block ×3, first 2 shown]
	global_load_dwordx4 v[46:49], v[50:51], off
	v_add_u32_e32 v30, 64, v30
	v_cmp_ge_i32_e32 vcc, v30, v32
	v_add_u32_e32 v28, 0x100, v28
	s_or_b64 s[14:15], vcc, s[14:15]
	s_waitcnt vmcnt(4)
	v_subrev_u32_e32 v52, s12, v27
	v_lshl_add_u64 v[50:51], v[52:53], 4, s[10:11]
	global_load_dwordx4 v[50:53], v[50:51], off
	s_waitcnt vmcnt(0)
	v_fmac_f64_e32 v[24:25], v[46:47], v[50:51]
	v_fmac_f64_e32 v[20:21], v[48:49], v[50:51]
	;; [unrolled: 1-line block ×8, first 2 shown]
	v_fma_f64 v[24:25], -v[48:49], v[52:53], v[24:25]
	v_fmac_f64_e32 v[20:21], v[46:47], v[52:53]
	v_fma_f64 v[22:23], -v[44:45], v[52:53], v[22:23]
	v_fmac_f64_e32 v[18:19], v[42:43], v[52:53]
	;; [unrolled: 2-line block ×4, first 2 shown]
	s_andn2_b64 exec, exec, s[14:15]
	s_cbranch_execnz .LBB115_7
; %bb.8:
	s_or_b64 exec, exec, s[14:15]
.LBB115_9:
	s_or_b64 exec, exec, s[4:5]
	s_cbranch_execz .LBB115_11
	s_branch .LBB115_16
.LBB115_10:
                                        ; implicit-def: $vgpr20_vgpr21
                                        ; implicit-def: $vgpr24_vgpr25
                                        ; implicit-def: $vgpr12_vgpr13
                                        ; implicit-def: $vgpr0_vgpr1
                                        ; implicit-def: $vgpr16_vgpr17
                                        ; implicit-def: $vgpr14_vgpr15
                                        ; implicit-def: $vgpr22_vgpr23
                                        ; implicit-def: $vgpr18_vgpr19
.LBB115_11:
	v_mov_b64_e32 v[20:21], 0
	v_mov_b64_e32 v[24:25], 0
	;; [unrolled: 1-line block ×8, first 2 shown]
	s_and_saveexec_b64 s[4:5], s[2:3]
	s_cbranch_execz .LBB115_15
; %bb.12:
	v_lshlrev_b32_e32 v28, 2, v26
	v_mov_b64_e32 v[20:21], 0
	s_mov_b64 s[2:3], 0
	v_mov_b32_e32 v29, 0
	v_mov_b64_e32 v[24:25], 0
	v_mov_b64_e32 v[12:13], 0
	v_mov_b64_e32 v[0:1], 0
	v_mov_b64_e32 v[16:17], 0
	v_mov_b64_e32 v[14:15], 0
	v_mov_b64_e32 v[22:23], 0
	v_mov_b64_e32 v[18:19], 0
.LBB115_13:                             ; =>This Inner Loop Header: Depth=1
	v_ashrrev_i32_e32 v27, 31, v26
	v_lshl_add_u64 v[30:31], v[26:27], 2, s[6:7]
	global_load_dword v27, v[30:31], off
	v_lshl_add_u64 v[30:31], v[28:29], 4, s[8:9]
	v_mov_b32_e32 v51, v29
	global_load_dwordx4 v[34:37], v[30:31], off offset:48
	global_load_dwordx4 v[38:41], v[30:31], off offset:32
	;; [unrolled: 1-line block ×3, first 2 shown]
	global_load_dwordx4 v[46:49], v[30:31], off
	v_add_u32_e32 v26, 64, v26
	v_cmp_ge_i32_e32 vcc, v26, v32
	v_add_u32_e32 v28, 0x100, v28
	s_or_b64 s[2:3], vcc, s[2:3]
	s_waitcnt vmcnt(4)
	v_subrev_u32_e32 v50, s12, v27
	v_lshl_add_u64 v[30:31], v[50:51], 4, s[10:11]
	global_load_dwordx4 v[50:53], v[30:31], off
	s_waitcnt vmcnt(0)
	v_fmac_f64_e32 v[24:25], v[46:47], v[50:51]
	v_fmac_f64_e32 v[20:21], v[48:49], v[50:51]
	;; [unrolled: 1-line block ×8, first 2 shown]
	v_fma_f64 v[24:25], -v[48:49], v[52:53], v[24:25]
	v_fmac_f64_e32 v[20:21], v[46:47], v[52:53]
	v_fma_f64 v[22:23], -v[44:45], v[52:53], v[22:23]
	v_fmac_f64_e32 v[18:19], v[42:43], v[52:53]
	;; [unrolled: 2-line block ×4, first 2 shown]
	s_andn2_b64 exec, exec, s[2:3]
	s_cbranch_execnz .LBB115_13
; %bb.14:
	s_or_b64 exec, exec, s[2:3]
.LBB115_15:
	s_or_b64 exec, exec, s[4:5]
.LBB115_16:
	v_mov_b32_dpp v32, v18 row_shr:1 row_mask:0xf bank_mask:0xf
	v_mov_b32_dpp v33, v19 row_shr:1 row_mask:0xf bank_mask:0xf
	v_add_f64 v[18:19], v[18:19], v[32:33]
	v_mov_b32_dpp v26, v24 row_shr:1 row_mask:0xf bank_mask:0xf
	v_mov_b32_dpp v27, v25 row_shr:1 row_mask:0xf bank_mask:0xf
	v_mov_b32_dpp v32, v18 row_shr:2 row_mask:0xf bank_mask:0xf
	v_mov_b32_dpp v33, v19 row_shr:2 row_mask:0xf bank_mask:0xf
	v_add_f64 v[18:19], v[18:19], v[32:33]
	v_mov_b32_dpp v28, v20 row_shr:1 row_mask:0xf bank_mask:0xf
	v_mov_b32_dpp v29, v21 row_shr:1 row_mask:0xf bank_mask:0xf
	;; [unrolled: 5-line block ×3, first 2 shown]
	v_mov_b32_dpp v32, v18 row_shr:8 row_mask:0xf bank_mask:0xc
	v_mov_b32_dpp v33, v19 row_shr:8 row_mask:0xf bank_mask:0xc
	v_add_f64 v[18:19], v[18:19], v[32:33]
	v_add_f64 v[24:25], v[24:25], v[26:27]
	;; [unrolled: 1-line block ×3, first 2 shown]
	v_mov_b32_dpp v32, v18 row_bcast:15 row_mask:0xa bank_mask:0xf
	v_mov_b32_dpp v33, v19 row_bcast:15 row_mask:0xa bank_mask:0xf
	v_add_f64 v[32:33], v[18:19], v[32:33]
	v_mov_b32_dpp v18, v16 row_shr:1 row_mask:0xf bank_mask:0xf
	v_mov_b32_dpp v19, v17 row_shr:1 row_mask:0xf bank_mask:0xf
	v_add_f64 v[16:17], v[16:17], v[18:19]
	v_add_f64 v[22:23], v[22:23], v[30:31]
	v_mov_b32_dpp v26, v24 row_shr:2 row_mask:0xf bank_mask:0xf
	v_mov_b32_dpp v18, v16 row_shr:2 row_mask:0xf bank_mask:0xf
	v_mov_b32_dpp v19, v17 row_shr:2 row_mask:0xf bank_mask:0xf
	v_add_f64 v[16:17], v[16:17], v[18:19]
	v_mov_b32_dpp v27, v25 row_shr:2 row_mask:0xf bank_mask:0xf
	v_mov_b32_dpp v28, v20 row_shr:2 row_mask:0xf bank_mask:0xf
	v_mov_b32_dpp v18, v16 row_shr:4 row_mask:0xf bank_mask:0xe
	v_mov_b32_dpp v19, v17 row_shr:4 row_mask:0xf bank_mask:0xe
	v_add_f64 v[16:17], v[16:17], v[18:19]
	v_mov_b32_dpp v29, v21 row_shr:2 row_mask:0xf bank_mask:0xf
	;; [unrolled: 5-line block ×3, first 2 shown]
	v_add_f64 v[24:25], v[24:25], v[26:27]
	v_mov_b32_dpp v18, v16 row_bcast:15 row_mask:0xa bank_mask:0xf
	v_mov_b32_dpp v19, v17 row_bcast:15 row_mask:0xa bank_mask:0xf
	v_add_f64 v[16:17], v[16:17], v[18:19]
	v_mov_b32_dpp v18, v14 row_shr:1 row_mask:0xf bank_mask:0xf
	v_mov_b32_dpp v19, v15 row_shr:1 row_mask:0xf bank_mask:0xf
	v_add_f64 v[14:15], v[14:15], v[18:19]
	v_add_f64 v[20:21], v[20:21], v[28:29]
	;; [unrolled: 1-line block ×3, first 2 shown]
	v_mov_b32_dpp v18, v14 row_shr:2 row_mask:0xf bank_mask:0xf
	v_mov_b32_dpp v19, v15 row_shr:2 row_mask:0xf bank_mask:0xf
	v_add_f64 v[14:15], v[14:15], v[18:19]
	v_mov_b32_dpp v26, v24 row_shr:4 row_mask:0xf bank_mask:0xe
	v_mov_b32_dpp v27, v25 row_shr:4 row_mask:0xf bank_mask:0xe
	v_mov_b32_dpp v18, v14 row_shr:4 row_mask:0xf bank_mask:0xe
	v_mov_b32_dpp v19, v15 row_shr:4 row_mask:0xf bank_mask:0xe
	v_add_f64 v[14:15], v[14:15], v[18:19]
	v_mov_b32_dpp v28, v20 row_shr:4 row_mask:0xf bank_mask:0xe
	v_mov_b32_dpp v29, v21 row_shr:4 row_mask:0xf bank_mask:0xe
	;; [unrolled: 5-line block ×3, first 2 shown]
	v_mov_b32_dpp v18, v14 row_bcast:15 row_mask:0xa bank_mask:0xf
	v_mov_b32_dpp v19, v15 row_bcast:15 row_mask:0xa bank_mask:0xf
	v_add_f64 v[38:39], v[14:15], v[18:19]
	v_mov_b32_dpp v14, v12 row_shr:1 row_mask:0xf bank_mask:0xf
	v_mov_b32_dpp v15, v13 row_shr:1 row_mask:0xf bank_mask:0xf
	v_add_f64 v[12:13], v[12:13], v[14:15]
	v_add_f64 v[24:25], v[24:25], v[26:27]
	;; [unrolled: 1-line block ×3, first 2 shown]
	v_mov_b32_dpp v14, v12 row_shr:2 row_mask:0xf bank_mask:0xf
	v_mov_b32_dpp v15, v13 row_shr:2 row_mask:0xf bank_mask:0xf
	v_add_f64 v[12:13], v[12:13], v[14:15]
	v_add_f64 v[22:23], v[22:23], v[30:31]
	v_mov_b32_dpp v26, v24 row_shr:8 row_mask:0xf bank_mask:0xc
	v_mov_b32_dpp v14, v12 row_shr:4 row_mask:0xf bank_mask:0xe
	;; [unrolled: 1-line block ×3, first 2 shown]
	v_add_f64 v[12:13], v[12:13], v[14:15]
	v_mov_b32_dpp v27, v25 row_shr:8 row_mask:0xf bank_mask:0xc
	v_mov_b32_dpp v28, v20 row_shr:8 row_mask:0xf bank_mask:0xc
	;; [unrolled: 1-line block ×4, first 2 shown]
	v_add_f64 v[12:13], v[12:13], v[14:15]
	v_mov_b32_dpp v29, v21 row_shr:8 row_mask:0xf bank_mask:0xc
	v_mov_b32_dpp v30, v22 row_shr:8 row_mask:0xf bank_mask:0xc
	v_mov_b32_dpp v14, v12 row_bcast:15 row_mask:0xa bank_mask:0xf
	v_mov_b32_dpp v15, v13 row_bcast:15 row_mask:0xa bank_mask:0xf
	v_add_f64 v[42:43], v[12:13], v[14:15]
	v_mov_b32_dpp v12, v0 row_shr:1 row_mask:0xf bank_mask:0xf
	v_mov_b32_dpp v13, v1 row_shr:1 row_mask:0xf bank_mask:0xf
	v_add_f64 v[0:1], v[0:1], v[12:13]
	v_mov_b32_dpp v31, v23 row_shr:8 row_mask:0xf bank_mask:0xc
	v_add_f64 v[24:25], v[24:25], v[26:27]
	v_mov_b32_dpp v12, v0 row_shr:2 row_mask:0xf bank_mask:0xf
	v_mov_b32_dpp v13, v1 row_shr:2 row_mask:0xf bank_mask:0xf
	v_add_f64 v[0:1], v[0:1], v[12:13]
	v_add_f64 v[20:21], v[20:21], v[28:29]
	;; [unrolled: 1-line block ×3, first 2 shown]
	v_mov_b32_dpp v12, v0 row_shr:4 row_mask:0xf bank_mask:0xe
	v_mov_b32_dpp v13, v1 row_shr:4 row_mask:0xf bank_mask:0xe
	v_add_f64 v[0:1], v[0:1], v[12:13]
	v_mov_b32_dpp v26, v24 row_bcast:15 row_mask:0xa bank_mask:0xf
	v_mov_b32_dpp v27, v25 row_bcast:15 row_mask:0xa bank_mask:0xf
	v_mov_b32_dpp v12, v0 row_shr:8 row_mask:0xf bank_mask:0xc
	v_mov_b32_dpp v13, v1 row_shr:8 row_mask:0xf bank_mask:0xc
	v_add_f64 v[0:1], v[0:1], v[12:13]
	v_mov_b32_dpp v28, v20 row_bcast:15 row_mask:0xa bank_mask:0xf
	v_mov_b32_dpp v29, v21 row_bcast:15 row_mask:0xa bank_mask:0xf
	;; [unrolled: 1-line block ×6, first 2 shown]
	v_add_f64 v[24:25], v[24:25], v[26:27]
	v_add_f64 v[20:21], v[20:21], v[28:29]
	v_add_f64 v[22:23], v[22:23], v[30:31]
	v_add_f64 v[46:47], v[0:1], v[12:13]
	v_mov_b32_dpp v26, v24 row_bcast:31 row_mask:0xc bank_mask:0xf
	v_mov_b32_dpp v27, v25 row_bcast:31 row_mask:0xc bank_mask:0xf
	v_mov_b32_dpp v28, v20 row_bcast:31 row_mask:0xc bank_mask:0xf
	v_mov_b32_dpp v29, v21 row_bcast:31 row_mask:0xc bank_mask:0xf
	v_mov_b32_dpp v30, v22 row_bcast:31 row_mask:0xc bank_mask:0xf
	v_mov_b32_dpp v31, v23 row_bcast:31 row_mask:0xc bank_mask:0xf
	v_mov_b32_dpp v34, v32 row_bcast:31 row_mask:0xc bank_mask:0xf
	v_mov_b32_dpp v35, v33 row_bcast:31 row_mask:0xc bank_mask:0xf
	v_mov_b32_dpp v36, v16 row_bcast:31 row_mask:0xc bank_mask:0xf
	v_mov_b32_dpp v37, v17 row_bcast:31 row_mask:0xc bank_mask:0xf
	v_mov_b32_dpp v40, v38 row_bcast:31 row_mask:0xc bank_mask:0xf
	v_mov_b32_dpp v41, v39 row_bcast:31 row_mask:0xc bank_mask:0xf
	v_mov_b32_dpp v44, v42 row_bcast:31 row_mask:0xc bank_mask:0xf
	v_mov_b32_dpp v45, v43 row_bcast:31 row_mask:0xc bank_mask:0xf
	v_mov_b32_dpp v48, v46 row_bcast:31 row_mask:0xc bank_mask:0xf
	v_mov_b32_dpp v49, v47 row_bcast:31 row_mask:0xc bank_mask:0xf
	v_cmp_eq_u32_e32 vcc, 63, v11
	s_and_b64 exec, exec, vcc
	s_cbranch_execz .LBB115_21
; %bb.17:
	s_load_dwordx2 s[2:3], s[0:1], 0x48
	v_cmp_eq_f64_e32 vcc, 0, v[6:7]
	v_cmp_eq_f64_e64 s[0:1], 0, v[8:9]
	v_add_f64 v[18:19], v[24:25], v[26:27]
	v_add_f64 v[24:25], v[20:21], v[28:29]
	v_add_f64 v[14:15], v[22:23], v[30:31]
	v_add_f64 v[22:23], v[32:33], v[34:35]
	v_add_f64 v[12:13], v[16:17], v[36:37]
	v_add_f64 v[20:21], v[38:39], v[40:41]
	v_add_f64 v[0:1], v[42:43], v[44:45]
	v_add_f64 v[16:17], v[46:47], v[48:49]
	s_and_b64 s[0:1], vcc, s[0:1]
	s_and_saveexec_b64 s[4:5], s[0:1]
	s_xor_b64 s[0:1], exec, s[4:5]
	s_cbranch_execz .LBB115_19
; %bb.18:
	v_lshlrev_b32_e32 v10, 2, v10
	v_mul_f64 v[6:7], v[24:25], -v[4:5]
	v_mul_f64 v[8:9], v[2:3], v[24:25]
	v_ashrrev_i32_e32 v11, 31, v10
	v_fmac_f64_e32 v[6:7], v[2:3], v[18:19]
	v_fmac_f64_e32 v[8:9], v[4:5], v[18:19]
	s_waitcnt lgkmcnt(0)
	v_lshl_add_u64 v[10:11], v[10:11], 4, s[2:3]
	global_store_dwordx4 v[10:11], v[6:9], off
                                        ; implicit-def: $vgpr18_vgpr19
                                        ; implicit-def: $vgpr24_vgpr25
	s_nop 1
	v_mul_f64 v[6:7], v[22:23], -v[4:5]
	v_mul_f64 v[8:9], v[2:3], v[22:23]
	v_fmac_f64_e32 v[6:7], v[2:3], v[14:15]
	v_fmac_f64_e32 v[8:9], v[4:5], v[14:15]
	global_store_dwordx4 v[10:11], v[6:9], off offset:16
                                        ; implicit-def: $vgpr14_vgpr15
                                        ; implicit-def: $vgpr22_vgpr23
	s_nop 1
	v_mul_f64 v[6:7], v[20:21], -v[4:5]
	v_mul_f64 v[8:9], v[2:3], v[20:21]
	v_fmac_f64_e32 v[6:7], v[2:3], v[12:13]
	v_fmac_f64_e32 v[8:9], v[4:5], v[12:13]
	global_store_dwordx4 v[10:11], v[6:9], off offset:32
                                        ; implicit-def: $vgpr12_vgpr13
                                        ; implicit-def: $vgpr20_vgpr21
	s_nop 1
	v_mul_f64 v[6:7], v[16:17], -v[4:5]
	v_mul_f64 v[8:9], v[2:3], v[16:17]
	v_fmac_f64_e32 v[6:7], v[2:3], v[0:1]
	v_fmac_f64_e32 v[8:9], v[4:5], v[0:1]
	global_store_dwordx4 v[10:11], v[6:9], off offset:48
                                        ; implicit-def: $vgpr10
                                        ; implicit-def: $vgpr0_vgpr1
                                        ; implicit-def: $vgpr16_vgpr17
                                        ; implicit-def: $vgpr8_vgpr9
                                        ; implicit-def: $vgpr4_vgpr5
.LBB115_19:
	s_andn2_saveexec_b64 s[0:1], s[0:1]
	s_cbranch_execz .LBB115_21
; %bb.20:
	v_lshlrev_b32_e32 v10, 2, v10
	v_ashrrev_i32_e32 v11, 31, v10
	s_waitcnt lgkmcnt(0)
	v_lshl_add_u64 v[46:47], v[10:11], 4, s[2:3]
	global_load_dwordx4 v[26:29], v[46:47], off
	global_load_dwordx4 v[30:33], v[46:47], off offset:16
	global_load_dwordx4 v[34:37], v[46:47], off offset:32
	;; [unrolled: 1-line block ×3, first 2 shown]
	v_mul_f64 v[42:43], v[24:25], -v[4:5]
	v_mul_f64 v[24:25], v[2:3], v[24:25]
	v_mul_f64 v[48:49], v[22:23], -v[4:5]
	v_mul_f64 v[44:45], v[2:3], v[22:23]
	v_mul_f64 v[50:51], v[20:21], -v[4:5]
	v_mul_f64 v[20:21], v[2:3], v[20:21]
	v_mul_f64 v[52:53], v[16:17], -v[4:5]
	v_mul_f64 v[10:11], v[2:3], v[16:17]
	v_fmac_f64_e32 v[42:43], v[2:3], v[18:19]
	v_fmac_f64_e32 v[24:25], v[4:5], v[18:19]
	;; [unrolled: 1-line block ×8, first 2 shown]
	s_waitcnt vmcnt(3)
	v_fmac_f64_e32 v[42:43], v[6:7], v[26:27]
	v_fmac_f64_e32 v[24:25], v[8:9], v[26:27]
	s_waitcnt vmcnt(2)
	v_fmac_f64_e32 v[48:49], v[6:7], v[30:31]
	v_fmac_f64_e32 v[44:45], v[8:9], v[30:31]
	;; [unrolled: 3-line block ×4, first 2 shown]
	v_fma_f64 v[22:23], -v[8:9], v[28:29], v[42:43]
	v_fmac_f64_e32 v[24:25], v[6:7], v[28:29]
	v_fma_f64 v[42:43], -v[8:9], v[32:33], v[48:49]
	v_fmac_f64_e32 v[44:45], v[6:7], v[32:33]
	;; [unrolled: 2-line block ×4, first 2 shown]
	global_store_dwordx4 v[46:47], v[22:25], off
	global_store_dwordx4 v[46:47], v[42:45], off offset:16
	global_store_dwordx4 v[46:47], v[18:21], off offset:32
	;; [unrolled: 1-line block ×3, first 2 shown]
.LBB115_21:
	s_endpgm
	.section	.rodata,"a",@progbits
	.p2align	6, 0x0
	.amdhsa_kernel _ZN9rocsparseL19gebsrmvn_4xn_kernelILj128ELj1ELj64E21rocsparse_complex_numIdEEEvi20rocsparse_direction_NS_24const_host_device_scalarIT2_EEPKiS8_PKS5_SA_S6_PS5_21rocsparse_index_base_b
		.amdhsa_group_segment_fixed_size 0
		.amdhsa_private_segment_fixed_size 0
		.amdhsa_kernarg_size 88
		.amdhsa_user_sgpr_count 2
		.amdhsa_user_sgpr_dispatch_ptr 0
		.amdhsa_user_sgpr_queue_ptr 0
		.amdhsa_user_sgpr_kernarg_segment_ptr 1
		.amdhsa_user_sgpr_dispatch_id 0
		.amdhsa_user_sgpr_kernarg_preload_length 0
		.amdhsa_user_sgpr_kernarg_preload_offset 0
		.amdhsa_user_sgpr_private_segment_size 0
		.amdhsa_uses_dynamic_stack 0
		.amdhsa_enable_private_segment 0
		.amdhsa_system_sgpr_workgroup_id_x 1
		.amdhsa_system_sgpr_workgroup_id_y 0
		.amdhsa_system_sgpr_workgroup_id_z 0
		.amdhsa_system_sgpr_workgroup_info 0
		.amdhsa_system_vgpr_workitem_id 0
		.amdhsa_next_free_vgpr 54
		.amdhsa_next_free_sgpr 16
		.amdhsa_accum_offset 56
		.amdhsa_reserve_vcc 1
		.amdhsa_float_round_mode_32 0
		.amdhsa_float_round_mode_16_64 0
		.amdhsa_float_denorm_mode_32 3
		.amdhsa_float_denorm_mode_16_64 3
		.amdhsa_dx10_clamp 1
		.amdhsa_ieee_mode 1
		.amdhsa_fp16_overflow 0
		.amdhsa_tg_split 0
		.amdhsa_exception_fp_ieee_invalid_op 0
		.amdhsa_exception_fp_denorm_src 0
		.amdhsa_exception_fp_ieee_div_zero 0
		.amdhsa_exception_fp_ieee_overflow 0
		.amdhsa_exception_fp_ieee_underflow 0
		.amdhsa_exception_fp_ieee_inexact 0
		.amdhsa_exception_int_div_zero 0
	.end_amdhsa_kernel
	.section	.text._ZN9rocsparseL19gebsrmvn_4xn_kernelILj128ELj1ELj64E21rocsparse_complex_numIdEEEvi20rocsparse_direction_NS_24const_host_device_scalarIT2_EEPKiS8_PKS5_SA_S6_PS5_21rocsparse_index_base_b,"axG",@progbits,_ZN9rocsparseL19gebsrmvn_4xn_kernelILj128ELj1ELj64E21rocsparse_complex_numIdEEEvi20rocsparse_direction_NS_24const_host_device_scalarIT2_EEPKiS8_PKS5_SA_S6_PS5_21rocsparse_index_base_b,comdat
.Lfunc_end115:
	.size	_ZN9rocsparseL19gebsrmvn_4xn_kernelILj128ELj1ELj64E21rocsparse_complex_numIdEEEvi20rocsparse_direction_NS_24const_host_device_scalarIT2_EEPKiS8_PKS5_SA_S6_PS5_21rocsparse_index_base_b, .Lfunc_end115-_ZN9rocsparseL19gebsrmvn_4xn_kernelILj128ELj1ELj64E21rocsparse_complex_numIdEEEvi20rocsparse_direction_NS_24const_host_device_scalarIT2_EEPKiS8_PKS5_SA_S6_PS5_21rocsparse_index_base_b
                                        ; -- End function
	.set _ZN9rocsparseL19gebsrmvn_4xn_kernelILj128ELj1ELj64E21rocsparse_complex_numIdEEEvi20rocsparse_direction_NS_24const_host_device_scalarIT2_EEPKiS8_PKS5_SA_S6_PS5_21rocsparse_index_base_b.num_vgpr, 54
	.set _ZN9rocsparseL19gebsrmvn_4xn_kernelILj128ELj1ELj64E21rocsparse_complex_numIdEEEvi20rocsparse_direction_NS_24const_host_device_scalarIT2_EEPKiS8_PKS5_SA_S6_PS5_21rocsparse_index_base_b.num_agpr, 0
	.set _ZN9rocsparseL19gebsrmvn_4xn_kernelILj128ELj1ELj64E21rocsparse_complex_numIdEEEvi20rocsparse_direction_NS_24const_host_device_scalarIT2_EEPKiS8_PKS5_SA_S6_PS5_21rocsparse_index_base_b.numbered_sgpr, 16
	.set _ZN9rocsparseL19gebsrmvn_4xn_kernelILj128ELj1ELj64E21rocsparse_complex_numIdEEEvi20rocsparse_direction_NS_24const_host_device_scalarIT2_EEPKiS8_PKS5_SA_S6_PS5_21rocsparse_index_base_b.num_named_barrier, 0
	.set _ZN9rocsparseL19gebsrmvn_4xn_kernelILj128ELj1ELj64E21rocsparse_complex_numIdEEEvi20rocsparse_direction_NS_24const_host_device_scalarIT2_EEPKiS8_PKS5_SA_S6_PS5_21rocsparse_index_base_b.private_seg_size, 0
	.set _ZN9rocsparseL19gebsrmvn_4xn_kernelILj128ELj1ELj64E21rocsparse_complex_numIdEEEvi20rocsparse_direction_NS_24const_host_device_scalarIT2_EEPKiS8_PKS5_SA_S6_PS5_21rocsparse_index_base_b.uses_vcc, 1
	.set _ZN9rocsparseL19gebsrmvn_4xn_kernelILj128ELj1ELj64E21rocsparse_complex_numIdEEEvi20rocsparse_direction_NS_24const_host_device_scalarIT2_EEPKiS8_PKS5_SA_S6_PS5_21rocsparse_index_base_b.uses_flat_scratch, 0
	.set _ZN9rocsparseL19gebsrmvn_4xn_kernelILj128ELj1ELj64E21rocsparse_complex_numIdEEEvi20rocsparse_direction_NS_24const_host_device_scalarIT2_EEPKiS8_PKS5_SA_S6_PS5_21rocsparse_index_base_b.has_dyn_sized_stack, 0
	.set _ZN9rocsparseL19gebsrmvn_4xn_kernelILj128ELj1ELj64E21rocsparse_complex_numIdEEEvi20rocsparse_direction_NS_24const_host_device_scalarIT2_EEPKiS8_PKS5_SA_S6_PS5_21rocsparse_index_base_b.has_recursion, 0
	.set _ZN9rocsparseL19gebsrmvn_4xn_kernelILj128ELj1ELj64E21rocsparse_complex_numIdEEEvi20rocsparse_direction_NS_24const_host_device_scalarIT2_EEPKiS8_PKS5_SA_S6_PS5_21rocsparse_index_base_b.has_indirect_call, 0
	.section	.AMDGPU.csdata,"",@progbits
; Kernel info:
; codeLenInByte = 2504
; TotalNumSgprs: 22
; NumVgprs: 54
; NumAgprs: 0
; TotalNumVgprs: 54
; ScratchSize: 0
; MemoryBound: 0
; FloatMode: 240
; IeeeMode: 1
; LDSByteSize: 0 bytes/workgroup (compile time only)
; SGPRBlocks: 2
; VGPRBlocks: 6
; NumSGPRsForWavesPerEU: 22
; NumVGPRsForWavesPerEU: 54
; AccumOffset: 56
; Occupancy: 8
; WaveLimiterHint : 1
; COMPUTE_PGM_RSRC2:SCRATCH_EN: 0
; COMPUTE_PGM_RSRC2:USER_SGPR: 2
; COMPUTE_PGM_RSRC2:TRAP_HANDLER: 0
; COMPUTE_PGM_RSRC2:TGID_X_EN: 1
; COMPUTE_PGM_RSRC2:TGID_Y_EN: 0
; COMPUTE_PGM_RSRC2:TGID_Z_EN: 0
; COMPUTE_PGM_RSRC2:TIDIG_COMP_CNT: 0
; COMPUTE_PGM_RSRC3_GFX90A:ACCUM_OFFSET: 13
; COMPUTE_PGM_RSRC3_GFX90A:TG_SPLIT: 0
	.section	.text._ZN9rocsparseL19gebsrmvn_4xn_kernelILj128ELj2ELj4E21rocsparse_complex_numIdEEEvi20rocsparse_direction_NS_24const_host_device_scalarIT2_EEPKiS8_PKS5_SA_S6_PS5_21rocsparse_index_base_b,"axG",@progbits,_ZN9rocsparseL19gebsrmvn_4xn_kernelILj128ELj2ELj4E21rocsparse_complex_numIdEEEvi20rocsparse_direction_NS_24const_host_device_scalarIT2_EEPKiS8_PKS5_SA_S6_PS5_21rocsparse_index_base_b,comdat
	.globl	_ZN9rocsparseL19gebsrmvn_4xn_kernelILj128ELj2ELj4E21rocsparse_complex_numIdEEEvi20rocsparse_direction_NS_24const_host_device_scalarIT2_EEPKiS8_PKS5_SA_S6_PS5_21rocsparse_index_base_b ; -- Begin function _ZN9rocsparseL19gebsrmvn_4xn_kernelILj128ELj2ELj4E21rocsparse_complex_numIdEEEvi20rocsparse_direction_NS_24const_host_device_scalarIT2_EEPKiS8_PKS5_SA_S6_PS5_21rocsparse_index_base_b
	.p2align	8
	.type	_ZN9rocsparseL19gebsrmvn_4xn_kernelILj128ELj2ELj4E21rocsparse_complex_numIdEEEvi20rocsparse_direction_NS_24const_host_device_scalarIT2_EEPKiS8_PKS5_SA_S6_PS5_21rocsparse_index_base_b,@function
_ZN9rocsparseL19gebsrmvn_4xn_kernelILj128ELj2ELj4E21rocsparse_complex_numIdEEEvi20rocsparse_direction_NS_24const_host_device_scalarIT2_EEPKiS8_PKS5_SA_S6_PS5_21rocsparse_index_base_b: ; @_ZN9rocsparseL19gebsrmvn_4xn_kernelILj128ELj2ELj4E21rocsparse_complex_numIdEEEvi20rocsparse_direction_NS_24const_host_device_scalarIT2_EEPKiS8_PKS5_SA_S6_PS5_21rocsparse_index_base_b
; %bb.0:
	s_load_dwordx2 s[4:5], s[0:1], 0x8
	s_load_dwordx2 s[6:7], s[0:1], 0x38
	;; [unrolled: 1-line block ×3, first 2 shown]
	s_add_u32 s3, s0, 8
	s_addc_u32 s8, s1, 0
	s_add_u32 s9, s0, 56
	s_addc_u32 s10, s1, 0
	s_waitcnt lgkmcnt(0)
	s_bitcmp1_b32 s13, 0
	s_cselect_b32 s5, s8, s5
	s_cselect_b32 s3, s3, s4
	v_mov_b32_e32 v2, s3
	v_mov_b32_e32 v3, s5
	flat_load_dwordx4 v[2:5], v[2:3]
	s_cselect_b32 s3, s10, s7
	s_cselect_b32 s4, s9, s6
	v_mov_b32_e32 v6, s4
	v_mov_b32_e32 v7, s3
	flat_load_dwordx4 v[6:9], v[6:7]
	s_waitcnt vmcnt(0) lgkmcnt(0)
	v_cmp_eq_f64_e32 vcc, 0, v[2:3]
	v_cmp_eq_f64_e64 s[4:5], 0, v[4:5]
	s_and_b64 s[8:9], vcc, s[4:5]
	s_mov_b64 s[4:5], -1
	s_and_saveexec_b64 s[6:7], s[8:9]
; %bb.1:
	v_cmp_neq_f64_e32 vcc, 1.0, v[6:7]
	v_cmp_neq_f64_e64 s[4:5], 0, v[8:9]
	s_or_b64 s[4:5], vcc, s[4:5]
	s_orn2_b64 s[4:5], s[4:5], exec
; %bb.2:
	s_or_b64 exec, exec, s[6:7]
	s_and_saveexec_b64 s[6:7], s[4:5]
	s_cbranch_execz .LBB116_21
; %bb.3:
	s_load_dwordx2 s[14:15], s[0:1], 0x0
	v_lshrrev_b32_e32 v1, 2, v0
	v_lshl_or_b32 v10, s2, 5, v1
	s_waitcnt lgkmcnt(0)
	v_cmp_gt_i32_e32 vcc, s14, v10
	s_and_b64 exec, exec, vcc
	s_cbranch_execz .LBB116_21
; %bb.4:
	s_load_dwordx8 s[4:11], s[0:1], 0x18
	v_ashrrev_i32_e32 v11, 31, v10
	s_cmp_lg_u32 s15, 0
	s_waitcnt lgkmcnt(0)
	v_lshl_add_u64 v[12:13], v[10:11], 2, s[4:5]
	global_load_dwordx2 v[12:13], v[12:13], off
	v_and_b32_e32 v11, 3, v0
	s_waitcnt vmcnt(0)
	v_subrev_u32_e32 v0, s12, v12
	v_subrev_u32_e32 v32, s12, v13
	v_add_u32_e32 v20, v0, v11
	v_cmp_lt_i32_e64 s[2:3], v20, v32
	s_cbranch_scc0 .LBB116_10
; %bb.5:
	v_mov_b64_e32 v[12:13], 0
	v_mov_b64_e32 v[24:25], 0
	;; [unrolled: 1-line block ×8, first 2 shown]
	s_and_saveexec_b64 s[4:5], s[2:3]
	s_cbranch_execz .LBB116_9
; %bb.6:
	v_lshlrev_b32_e32 v28, 3, v20
	v_mov_b64_e32 v[12:13], 0
	s_mov_b64 s[14:15], 0
	v_mov_b32_e32 v29, 0
	v_mov_b32_e32 v30, v20
	v_mov_b64_e32 v[24:25], 0
	v_mov_b64_e32 v[16:17], 0
	;; [unrolled: 1-line block ×7, first 2 shown]
.LBB116_7:                              ; =>This Inner Loop Header: Depth=1
	v_ashrrev_i32_e32 v31, 31, v30
	v_lshl_add_u64 v[34:35], v[30:31], 2, s[6:7]
	global_load_dword v21, v[34:35], off
	v_mov_b32_e32 v69, v29
	v_lshl_add_u64 v[66:67], v[28:29], 4, s[8:9]
	global_load_dwordx4 v[34:37], v[66:67], off offset:48
	global_load_dwordx4 v[38:41], v[66:67], off offset:32
	;; [unrolled: 1-line block ×3, first 2 shown]
	global_load_dwordx4 v[46:49], v[66:67], off
	global_load_dwordx4 v[50:53], v[66:67], off offset:96
	global_load_dwordx4 v[54:57], v[66:67], off offset:80
	;; [unrolled: 1-line block ×4, first 2 shown]
	v_add_u32_e32 v30, 4, v30
	v_cmp_ge_i32_e32 vcc, v30, v32
	v_add_u32_e32 v28, 32, v28
	s_or_b64 s[14:15], vcc, s[14:15]
	s_waitcnt vmcnt(8)
	v_subrev_u32_e32 v21, s12, v21
	v_lshlrev_b32_e32 v68, 1, v21
	v_lshl_add_u64 v[74:75], v[68:69], 4, s[10:11]
	global_load_dwordx4 v[66:69], v[74:75], off
	global_load_dwordx4 v[70:73], v[74:75], off offset:16
	s_waitcnt vmcnt(1)
	v_fmac_f64_e32 v[24:25], v[46:47], v[66:67]
	v_fmac_f64_e32 v[12:13], v[48:49], v[66:67]
	;; [unrolled: 1-line block ×8, first 2 shown]
	v_fma_f64 v[24:25], -v[48:49], v[68:69], v[24:25]
	v_fmac_f64_e32 v[12:13], v[46:47], v[68:69]
	v_fma_f64 v[26:27], -v[44:45], v[68:69], v[26:27]
	v_fmac_f64_e32 v[18:19], v[42:43], v[68:69]
	;; [unrolled: 2-line block ×4, first 2 shown]
	s_waitcnt vmcnt(0)
	v_fmac_f64_e32 v[24:25], v[58:59], v[70:71]
	v_fmac_f64_e32 v[12:13], v[60:61], v[70:71]
	;; [unrolled: 1-line block ×8, first 2 shown]
	v_fma_f64 v[24:25], -v[60:61], v[72:73], v[24:25]
	v_fmac_f64_e32 v[12:13], v[58:59], v[72:73]
	v_fma_f64 v[26:27], -v[56:57], v[72:73], v[26:27]
	v_fmac_f64_e32 v[18:19], v[54:55], v[72:73]
	;; [unrolled: 2-line block ×4, first 2 shown]
	s_andn2_b64 exec, exec, s[14:15]
	s_cbranch_execnz .LBB116_7
; %bb.8:
	s_or_b64 exec, exec, s[14:15]
.LBB116_9:
	s_or_b64 exec, exec, s[4:5]
	s_cbranch_execz .LBB116_11
	s_branch .LBB116_16
.LBB116_10:
                                        ; implicit-def: $vgpr12_vgpr13
                                        ; implicit-def: $vgpr24_vgpr25
                                        ; implicit-def: $vgpr16_vgpr17
                                        ; implicit-def: $vgpr0_vgpr1
                                        ; implicit-def: $vgpr22_vgpr23
                                        ; implicit-def: $vgpr14_vgpr15
                                        ; implicit-def: $vgpr26_vgpr27
                                        ; implicit-def: $vgpr18_vgpr19
.LBB116_11:
	v_mov_b64_e32 v[12:13], 0
	v_mov_b64_e32 v[24:25], 0
	;; [unrolled: 1-line block ×8, first 2 shown]
	s_and_saveexec_b64 s[4:5], s[2:3]
	s_cbranch_execz .LBB116_15
; %bb.12:
	v_lshlrev_b32_e32 v28, 3, v20
	v_mov_b64_e32 v[12:13], 0
	s_mov_b64 s[2:3], 0
	v_mov_b32_e32 v29, 0
	v_mov_b64_e32 v[24:25], 0
	v_mov_b64_e32 v[16:17], 0
	;; [unrolled: 1-line block ×7, first 2 shown]
.LBB116_13:                             ; =>This Inner Loop Header: Depth=1
	v_ashrrev_i32_e32 v21, 31, v20
	v_lshl_add_u64 v[30:31], v[20:21], 2, s[6:7]
	global_load_dword v21, v[30:31], off
	v_lshl_add_u64 v[30:31], v[28:29], 4, s[8:9]
	v_mov_b32_e32 v67, v29
	global_load_dwordx4 v[34:37], v[30:31], off offset:48
	global_load_dwordx4 v[38:41], v[30:31], off offset:32
	;; [unrolled: 1-line block ×3, first 2 shown]
	global_load_dwordx4 v[46:49], v[30:31], off
	global_load_dwordx4 v[50:53], v[30:31], off offset:112
	global_load_dwordx4 v[54:57], v[30:31], off offset:96
	;; [unrolled: 1-line block ×4, first 2 shown]
	v_add_u32_e32 v20, 4, v20
	v_cmp_ge_i32_e32 vcc, v20, v32
	v_add_u32_e32 v28, 32, v28
	s_or_b64 s[2:3], vcc, s[2:3]
	s_waitcnt vmcnt(8)
	v_subrev_u32_e32 v21, s12, v21
	v_lshlrev_b32_e32 v66, 1, v21
	v_lshl_add_u64 v[30:31], v[66:67], 4, s[10:11]
	global_load_dwordx4 v[66:69], v[30:31], off
	global_load_dwordx4 v[70:73], v[30:31], off offset:16
	s_waitcnt vmcnt(1)
	v_fmac_f64_e32 v[24:25], v[46:47], v[66:67]
	v_fmac_f64_e32 v[12:13], v[48:49], v[66:67]
	;; [unrolled: 1-line block ×8, first 2 shown]
	v_fma_f64 v[24:25], -v[48:49], v[68:69], v[24:25]
	v_fmac_f64_e32 v[12:13], v[46:47], v[68:69]
	v_fma_f64 v[26:27], -v[40:41], v[68:69], v[26:27]
	v_fmac_f64_e32 v[18:19], v[38:39], v[68:69]
	;; [unrolled: 2-line block ×4, first 2 shown]
	s_waitcnt vmcnt(0)
	v_fmac_f64_e32 v[24:25], v[42:43], v[70:71]
	v_fmac_f64_e32 v[12:13], v[44:45], v[70:71]
	;; [unrolled: 1-line block ×8, first 2 shown]
	v_fma_f64 v[24:25], -v[44:45], v[72:73], v[24:25]
	v_fmac_f64_e32 v[12:13], v[42:43], v[72:73]
	v_fma_f64 v[26:27], -v[36:37], v[72:73], v[26:27]
	v_fmac_f64_e32 v[18:19], v[34:35], v[72:73]
	;; [unrolled: 2-line block ×4, first 2 shown]
	s_andn2_b64 exec, exec, s[2:3]
	s_cbranch_execnz .LBB116_13
; %bb.14:
	s_or_b64 exec, exec, s[2:3]
.LBB116_15:
	s_or_b64 exec, exec, s[4:5]
.LBB116_16:
	v_mov_b32_dpp v32, v18 row_shr:1 row_mask:0xf bank_mask:0xf
	v_mov_b32_dpp v33, v19 row_shr:1 row_mask:0xf bank_mask:0xf
	v_add_f64 v[32:33], v[18:19], v[32:33]
	v_mov_b32_dpp v18, v22 row_shr:1 row_mask:0xf bank_mask:0xf
	v_mov_b32_dpp v19, v23 row_shr:1 row_mask:0xf bank_mask:0xf
	v_add_f64 v[36:37], v[22:23], v[18:19]
	;; [unrolled: 3-line block ×3, first 2 shown]
	v_mov_b32_dpp v14, v16 row_shr:1 row_mask:0xf bank_mask:0xf
	v_mov_b32_dpp v15, v17 row_shr:1 row_mask:0xf bank_mask:0xf
	;; [unrolled: 1-line block ×8, first 2 shown]
	v_add_f64 v[16:17], v[16:17], v[14:15]
	v_mov_b32_dpp v14, v0 row_shr:1 row_mask:0xf bank_mask:0xf
	v_mov_b32_dpp v15, v1 row_shr:1 row_mask:0xf bank_mask:0xf
	v_add_f64 v[20:21], v[24:25], v[20:21]
	v_add_f64 v[12:13], v[12:13], v[28:29]
	;; [unrolled: 1-line block ×4, first 2 shown]
	v_mov_b32_dpp v24, v20 row_shr:2 row_mask:0xf bank_mask:0xf
	v_mov_b32_dpp v25, v21 row_shr:2 row_mask:0xf bank_mask:0xf
	;; [unrolled: 1-line block ×16, first 2 shown]
	v_cmp_eq_u32_e32 vcc, 3, v11
	s_and_b64 exec, exec, vcc
	s_cbranch_execz .LBB116_21
; %bb.17:
	s_load_dwordx2 s[2:3], s[0:1], 0x48
	v_cmp_eq_f64_e32 vcc, 0, v[6:7]
	v_cmp_eq_f64_e64 s[0:1], 0, v[8:9]
	v_add_f64 v[18:19], v[20:21], v[24:25]
	v_add_f64 v[24:25], v[12:13], v[28:29]
	v_add_f64 v[14:15], v[26:27], v[30:31]
	v_add_f64 v[22:23], v[32:33], v[34:35]
	v_add_f64 v[12:13], v[36:37], v[38:39]
	v_add_f64 v[20:21], v[40:41], v[42:43]
	v_add_f64 v[0:1], v[16:17], v[44:45]
	v_add_f64 v[16:17], v[46:47], v[48:49]
	s_and_b64 s[0:1], vcc, s[0:1]
	s_and_saveexec_b64 s[4:5], s[0:1]
	s_xor_b64 s[0:1], exec, s[4:5]
	s_cbranch_execz .LBB116_19
; %bb.18:
	v_lshlrev_b32_e32 v10, 2, v10
	v_mul_f64 v[6:7], v[24:25], -v[4:5]
	v_mul_f64 v[8:9], v[2:3], v[24:25]
	v_ashrrev_i32_e32 v11, 31, v10
	v_fmac_f64_e32 v[6:7], v[2:3], v[18:19]
	v_fmac_f64_e32 v[8:9], v[4:5], v[18:19]
	s_waitcnt lgkmcnt(0)
	v_lshl_add_u64 v[10:11], v[10:11], 4, s[2:3]
	global_store_dwordx4 v[10:11], v[6:9], off
                                        ; implicit-def: $vgpr18_vgpr19
                                        ; implicit-def: $vgpr24_vgpr25
	s_nop 1
	v_mul_f64 v[6:7], v[22:23], -v[4:5]
	v_mul_f64 v[8:9], v[2:3], v[22:23]
	v_fmac_f64_e32 v[6:7], v[2:3], v[14:15]
	v_fmac_f64_e32 v[8:9], v[4:5], v[14:15]
	global_store_dwordx4 v[10:11], v[6:9], off offset:16
                                        ; implicit-def: $vgpr14_vgpr15
                                        ; implicit-def: $vgpr22_vgpr23
	s_nop 1
	v_mul_f64 v[6:7], v[20:21], -v[4:5]
	v_mul_f64 v[8:9], v[2:3], v[20:21]
	v_fmac_f64_e32 v[6:7], v[2:3], v[12:13]
	v_fmac_f64_e32 v[8:9], v[4:5], v[12:13]
	global_store_dwordx4 v[10:11], v[6:9], off offset:32
                                        ; implicit-def: $vgpr12_vgpr13
                                        ; implicit-def: $vgpr20_vgpr21
	s_nop 1
	v_mul_f64 v[6:7], v[16:17], -v[4:5]
	v_mul_f64 v[8:9], v[2:3], v[16:17]
	v_fmac_f64_e32 v[6:7], v[2:3], v[0:1]
	v_fmac_f64_e32 v[8:9], v[4:5], v[0:1]
	global_store_dwordx4 v[10:11], v[6:9], off offset:48
                                        ; implicit-def: $vgpr10
                                        ; implicit-def: $vgpr0_vgpr1
                                        ; implicit-def: $vgpr16_vgpr17
                                        ; implicit-def: $vgpr8_vgpr9
                                        ; implicit-def: $vgpr4_vgpr5
.LBB116_19:
	s_andn2_saveexec_b64 s[0:1], s[0:1]
	s_cbranch_execz .LBB116_21
; %bb.20:
	v_lshlrev_b32_e32 v10, 2, v10
	v_ashrrev_i32_e32 v11, 31, v10
	s_waitcnt lgkmcnt(0)
	v_lshl_add_u64 v[46:47], v[10:11], 4, s[2:3]
	global_load_dwordx4 v[26:29], v[46:47], off
	global_load_dwordx4 v[30:33], v[46:47], off offset:16
	global_load_dwordx4 v[34:37], v[46:47], off offset:32
	;; [unrolled: 1-line block ×3, first 2 shown]
	v_mul_f64 v[42:43], v[24:25], -v[4:5]
	v_mul_f64 v[24:25], v[2:3], v[24:25]
	v_mul_f64 v[48:49], v[22:23], -v[4:5]
	v_mul_f64 v[44:45], v[2:3], v[22:23]
	;; [unrolled: 2-line block ×4, first 2 shown]
	v_fmac_f64_e32 v[42:43], v[2:3], v[18:19]
	v_fmac_f64_e32 v[24:25], v[4:5], v[18:19]
	v_fmac_f64_e32 v[48:49], v[2:3], v[14:15]
	v_fmac_f64_e32 v[44:45], v[4:5], v[14:15]
	v_fmac_f64_e32 v[50:51], v[2:3], v[12:13]
	v_fmac_f64_e32 v[20:21], v[4:5], v[12:13]
	v_fmac_f64_e32 v[52:53], v[2:3], v[0:1]
	v_fmac_f64_e32 v[10:11], v[4:5], v[0:1]
	s_waitcnt vmcnt(3)
	v_fmac_f64_e32 v[42:43], v[6:7], v[26:27]
	v_fmac_f64_e32 v[24:25], v[8:9], v[26:27]
	s_waitcnt vmcnt(2)
	v_fmac_f64_e32 v[48:49], v[6:7], v[30:31]
	v_fmac_f64_e32 v[44:45], v[8:9], v[30:31]
	s_waitcnt vmcnt(1)
	v_fmac_f64_e32 v[50:51], v[6:7], v[34:35]
	v_fmac_f64_e32 v[20:21], v[8:9], v[34:35]
	s_waitcnt vmcnt(0)
	v_fmac_f64_e32 v[52:53], v[6:7], v[38:39]
	v_fmac_f64_e32 v[10:11], v[8:9], v[38:39]
	v_fma_f64 v[22:23], -v[8:9], v[28:29], v[42:43]
	v_fmac_f64_e32 v[24:25], v[6:7], v[28:29]
	v_fma_f64 v[42:43], -v[8:9], v[32:33], v[48:49]
	v_fmac_f64_e32 v[44:45], v[6:7], v[32:33]
	;; [unrolled: 2-line block ×4, first 2 shown]
	global_store_dwordx4 v[46:47], v[22:25], off
	global_store_dwordx4 v[46:47], v[42:45], off offset:16
	global_store_dwordx4 v[46:47], v[18:21], off offset:32
	;; [unrolled: 1-line block ×3, first 2 shown]
.LBB116_21:
	s_endpgm
	.section	.rodata,"a",@progbits
	.p2align	6, 0x0
	.amdhsa_kernel _ZN9rocsparseL19gebsrmvn_4xn_kernelILj128ELj2ELj4E21rocsparse_complex_numIdEEEvi20rocsparse_direction_NS_24const_host_device_scalarIT2_EEPKiS8_PKS5_SA_S6_PS5_21rocsparse_index_base_b
		.amdhsa_group_segment_fixed_size 0
		.amdhsa_private_segment_fixed_size 0
		.amdhsa_kernarg_size 88
		.amdhsa_user_sgpr_count 2
		.amdhsa_user_sgpr_dispatch_ptr 0
		.amdhsa_user_sgpr_queue_ptr 0
		.amdhsa_user_sgpr_kernarg_segment_ptr 1
		.amdhsa_user_sgpr_dispatch_id 0
		.amdhsa_user_sgpr_kernarg_preload_length 0
		.amdhsa_user_sgpr_kernarg_preload_offset 0
		.amdhsa_user_sgpr_private_segment_size 0
		.amdhsa_uses_dynamic_stack 0
		.amdhsa_enable_private_segment 0
		.amdhsa_system_sgpr_workgroup_id_x 1
		.amdhsa_system_sgpr_workgroup_id_y 0
		.amdhsa_system_sgpr_workgroup_id_z 0
		.amdhsa_system_sgpr_workgroup_info 0
		.amdhsa_system_vgpr_workitem_id 0
		.amdhsa_next_free_vgpr 76
		.amdhsa_next_free_sgpr 16
		.amdhsa_accum_offset 76
		.amdhsa_reserve_vcc 1
		.amdhsa_float_round_mode_32 0
		.amdhsa_float_round_mode_16_64 0
		.amdhsa_float_denorm_mode_32 3
		.amdhsa_float_denorm_mode_16_64 3
		.amdhsa_dx10_clamp 1
		.amdhsa_ieee_mode 1
		.amdhsa_fp16_overflow 0
		.amdhsa_tg_split 0
		.amdhsa_exception_fp_ieee_invalid_op 0
		.amdhsa_exception_fp_denorm_src 0
		.amdhsa_exception_fp_ieee_div_zero 0
		.amdhsa_exception_fp_ieee_overflow 0
		.amdhsa_exception_fp_ieee_underflow 0
		.amdhsa_exception_fp_ieee_inexact 0
		.amdhsa_exception_int_div_zero 0
	.end_amdhsa_kernel
	.section	.text._ZN9rocsparseL19gebsrmvn_4xn_kernelILj128ELj2ELj4E21rocsparse_complex_numIdEEEvi20rocsparse_direction_NS_24const_host_device_scalarIT2_EEPKiS8_PKS5_SA_S6_PS5_21rocsparse_index_base_b,"axG",@progbits,_ZN9rocsparseL19gebsrmvn_4xn_kernelILj128ELj2ELj4E21rocsparse_complex_numIdEEEvi20rocsparse_direction_NS_24const_host_device_scalarIT2_EEPKiS8_PKS5_SA_S6_PS5_21rocsparse_index_base_b,comdat
.Lfunc_end116:
	.size	_ZN9rocsparseL19gebsrmvn_4xn_kernelILj128ELj2ELj4E21rocsparse_complex_numIdEEEvi20rocsparse_direction_NS_24const_host_device_scalarIT2_EEPKiS8_PKS5_SA_S6_PS5_21rocsparse_index_base_b, .Lfunc_end116-_ZN9rocsparseL19gebsrmvn_4xn_kernelILj128ELj2ELj4E21rocsparse_complex_numIdEEEvi20rocsparse_direction_NS_24const_host_device_scalarIT2_EEPKiS8_PKS5_SA_S6_PS5_21rocsparse_index_base_b
                                        ; -- End function
	.set _ZN9rocsparseL19gebsrmvn_4xn_kernelILj128ELj2ELj4E21rocsparse_complex_numIdEEEvi20rocsparse_direction_NS_24const_host_device_scalarIT2_EEPKiS8_PKS5_SA_S6_PS5_21rocsparse_index_base_b.num_vgpr, 76
	.set _ZN9rocsparseL19gebsrmvn_4xn_kernelILj128ELj2ELj4E21rocsparse_complex_numIdEEEvi20rocsparse_direction_NS_24const_host_device_scalarIT2_EEPKiS8_PKS5_SA_S6_PS5_21rocsparse_index_base_b.num_agpr, 0
	.set _ZN9rocsparseL19gebsrmvn_4xn_kernelILj128ELj2ELj4E21rocsparse_complex_numIdEEEvi20rocsparse_direction_NS_24const_host_device_scalarIT2_EEPKiS8_PKS5_SA_S6_PS5_21rocsparse_index_base_b.numbered_sgpr, 16
	.set _ZN9rocsparseL19gebsrmvn_4xn_kernelILj128ELj2ELj4E21rocsparse_complex_numIdEEEvi20rocsparse_direction_NS_24const_host_device_scalarIT2_EEPKiS8_PKS5_SA_S6_PS5_21rocsparse_index_base_b.num_named_barrier, 0
	.set _ZN9rocsparseL19gebsrmvn_4xn_kernelILj128ELj2ELj4E21rocsparse_complex_numIdEEEvi20rocsparse_direction_NS_24const_host_device_scalarIT2_EEPKiS8_PKS5_SA_S6_PS5_21rocsparse_index_base_b.private_seg_size, 0
	.set _ZN9rocsparseL19gebsrmvn_4xn_kernelILj128ELj2ELj4E21rocsparse_complex_numIdEEEvi20rocsparse_direction_NS_24const_host_device_scalarIT2_EEPKiS8_PKS5_SA_S6_PS5_21rocsparse_index_base_b.uses_vcc, 1
	.set _ZN9rocsparseL19gebsrmvn_4xn_kernelILj128ELj2ELj4E21rocsparse_complex_numIdEEEvi20rocsparse_direction_NS_24const_host_device_scalarIT2_EEPKiS8_PKS5_SA_S6_PS5_21rocsparse_index_base_b.uses_flat_scratch, 0
	.set _ZN9rocsparseL19gebsrmvn_4xn_kernelILj128ELj2ELj4E21rocsparse_complex_numIdEEEvi20rocsparse_direction_NS_24const_host_device_scalarIT2_EEPKiS8_PKS5_SA_S6_PS5_21rocsparse_index_base_b.has_dyn_sized_stack, 0
	.set _ZN9rocsparseL19gebsrmvn_4xn_kernelILj128ELj2ELj4E21rocsparse_complex_numIdEEEvi20rocsparse_direction_NS_24const_host_device_scalarIT2_EEPKiS8_PKS5_SA_S6_PS5_21rocsparse_index_base_b.has_recursion, 0
	.set _ZN9rocsparseL19gebsrmvn_4xn_kernelILj128ELj2ELj4E21rocsparse_complex_numIdEEEvi20rocsparse_direction_NS_24const_host_device_scalarIT2_EEPKiS8_PKS5_SA_S6_PS5_21rocsparse_index_base_b.has_indirect_call, 0
	.section	.AMDGPU.csdata,"",@progbits
; Kernel info:
; codeLenInByte = 1984
; TotalNumSgprs: 22
; NumVgprs: 76
; NumAgprs: 0
; TotalNumVgprs: 76
; ScratchSize: 0
; MemoryBound: 0
; FloatMode: 240
; IeeeMode: 1
; LDSByteSize: 0 bytes/workgroup (compile time only)
; SGPRBlocks: 2
; VGPRBlocks: 9
; NumSGPRsForWavesPerEU: 22
; NumVGPRsForWavesPerEU: 76
; AccumOffset: 76
; Occupancy: 6
; WaveLimiterHint : 1
; COMPUTE_PGM_RSRC2:SCRATCH_EN: 0
; COMPUTE_PGM_RSRC2:USER_SGPR: 2
; COMPUTE_PGM_RSRC2:TRAP_HANDLER: 0
; COMPUTE_PGM_RSRC2:TGID_X_EN: 1
; COMPUTE_PGM_RSRC2:TGID_Y_EN: 0
; COMPUTE_PGM_RSRC2:TGID_Z_EN: 0
; COMPUTE_PGM_RSRC2:TIDIG_COMP_CNT: 0
; COMPUTE_PGM_RSRC3_GFX90A:ACCUM_OFFSET: 18
; COMPUTE_PGM_RSRC3_GFX90A:TG_SPLIT: 0
	.section	.text._ZN9rocsparseL19gebsrmvn_4xn_kernelILj128ELj2ELj8E21rocsparse_complex_numIdEEEvi20rocsparse_direction_NS_24const_host_device_scalarIT2_EEPKiS8_PKS5_SA_S6_PS5_21rocsparse_index_base_b,"axG",@progbits,_ZN9rocsparseL19gebsrmvn_4xn_kernelILj128ELj2ELj8E21rocsparse_complex_numIdEEEvi20rocsparse_direction_NS_24const_host_device_scalarIT2_EEPKiS8_PKS5_SA_S6_PS5_21rocsparse_index_base_b,comdat
	.globl	_ZN9rocsparseL19gebsrmvn_4xn_kernelILj128ELj2ELj8E21rocsparse_complex_numIdEEEvi20rocsparse_direction_NS_24const_host_device_scalarIT2_EEPKiS8_PKS5_SA_S6_PS5_21rocsparse_index_base_b ; -- Begin function _ZN9rocsparseL19gebsrmvn_4xn_kernelILj128ELj2ELj8E21rocsparse_complex_numIdEEEvi20rocsparse_direction_NS_24const_host_device_scalarIT2_EEPKiS8_PKS5_SA_S6_PS5_21rocsparse_index_base_b
	.p2align	8
	.type	_ZN9rocsparseL19gebsrmvn_4xn_kernelILj128ELj2ELj8E21rocsparse_complex_numIdEEEvi20rocsparse_direction_NS_24const_host_device_scalarIT2_EEPKiS8_PKS5_SA_S6_PS5_21rocsparse_index_base_b,@function
_ZN9rocsparseL19gebsrmvn_4xn_kernelILj128ELj2ELj8E21rocsparse_complex_numIdEEEvi20rocsparse_direction_NS_24const_host_device_scalarIT2_EEPKiS8_PKS5_SA_S6_PS5_21rocsparse_index_base_b: ; @_ZN9rocsparseL19gebsrmvn_4xn_kernelILj128ELj2ELj8E21rocsparse_complex_numIdEEEvi20rocsparse_direction_NS_24const_host_device_scalarIT2_EEPKiS8_PKS5_SA_S6_PS5_21rocsparse_index_base_b
; %bb.0:
	s_load_dwordx2 s[4:5], s[0:1], 0x8
	s_load_dwordx2 s[6:7], s[0:1], 0x38
	;; [unrolled: 1-line block ×3, first 2 shown]
	s_add_u32 s3, s0, 8
	s_addc_u32 s8, s1, 0
	s_add_u32 s9, s0, 56
	s_addc_u32 s10, s1, 0
	s_waitcnt lgkmcnt(0)
	s_bitcmp1_b32 s13, 0
	s_cselect_b32 s5, s8, s5
	s_cselect_b32 s3, s3, s4
	v_mov_b32_e32 v2, s3
	v_mov_b32_e32 v3, s5
	flat_load_dwordx4 v[2:5], v[2:3]
	s_cselect_b32 s3, s10, s7
	s_cselect_b32 s4, s9, s6
	v_mov_b32_e32 v6, s4
	v_mov_b32_e32 v7, s3
	flat_load_dwordx4 v[6:9], v[6:7]
	s_waitcnt vmcnt(0) lgkmcnt(0)
	v_cmp_eq_f64_e32 vcc, 0, v[2:3]
	v_cmp_eq_f64_e64 s[4:5], 0, v[4:5]
	s_and_b64 s[8:9], vcc, s[4:5]
	s_mov_b64 s[4:5], -1
	s_and_saveexec_b64 s[6:7], s[8:9]
; %bb.1:
	v_cmp_neq_f64_e32 vcc, 1.0, v[6:7]
	v_cmp_neq_f64_e64 s[4:5], 0, v[8:9]
	s_or_b64 s[4:5], vcc, s[4:5]
	s_orn2_b64 s[4:5], s[4:5], exec
; %bb.2:
	s_or_b64 exec, exec, s[6:7]
	s_and_saveexec_b64 s[6:7], s[4:5]
	s_cbranch_execz .LBB117_21
; %bb.3:
	s_load_dwordx2 s[14:15], s[0:1], 0x0
	v_lshrrev_b32_e32 v1, 3, v0
	v_lshl_or_b32 v10, s2, 4, v1
	s_waitcnt lgkmcnt(0)
	v_cmp_gt_i32_e32 vcc, s14, v10
	s_and_b64 exec, exec, vcc
	s_cbranch_execz .LBB117_21
; %bb.4:
	s_load_dwordx8 s[4:11], s[0:1], 0x18
	v_ashrrev_i32_e32 v11, 31, v10
	s_cmp_lg_u32 s15, 0
	s_waitcnt lgkmcnt(0)
	v_lshl_add_u64 v[12:13], v[10:11], 2, s[4:5]
	global_load_dwordx2 v[12:13], v[12:13], off
	v_and_b32_e32 v11, 7, v0
	s_waitcnt vmcnt(0)
	v_subrev_u32_e32 v0, s12, v12
	v_subrev_u32_e32 v32, s12, v13
	v_add_u32_e32 v22, v0, v11
	v_cmp_lt_i32_e64 s[2:3], v22, v32
	s_cbranch_scc0 .LBB117_10
; %bb.5:
	v_mov_b64_e32 v[16:17], 0
	v_mov_b64_e32 v[24:25], 0
	;; [unrolled: 1-line block ×8, first 2 shown]
	s_and_saveexec_b64 s[4:5], s[2:3]
	s_cbranch_execz .LBB117_9
; %bb.6:
	v_lshlrev_b32_e32 v28, 3, v22
	v_mov_b64_e32 v[16:17], 0
	s_mov_b64 s[14:15], 0
	v_mov_b32_e32 v29, 0
	v_mov_b32_e32 v30, v22
	v_mov_b64_e32 v[24:25], 0
	v_mov_b64_e32 v[14:15], 0
	;; [unrolled: 1-line block ×7, first 2 shown]
.LBB117_7:                              ; =>This Inner Loop Header: Depth=1
	v_ashrrev_i32_e32 v31, 31, v30
	v_lshl_add_u64 v[34:35], v[30:31], 2, s[6:7]
	global_load_dword v23, v[34:35], off
	v_mov_b32_e32 v69, v29
	v_lshl_add_u64 v[66:67], v[28:29], 4, s[8:9]
	global_load_dwordx4 v[34:37], v[66:67], off offset:48
	global_load_dwordx4 v[38:41], v[66:67], off offset:32
	;; [unrolled: 1-line block ×3, first 2 shown]
	global_load_dwordx4 v[46:49], v[66:67], off
	global_load_dwordx4 v[50:53], v[66:67], off offset:96
	global_load_dwordx4 v[54:57], v[66:67], off offset:80
	;; [unrolled: 1-line block ×4, first 2 shown]
	v_add_u32_e32 v30, 8, v30
	v_cmp_ge_i32_e32 vcc, v30, v32
	v_add_u32_e32 v28, 64, v28
	s_or_b64 s[14:15], vcc, s[14:15]
	s_waitcnt vmcnt(8)
	v_subrev_u32_e32 v23, s12, v23
	v_lshlrev_b32_e32 v68, 1, v23
	v_lshl_add_u64 v[74:75], v[68:69], 4, s[10:11]
	global_load_dwordx4 v[66:69], v[74:75], off
	global_load_dwordx4 v[70:73], v[74:75], off offset:16
	s_waitcnt vmcnt(1)
	v_fmac_f64_e32 v[24:25], v[46:47], v[66:67]
	v_fmac_f64_e32 v[16:17], v[48:49], v[66:67]
	v_fmac_f64_e32 v[26:27], v[42:43], v[66:67]
	v_fmac_f64_e32 v[18:19], v[44:45], v[66:67]
	v_fmac_f64_e32 v[20:21], v[38:39], v[66:67]
	v_fmac_f64_e32 v[12:13], v[40:41], v[66:67]
	v_fmac_f64_e32 v[14:15], v[34:35], v[66:67]
	v_fmac_f64_e32 v[0:1], v[36:37], v[66:67]
	v_fma_f64 v[24:25], -v[48:49], v[68:69], v[24:25]
	v_fmac_f64_e32 v[16:17], v[46:47], v[68:69]
	v_fma_f64 v[26:27], -v[44:45], v[68:69], v[26:27]
	v_fmac_f64_e32 v[18:19], v[42:43], v[68:69]
	;; [unrolled: 2-line block ×4, first 2 shown]
	s_waitcnt vmcnt(0)
	v_fmac_f64_e32 v[24:25], v[58:59], v[70:71]
	v_fmac_f64_e32 v[16:17], v[60:61], v[70:71]
	;; [unrolled: 1-line block ×8, first 2 shown]
	v_fma_f64 v[24:25], -v[60:61], v[72:73], v[24:25]
	v_fmac_f64_e32 v[16:17], v[58:59], v[72:73]
	v_fma_f64 v[26:27], -v[56:57], v[72:73], v[26:27]
	v_fmac_f64_e32 v[18:19], v[54:55], v[72:73]
	;; [unrolled: 2-line block ×4, first 2 shown]
	s_andn2_b64 exec, exec, s[14:15]
	s_cbranch_execnz .LBB117_7
; %bb.8:
	s_or_b64 exec, exec, s[14:15]
.LBB117_9:
	s_or_b64 exec, exec, s[4:5]
	s_cbranch_execz .LBB117_11
	s_branch .LBB117_16
.LBB117_10:
                                        ; implicit-def: $vgpr16_vgpr17
                                        ; implicit-def: $vgpr24_vgpr25
                                        ; implicit-def: $vgpr14_vgpr15
                                        ; implicit-def: $vgpr0_vgpr1
                                        ; implicit-def: $vgpr20_vgpr21
                                        ; implicit-def: $vgpr12_vgpr13
                                        ; implicit-def: $vgpr26_vgpr27
                                        ; implicit-def: $vgpr18_vgpr19
.LBB117_11:
	v_mov_b64_e32 v[16:17], 0
	v_mov_b64_e32 v[24:25], 0
	;; [unrolled: 1-line block ×8, first 2 shown]
	s_and_saveexec_b64 s[4:5], s[2:3]
	s_cbranch_execz .LBB117_15
; %bb.12:
	v_lshlrev_b32_e32 v28, 3, v22
	v_mov_b64_e32 v[16:17], 0
	s_mov_b64 s[2:3], 0
	v_mov_b32_e32 v29, 0
	v_mov_b64_e32 v[24:25], 0
	v_mov_b64_e32 v[14:15], 0
	;; [unrolled: 1-line block ×7, first 2 shown]
.LBB117_13:                             ; =>This Inner Loop Header: Depth=1
	v_ashrrev_i32_e32 v23, 31, v22
	v_lshl_add_u64 v[30:31], v[22:23], 2, s[6:7]
	global_load_dword v23, v[30:31], off
	v_lshl_add_u64 v[30:31], v[28:29], 4, s[8:9]
	v_mov_b32_e32 v67, v29
	global_load_dwordx4 v[34:37], v[30:31], off offset:48
	global_load_dwordx4 v[38:41], v[30:31], off offset:32
	;; [unrolled: 1-line block ×3, first 2 shown]
	global_load_dwordx4 v[46:49], v[30:31], off
	global_load_dwordx4 v[50:53], v[30:31], off offset:112
	global_load_dwordx4 v[54:57], v[30:31], off offset:96
	;; [unrolled: 1-line block ×4, first 2 shown]
	v_add_u32_e32 v22, 8, v22
	v_cmp_ge_i32_e32 vcc, v22, v32
	v_add_u32_e32 v28, 64, v28
	s_or_b64 s[2:3], vcc, s[2:3]
	s_waitcnt vmcnt(8)
	v_subrev_u32_e32 v23, s12, v23
	v_lshlrev_b32_e32 v66, 1, v23
	v_lshl_add_u64 v[30:31], v[66:67], 4, s[10:11]
	global_load_dwordx4 v[66:69], v[30:31], off
	global_load_dwordx4 v[70:73], v[30:31], off offset:16
	s_waitcnt vmcnt(1)
	v_fmac_f64_e32 v[24:25], v[46:47], v[66:67]
	v_fmac_f64_e32 v[16:17], v[48:49], v[66:67]
	;; [unrolled: 1-line block ×8, first 2 shown]
	v_fma_f64 v[24:25], -v[48:49], v[68:69], v[24:25]
	v_fmac_f64_e32 v[16:17], v[46:47], v[68:69]
	v_fma_f64 v[26:27], -v[40:41], v[68:69], v[26:27]
	v_fmac_f64_e32 v[18:19], v[38:39], v[68:69]
	v_fma_f64 v[20:21], -v[64:65], v[68:69], v[20:21]
	v_fmac_f64_e32 v[12:13], v[62:63], v[68:69]
	v_fma_f64 v[14:15], -v[56:57], v[68:69], v[14:15]
	v_fmac_f64_e32 v[0:1], v[54:55], v[68:69]
	s_waitcnt vmcnt(0)
	v_fmac_f64_e32 v[24:25], v[42:43], v[70:71]
	v_fmac_f64_e32 v[16:17], v[44:45], v[70:71]
	;; [unrolled: 1-line block ×8, first 2 shown]
	v_fma_f64 v[24:25], -v[44:45], v[72:73], v[24:25]
	v_fmac_f64_e32 v[16:17], v[42:43], v[72:73]
	v_fma_f64 v[26:27], -v[36:37], v[72:73], v[26:27]
	v_fmac_f64_e32 v[18:19], v[34:35], v[72:73]
	;; [unrolled: 2-line block ×4, first 2 shown]
	s_andn2_b64 exec, exec, s[2:3]
	s_cbranch_execnz .LBB117_13
; %bb.14:
	s_or_b64 exec, exec, s[2:3]
.LBB117_15:
	s_or_b64 exec, exec, s[4:5]
.LBB117_16:
	v_mov_b32_dpp v32, v18 row_shr:1 row_mask:0xf bank_mask:0xf
	v_mov_b32_dpp v33, v19 row_shr:1 row_mask:0xf bank_mask:0xf
	v_add_f64 v[18:19], v[18:19], v[32:33]
	v_mov_b32_dpp v22, v24 row_shr:1 row_mask:0xf bank_mask:0xf
	v_mov_b32_dpp v23, v25 row_shr:1 row_mask:0xf bank_mask:0xf
	v_mov_b32_dpp v32, v18 row_shr:2 row_mask:0xf bank_mask:0xf
	v_mov_b32_dpp v33, v19 row_shr:2 row_mask:0xf bank_mask:0xf
	v_add_f64 v[32:33], v[18:19], v[32:33]
	v_mov_b32_dpp v18, v20 row_shr:1 row_mask:0xf bank_mask:0xf
	v_mov_b32_dpp v19, v21 row_shr:1 row_mask:0xf bank_mask:0xf
	v_add_f64 v[18:19], v[20:21], v[18:19]
	v_mov_b32_dpp v28, v16 row_shr:1 row_mask:0xf bank_mask:0xf
	v_mov_b32_dpp v29, v17 row_shr:1 row_mask:0xf bank_mask:0xf
	v_mov_b32_dpp v20, v18 row_shr:2 row_mask:0xf bank_mask:0xf
	v_mov_b32_dpp v21, v19 row_shr:2 row_mask:0xf bank_mask:0xf
	v_add_f64 v[20:21], v[18:19], v[20:21]
	;; [unrolled: 8-line block ×3, first 2 shown]
	v_mov_b32_dpp v12, v14 row_shr:1 row_mask:0xf bank_mask:0xf
	v_mov_b32_dpp v13, v15 row_shr:1 row_mask:0xf bank_mask:0xf
	v_add_f64 v[12:13], v[14:15], v[12:13]
	v_add_f64 v[22:23], v[24:25], v[22:23]
	;; [unrolled: 1-line block ×3, first 2 shown]
	v_mov_b32_dpp v14, v12 row_shr:2 row_mask:0xf bank_mask:0xf
	v_mov_b32_dpp v15, v13 row_shr:2 row_mask:0xf bank_mask:0xf
	v_add_f64 v[42:43], v[12:13], v[14:15]
	v_mov_b32_dpp v12, v0 row_shr:1 row_mask:0xf bank_mask:0xf
	v_mov_b32_dpp v13, v1 row_shr:1 row_mask:0xf bank_mask:0xf
	v_add_f64 v[26:27], v[26:27], v[30:31]
	v_add_f64 v[0:1], v[0:1], v[12:13]
	v_mov_b32_dpp v24, v22 row_shr:2 row_mask:0xf bank_mask:0xf
	v_mov_b32_dpp v25, v23 row_shr:2 row_mask:0xf bank_mask:0xf
	;; [unrolled: 1-line block ×8, first 2 shown]
	v_add_f64 v[22:23], v[22:23], v[24:25]
	v_add_f64 v[16:17], v[16:17], v[28:29]
	;; [unrolled: 1-line block ×4, first 2 shown]
	v_mov_b32_dpp v24, v22 row_shr:4 row_mask:0xf bank_mask:0xe
	v_mov_b32_dpp v25, v23 row_shr:4 row_mask:0xf bank_mask:0xe
	;; [unrolled: 1-line block ×16, first 2 shown]
	v_cmp_eq_u32_e32 vcc, 7, v11
	s_and_b64 exec, exec, vcc
	s_cbranch_execz .LBB117_21
; %bb.17:
	s_load_dwordx2 s[2:3], s[0:1], 0x48
	v_cmp_eq_f64_e32 vcc, 0, v[6:7]
	v_cmp_eq_f64_e64 s[0:1], 0, v[8:9]
	v_add_f64 v[18:19], v[22:23], v[24:25]
	v_add_f64 v[24:25], v[16:17], v[28:29]
	v_add_f64 v[14:15], v[26:27], v[30:31]
	v_add_f64 v[22:23], v[32:33], v[34:35]
	v_add_f64 v[12:13], v[20:21], v[36:37]
	v_add_f64 v[20:21], v[38:39], v[40:41]
	v_add_f64 v[0:1], v[42:43], v[44:45]
	v_add_f64 v[16:17], v[46:47], v[48:49]
	s_and_b64 s[0:1], vcc, s[0:1]
	s_and_saveexec_b64 s[4:5], s[0:1]
	s_xor_b64 s[0:1], exec, s[4:5]
	s_cbranch_execz .LBB117_19
; %bb.18:
	v_lshlrev_b32_e32 v10, 2, v10
	v_mul_f64 v[6:7], v[24:25], -v[4:5]
	v_mul_f64 v[8:9], v[2:3], v[24:25]
	v_ashrrev_i32_e32 v11, 31, v10
	v_fmac_f64_e32 v[6:7], v[2:3], v[18:19]
	v_fmac_f64_e32 v[8:9], v[4:5], v[18:19]
	s_waitcnt lgkmcnt(0)
	v_lshl_add_u64 v[10:11], v[10:11], 4, s[2:3]
	global_store_dwordx4 v[10:11], v[6:9], off
                                        ; implicit-def: $vgpr18_vgpr19
                                        ; implicit-def: $vgpr24_vgpr25
	s_nop 1
	v_mul_f64 v[6:7], v[22:23], -v[4:5]
	v_mul_f64 v[8:9], v[2:3], v[22:23]
	v_fmac_f64_e32 v[6:7], v[2:3], v[14:15]
	v_fmac_f64_e32 v[8:9], v[4:5], v[14:15]
	global_store_dwordx4 v[10:11], v[6:9], off offset:16
                                        ; implicit-def: $vgpr14_vgpr15
                                        ; implicit-def: $vgpr22_vgpr23
	s_nop 1
	v_mul_f64 v[6:7], v[20:21], -v[4:5]
	v_mul_f64 v[8:9], v[2:3], v[20:21]
	v_fmac_f64_e32 v[6:7], v[2:3], v[12:13]
	v_fmac_f64_e32 v[8:9], v[4:5], v[12:13]
	global_store_dwordx4 v[10:11], v[6:9], off offset:32
                                        ; implicit-def: $vgpr12_vgpr13
                                        ; implicit-def: $vgpr20_vgpr21
	s_nop 1
	v_mul_f64 v[6:7], v[16:17], -v[4:5]
	v_mul_f64 v[8:9], v[2:3], v[16:17]
	v_fmac_f64_e32 v[6:7], v[2:3], v[0:1]
	v_fmac_f64_e32 v[8:9], v[4:5], v[0:1]
	global_store_dwordx4 v[10:11], v[6:9], off offset:48
                                        ; implicit-def: $vgpr10
                                        ; implicit-def: $vgpr0_vgpr1
                                        ; implicit-def: $vgpr16_vgpr17
                                        ; implicit-def: $vgpr8_vgpr9
                                        ; implicit-def: $vgpr4_vgpr5
.LBB117_19:
	s_andn2_saveexec_b64 s[0:1], s[0:1]
	s_cbranch_execz .LBB117_21
; %bb.20:
	v_lshlrev_b32_e32 v10, 2, v10
	v_ashrrev_i32_e32 v11, 31, v10
	s_waitcnt lgkmcnt(0)
	v_lshl_add_u64 v[46:47], v[10:11], 4, s[2:3]
	global_load_dwordx4 v[26:29], v[46:47], off
	global_load_dwordx4 v[30:33], v[46:47], off offset:16
	global_load_dwordx4 v[34:37], v[46:47], off offset:32
	;; [unrolled: 1-line block ×3, first 2 shown]
	v_mul_f64 v[42:43], v[24:25], -v[4:5]
	v_mul_f64 v[24:25], v[2:3], v[24:25]
	v_mul_f64 v[48:49], v[22:23], -v[4:5]
	v_mul_f64 v[44:45], v[2:3], v[22:23]
	;; [unrolled: 2-line block ×4, first 2 shown]
	v_fmac_f64_e32 v[42:43], v[2:3], v[18:19]
	v_fmac_f64_e32 v[24:25], v[4:5], v[18:19]
	v_fmac_f64_e32 v[48:49], v[2:3], v[14:15]
	v_fmac_f64_e32 v[44:45], v[4:5], v[14:15]
	v_fmac_f64_e32 v[50:51], v[2:3], v[12:13]
	v_fmac_f64_e32 v[20:21], v[4:5], v[12:13]
	v_fmac_f64_e32 v[52:53], v[2:3], v[0:1]
	v_fmac_f64_e32 v[10:11], v[4:5], v[0:1]
	s_waitcnt vmcnt(3)
	v_fmac_f64_e32 v[42:43], v[6:7], v[26:27]
	v_fmac_f64_e32 v[24:25], v[8:9], v[26:27]
	s_waitcnt vmcnt(2)
	v_fmac_f64_e32 v[48:49], v[6:7], v[30:31]
	v_fmac_f64_e32 v[44:45], v[8:9], v[30:31]
	;; [unrolled: 3-line block ×4, first 2 shown]
	v_fma_f64 v[22:23], -v[8:9], v[28:29], v[42:43]
	v_fmac_f64_e32 v[24:25], v[6:7], v[28:29]
	v_fma_f64 v[42:43], -v[8:9], v[32:33], v[48:49]
	v_fmac_f64_e32 v[44:45], v[6:7], v[32:33]
	v_fma_f64 v[18:19], -v[8:9], v[36:37], v[50:51]
	v_fmac_f64_e32 v[20:21], v[6:7], v[36:37]
	v_fma_f64 v[8:9], -v[8:9], v[40:41], v[52:53]
	v_fmac_f64_e32 v[10:11], v[6:7], v[40:41]
	global_store_dwordx4 v[46:47], v[22:25], off
	global_store_dwordx4 v[46:47], v[42:45], off offset:16
	global_store_dwordx4 v[46:47], v[18:21], off offset:32
	;; [unrolled: 1-line block ×3, first 2 shown]
.LBB117_21:
	s_endpgm
	.section	.rodata,"a",@progbits
	.p2align	6, 0x0
	.amdhsa_kernel _ZN9rocsparseL19gebsrmvn_4xn_kernelILj128ELj2ELj8E21rocsparse_complex_numIdEEEvi20rocsparse_direction_NS_24const_host_device_scalarIT2_EEPKiS8_PKS5_SA_S6_PS5_21rocsparse_index_base_b
		.amdhsa_group_segment_fixed_size 0
		.amdhsa_private_segment_fixed_size 0
		.amdhsa_kernarg_size 88
		.amdhsa_user_sgpr_count 2
		.amdhsa_user_sgpr_dispatch_ptr 0
		.amdhsa_user_sgpr_queue_ptr 0
		.amdhsa_user_sgpr_kernarg_segment_ptr 1
		.amdhsa_user_sgpr_dispatch_id 0
		.amdhsa_user_sgpr_kernarg_preload_length 0
		.amdhsa_user_sgpr_kernarg_preload_offset 0
		.amdhsa_user_sgpr_private_segment_size 0
		.amdhsa_uses_dynamic_stack 0
		.amdhsa_enable_private_segment 0
		.amdhsa_system_sgpr_workgroup_id_x 1
		.amdhsa_system_sgpr_workgroup_id_y 0
		.amdhsa_system_sgpr_workgroup_id_z 0
		.amdhsa_system_sgpr_workgroup_info 0
		.amdhsa_system_vgpr_workitem_id 0
		.amdhsa_next_free_vgpr 76
		.amdhsa_next_free_sgpr 16
		.amdhsa_accum_offset 76
		.amdhsa_reserve_vcc 1
		.amdhsa_float_round_mode_32 0
		.amdhsa_float_round_mode_16_64 0
		.amdhsa_float_denorm_mode_32 3
		.amdhsa_float_denorm_mode_16_64 3
		.amdhsa_dx10_clamp 1
		.amdhsa_ieee_mode 1
		.amdhsa_fp16_overflow 0
		.amdhsa_tg_split 0
		.amdhsa_exception_fp_ieee_invalid_op 0
		.amdhsa_exception_fp_denorm_src 0
		.amdhsa_exception_fp_ieee_div_zero 0
		.amdhsa_exception_fp_ieee_overflow 0
		.amdhsa_exception_fp_ieee_underflow 0
		.amdhsa_exception_fp_ieee_inexact 0
		.amdhsa_exception_int_div_zero 0
	.end_amdhsa_kernel
	.section	.text._ZN9rocsparseL19gebsrmvn_4xn_kernelILj128ELj2ELj8E21rocsparse_complex_numIdEEEvi20rocsparse_direction_NS_24const_host_device_scalarIT2_EEPKiS8_PKS5_SA_S6_PS5_21rocsparse_index_base_b,"axG",@progbits,_ZN9rocsparseL19gebsrmvn_4xn_kernelILj128ELj2ELj8E21rocsparse_complex_numIdEEEvi20rocsparse_direction_NS_24const_host_device_scalarIT2_EEPKiS8_PKS5_SA_S6_PS5_21rocsparse_index_base_b,comdat
.Lfunc_end117:
	.size	_ZN9rocsparseL19gebsrmvn_4xn_kernelILj128ELj2ELj8E21rocsparse_complex_numIdEEEvi20rocsparse_direction_NS_24const_host_device_scalarIT2_EEPKiS8_PKS5_SA_S6_PS5_21rocsparse_index_base_b, .Lfunc_end117-_ZN9rocsparseL19gebsrmvn_4xn_kernelILj128ELj2ELj8E21rocsparse_complex_numIdEEEvi20rocsparse_direction_NS_24const_host_device_scalarIT2_EEPKiS8_PKS5_SA_S6_PS5_21rocsparse_index_base_b
                                        ; -- End function
	.set _ZN9rocsparseL19gebsrmvn_4xn_kernelILj128ELj2ELj8E21rocsparse_complex_numIdEEEvi20rocsparse_direction_NS_24const_host_device_scalarIT2_EEPKiS8_PKS5_SA_S6_PS5_21rocsparse_index_base_b.num_vgpr, 76
	.set _ZN9rocsparseL19gebsrmvn_4xn_kernelILj128ELj2ELj8E21rocsparse_complex_numIdEEEvi20rocsparse_direction_NS_24const_host_device_scalarIT2_EEPKiS8_PKS5_SA_S6_PS5_21rocsparse_index_base_b.num_agpr, 0
	.set _ZN9rocsparseL19gebsrmvn_4xn_kernelILj128ELj2ELj8E21rocsparse_complex_numIdEEEvi20rocsparse_direction_NS_24const_host_device_scalarIT2_EEPKiS8_PKS5_SA_S6_PS5_21rocsparse_index_base_b.numbered_sgpr, 16
	.set _ZN9rocsparseL19gebsrmvn_4xn_kernelILj128ELj2ELj8E21rocsparse_complex_numIdEEEvi20rocsparse_direction_NS_24const_host_device_scalarIT2_EEPKiS8_PKS5_SA_S6_PS5_21rocsparse_index_base_b.num_named_barrier, 0
	.set _ZN9rocsparseL19gebsrmvn_4xn_kernelILj128ELj2ELj8E21rocsparse_complex_numIdEEEvi20rocsparse_direction_NS_24const_host_device_scalarIT2_EEPKiS8_PKS5_SA_S6_PS5_21rocsparse_index_base_b.private_seg_size, 0
	.set _ZN9rocsparseL19gebsrmvn_4xn_kernelILj128ELj2ELj8E21rocsparse_complex_numIdEEEvi20rocsparse_direction_NS_24const_host_device_scalarIT2_EEPKiS8_PKS5_SA_S6_PS5_21rocsparse_index_base_b.uses_vcc, 1
	.set _ZN9rocsparseL19gebsrmvn_4xn_kernelILj128ELj2ELj8E21rocsparse_complex_numIdEEEvi20rocsparse_direction_NS_24const_host_device_scalarIT2_EEPKiS8_PKS5_SA_S6_PS5_21rocsparse_index_base_b.uses_flat_scratch, 0
	.set _ZN9rocsparseL19gebsrmvn_4xn_kernelILj128ELj2ELj8E21rocsparse_complex_numIdEEEvi20rocsparse_direction_NS_24const_host_device_scalarIT2_EEPKiS8_PKS5_SA_S6_PS5_21rocsparse_index_base_b.has_dyn_sized_stack, 0
	.set _ZN9rocsparseL19gebsrmvn_4xn_kernelILj128ELj2ELj8E21rocsparse_complex_numIdEEEvi20rocsparse_direction_NS_24const_host_device_scalarIT2_EEPKiS8_PKS5_SA_S6_PS5_21rocsparse_index_base_b.has_recursion, 0
	.set _ZN9rocsparseL19gebsrmvn_4xn_kernelILj128ELj2ELj8E21rocsparse_complex_numIdEEEvi20rocsparse_direction_NS_24const_host_device_scalarIT2_EEPKiS8_PKS5_SA_S6_PS5_21rocsparse_index_base_b.has_indirect_call, 0
	.section	.AMDGPU.csdata,"",@progbits
; Kernel info:
; codeLenInByte = 2176
; TotalNumSgprs: 22
; NumVgprs: 76
; NumAgprs: 0
; TotalNumVgprs: 76
; ScratchSize: 0
; MemoryBound: 0
; FloatMode: 240
; IeeeMode: 1
; LDSByteSize: 0 bytes/workgroup (compile time only)
; SGPRBlocks: 2
; VGPRBlocks: 9
; NumSGPRsForWavesPerEU: 22
; NumVGPRsForWavesPerEU: 76
; AccumOffset: 76
; Occupancy: 6
; WaveLimiterHint : 1
; COMPUTE_PGM_RSRC2:SCRATCH_EN: 0
; COMPUTE_PGM_RSRC2:USER_SGPR: 2
; COMPUTE_PGM_RSRC2:TRAP_HANDLER: 0
; COMPUTE_PGM_RSRC2:TGID_X_EN: 1
; COMPUTE_PGM_RSRC2:TGID_Y_EN: 0
; COMPUTE_PGM_RSRC2:TGID_Z_EN: 0
; COMPUTE_PGM_RSRC2:TIDIG_COMP_CNT: 0
; COMPUTE_PGM_RSRC3_GFX90A:ACCUM_OFFSET: 18
; COMPUTE_PGM_RSRC3_GFX90A:TG_SPLIT: 0
	.section	.text._ZN9rocsparseL19gebsrmvn_4xn_kernelILj128ELj2ELj16E21rocsparse_complex_numIdEEEvi20rocsparse_direction_NS_24const_host_device_scalarIT2_EEPKiS8_PKS5_SA_S6_PS5_21rocsparse_index_base_b,"axG",@progbits,_ZN9rocsparseL19gebsrmvn_4xn_kernelILj128ELj2ELj16E21rocsparse_complex_numIdEEEvi20rocsparse_direction_NS_24const_host_device_scalarIT2_EEPKiS8_PKS5_SA_S6_PS5_21rocsparse_index_base_b,comdat
	.globl	_ZN9rocsparseL19gebsrmvn_4xn_kernelILj128ELj2ELj16E21rocsparse_complex_numIdEEEvi20rocsparse_direction_NS_24const_host_device_scalarIT2_EEPKiS8_PKS5_SA_S6_PS5_21rocsparse_index_base_b ; -- Begin function _ZN9rocsparseL19gebsrmvn_4xn_kernelILj128ELj2ELj16E21rocsparse_complex_numIdEEEvi20rocsparse_direction_NS_24const_host_device_scalarIT2_EEPKiS8_PKS5_SA_S6_PS5_21rocsparse_index_base_b
	.p2align	8
	.type	_ZN9rocsparseL19gebsrmvn_4xn_kernelILj128ELj2ELj16E21rocsparse_complex_numIdEEEvi20rocsparse_direction_NS_24const_host_device_scalarIT2_EEPKiS8_PKS5_SA_S6_PS5_21rocsparse_index_base_b,@function
_ZN9rocsparseL19gebsrmvn_4xn_kernelILj128ELj2ELj16E21rocsparse_complex_numIdEEEvi20rocsparse_direction_NS_24const_host_device_scalarIT2_EEPKiS8_PKS5_SA_S6_PS5_21rocsparse_index_base_b: ; @_ZN9rocsparseL19gebsrmvn_4xn_kernelILj128ELj2ELj16E21rocsparse_complex_numIdEEEvi20rocsparse_direction_NS_24const_host_device_scalarIT2_EEPKiS8_PKS5_SA_S6_PS5_21rocsparse_index_base_b
; %bb.0:
	s_load_dwordx2 s[4:5], s[0:1], 0x8
	s_load_dwordx2 s[6:7], s[0:1], 0x38
	;; [unrolled: 1-line block ×3, first 2 shown]
	s_add_u32 s3, s0, 8
	s_addc_u32 s8, s1, 0
	s_add_u32 s9, s0, 56
	s_addc_u32 s10, s1, 0
	s_waitcnt lgkmcnt(0)
	s_bitcmp1_b32 s13, 0
	s_cselect_b32 s5, s8, s5
	s_cselect_b32 s3, s3, s4
	v_mov_b32_e32 v2, s3
	v_mov_b32_e32 v3, s5
	flat_load_dwordx4 v[2:5], v[2:3]
	s_cselect_b32 s3, s10, s7
	s_cselect_b32 s4, s9, s6
	v_mov_b32_e32 v6, s4
	v_mov_b32_e32 v7, s3
	flat_load_dwordx4 v[6:9], v[6:7]
	s_waitcnt vmcnt(0) lgkmcnt(0)
	v_cmp_eq_f64_e32 vcc, 0, v[2:3]
	v_cmp_eq_f64_e64 s[4:5], 0, v[4:5]
	s_and_b64 s[8:9], vcc, s[4:5]
	s_mov_b64 s[4:5], -1
	s_and_saveexec_b64 s[6:7], s[8:9]
; %bb.1:
	v_cmp_neq_f64_e32 vcc, 1.0, v[6:7]
	v_cmp_neq_f64_e64 s[4:5], 0, v[8:9]
	s_or_b64 s[4:5], vcc, s[4:5]
	s_orn2_b64 s[4:5], s[4:5], exec
; %bb.2:
	s_or_b64 exec, exec, s[6:7]
	s_and_saveexec_b64 s[6:7], s[4:5]
	s_cbranch_execz .LBB118_21
; %bb.3:
	s_load_dwordx2 s[14:15], s[0:1], 0x0
	v_lshrrev_b32_e32 v1, 4, v0
	v_lshl_or_b32 v10, s2, 3, v1
	s_waitcnt lgkmcnt(0)
	v_cmp_gt_i32_e32 vcc, s14, v10
	s_and_b64 exec, exec, vcc
	s_cbranch_execz .LBB118_21
; %bb.4:
	s_load_dwordx8 s[4:11], s[0:1], 0x18
	v_ashrrev_i32_e32 v11, 31, v10
	s_cmp_lg_u32 s15, 0
	s_waitcnt lgkmcnt(0)
	v_lshl_add_u64 v[12:13], v[10:11], 2, s[4:5]
	global_load_dwordx2 v[12:13], v[12:13], off
	v_and_b32_e32 v11, 15, v0
	s_waitcnt vmcnt(0)
	v_subrev_u32_e32 v0, s12, v12
	v_subrev_u32_e32 v32, s12, v13
	v_add_u32_e32 v22, v0, v11
	v_cmp_lt_i32_e64 s[2:3], v22, v32
	s_cbranch_scc0 .LBB118_10
; %bb.5:
	v_mov_b64_e32 v[16:17], 0
	v_mov_b64_e32 v[26:27], 0
	;; [unrolled: 1-line block ×8, first 2 shown]
	s_and_saveexec_b64 s[4:5], s[2:3]
	s_cbranch_execz .LBB118_9
; %bb.6:
	v_lshlrev_b32_e32 v28, 3, v22
	v_mov_b64_e32 v[16:17], 0
	s_mov_b64 s[14:15], 0
	v_mov_b32_e32 v29, 0
	v_mov_b32_e32 v30, v22
	v_mov_b64_e32 v[26:27], 0
	v_mov_b64_e32 v[12:13], 0
	;; [unrolled: 1-line block ×7, first 2 shown]
.LBB118_7:                              ; =>This Inner Loop Header: Depth=1
	v_ashrrev_i32_e32 v31, 31, v30
	v_lshl_add_u64 v[34:35], v[30:31], 2, s[6:7]
	global_load_dword v23, v[34:35], off
	v_mov_b32_e32 v69, v29
	v_lshl_add_u64 v[66:67], v[28:29], 4, s[8:9]
	global_load_dwordx4 v[34:37], v[66:67], off offset:48
	global_load_dwordx4 v[38:41], v[66:67], off offset:32
	global_load_dwordx4 v[42:45], v[66:67], off offset:16
	global_load_dwordx4 v[46:49], v[66:67], off
	global_load_dwordx4 v[50:53], v[66:67], off offset:96
	global_load_dwordx4 v[54:57], v[66:67], off offset:80
	;; [unrolled: 1-line block ×4, first 2 shown]
	v_add_u32_e32 v30, 16, v30
	v_cmp_ge_i32_e32 vcc, v30, v32
	v_add_u32_e32 v28, 0x80, v28
	s_or_b64 s[14:15], vcc, s[14:15]
	s_waitcnt vmcnt(8)
	v_subrev_u32_e32 v23, s12, v23
	v_lshlrev_b32_e32 v68, 1, v23
	v_lshl_add_u64 v[74:75], v[68:69], 4, s[10:11]
	global_load_dwordx4 v[66:69], v[74:75], off
	global_load_dwordx4 v[70:73], v[74:75], off offset:16
	s_waitcnt vmcnt(1)
	v_fmac_f64_e32 v[26:27], v[46:47], v[66:67]
	v_fmac_f64_e32 v[16:17], v[48:49], v[66:67]
	;; [unrolled: 1-line block ×8, first 2 shown]
	v_fma_f64 v[26:27], -v[48:49], v[68:69], v[26:27]
	v_fmac_f64_e32 v[16:17], v[46:47], v[68:69]
	v_fma_f64 v[24:25], -v[44:45], v[68:69], v[24:25]
	v_fmac_f64_e32 v[20:21], v[42:43], v[68:69]
	;; [unrolled: 2-line block ×4, first 2 shown]
	s_waitcnt vmcnt(0)
	v_fmac_f64_e32 v[26:27], v[58:59], v[70:71]
	v_fmac_f64_e32 v[16:17], v[60:61], v[70:71]
	;; [unrolled: 1-line block ×8, first 2 shown]
	v_fma_f64 v[26:27], -v[60:61], v[72:73], v[26:27]
	v_fmac_f64_e32 v[16:17], v[58:59], v[72:73]
	v_fma_f64 v[24:25], -v[56:57], v[72:73], v[24:25]
	v_fmac_f64_e32 v[20:21], v[54:55], v[72:73]
	;; [unrolled: 2-line block ×4, first 2 shown]
	s_andn2_b64 exec, exec, s[14:15]
	s_cbranch_execnz .LBB118_7
; %bb.8:
	s_or_b64 exec, exec, s[14:15]
.LBB118_9:
	s_or_b64 exec, exec, s[4:5]
	s_cbranch_execz .LBB118_11
	s_branch .LBB118_16
.LBB118_10:
                                        ; implicit-def: $vgpr16_vgpr17
                                        ; implicit-def: $vgpr26_vgpr27
                                        ; implicit-def: $vgpr12_vgpr13
                                        ; implicit-def: $vgpr0_vgpr1
                                        ; implicit-def: $vgpr18_vgpr19
                                        ; implicit-def: $vgpr14_vgpr15
                                        ; implicit-def: $vgpr24_vgpr25
                                        ; implicit-def: $vgpr20_vgpr21
.LBB118_11:
	v_mov_b64_e32 v[16:17], 0
	v_mov_b64_e32 v[26:27], 0
	;; [unrolled: 1-line block ×8, first 2 shown]
	s_and_saveexec_b64 s[4:5], s[2:3]
	s_cbranch_execz .LBB118_15
; %bb.12:
	v_lshlrev_b32_e32 v28, 3, v22
	v_mov_b64_e32 v[16:17], 0
	s_mov_b64 s[2:3], 0
	v_mov_b32_e32 v29, 0
	v_mov_b64_e32 v[26:27], 0
	v_mov_b64_e32 v[12:13], 0
	v_mov_b64_e32 v[0:1], 0
	v_mov_b64_e32 v[18:19], 0
	v_mov_b64_e32 v[14:15], 0
	v_mov_b64_e32 v[24:25], 0
	v_mov_b64_e32 v[20:21], 0
.LBB118_13:                             ; =>This Inner Loop Header: Depth=1
	v_ashrrev_i32_e32 v23, 31, v22
	v_lshl_add_u64 v[30:31], v[22:23], 2, s[6:7]
	global_load_dword v23, v[30:31], off
	v_lshl_add_u64 v[30:31], v[28:29], 4, s[8:9]
	v_mov_b32_e32 v67, v29
	global_load_dwordx4 v[34:37], v[30:31], off offset:48
	global_load_dwordx4 v[38:41], v[30:31], off offset:32
	global_load_dwordx4 v[42:45], v[30:31], off offset:16
	global_load_dwordx4 v[46:49], v[30:31], off
	global_load_dwordx4 v[50:53], v[30:31], off offset:112
	global_load_dwordx4 v[54:57], v[30:31], off offset:96
	;; [unrolled: 1-line block ×4, first 2 shown]
	v_add_u32_e32 v22, 16, v22
	v_cmp_ge_i32_e32 vcc, v22, v32
	v_add_u32_e32 v28, 0x80, v28
	s_or_b64 s[2:3], vcc, s[2:3]
	s_waitcnt vmcnt(8)
	v_subrev_u32_e32 v23, s12, v23
	v_lshlrev_b32_e32 v66, 1, v23
	v_lshl_add_u64 v[30:31], v[66:67], 4, s[10:11]
	global_load_dwordx4 v[66:69], v[30:31], off
	global_load_dwordx4 v[70:73], v[30:31], off offset:16
	s_waitcnt vmcnt(1)
	v_fmac_f64_e32 v[26:27], v[46:47], v[66:67]
	v_fmac_f64_e32 v[16:17], v[48:49], v[66:67]
	;; [unrolled: 1-line block ×8, first 2 shown]
	v_fma_f64 v[26:27], -v[48:49], v[68:69], v[26:27]
	v_fmac_f64_e32 v[16:17], v[46:47], v[68:69]
	v_fma_f64 v[24:25], -v[40:41], v[68:69], v[24:25]
	v_fmac_f64_e32 v[20:21], v[38:39], v[68:69]
	;; [unrolled: 2-line block ×4, first 2 shown]
	s_waitcnt vmcnt(0)
	v_fmac_f64_e32 v[26:27], v[42:43], v[70:71]
	v_fmac_f64_e32 v[16:17], v[44:45], v[70:71]
	;; [unrolled: 1-line block ×8, first 2 shown]
	v_fma_f64 v[26:27], -v[44:45], v[72:73], v[26:27]
	v_fmac_f64_e32 v[16:17], v[42:43], v[72:73]
	v_fma_f64 v[24:25], -v[36:37], v[72:73], v[24:25]
	v_fmac_f64_e32 v[20:21], v[34:35], v[72:73]
	;; [unrolled: 2-line block ×4, first 2 shown]
	s_andn2_b64 exec, exec, s[2:3]
	s_cbranch_execnz .LBB118_13
; %bb.14:
	s_or_b64 exec, exec, s[2:3]
.LBB118_15:
	s_or_b64 exec, exec, s[4:5]
.LBB118_16:
	v_mov_b32_dpp v30, v24 row_shr:1 row_mask:0xf bank_mask:0xf
	v_mov_b32_dpp v31, v25 row_shr:1 row_mask:0xf bank_mask:0xf
	v_add_f64 v[24:25], v[24:25], v[30:31]
	v_mov_b32_dpp v22, v26 row_shr:1 row_mask:0xf bank_mask:0xf
	v_mov_b32_dpp v23, v27 row_shr:1 row_mask:0xf bank_mask:0xf
	v_mov_b32_dpp v30, v24 row_shr:2 row_mask:0xf bank_mask:0xf
	v_mov_b32_dpp v31, v25 row_shr:2 row_mask:0xf bank_mask:0xf
	v_add_f64 v[24:25], v[24:25], v[30:31]
	v_mov_b32_dpp v28, v16 row_shr:1 row_mask:0xf bank_mask:0xf
	v_mov_b32_dpp v29, v17 row_shr:1 row_mask:0xf bank_mask:0xf
	;; [unrolled: 5-line block ×3, first 2 shown]
	v_add_f64 v[20:21], v[20:21], v[24:25]
	v_add_f64 v[22:23], v[26:27], v[22:23]
	;; [unrolled: 1-line block ×3, first 2 shown]
	v_mov_b32_dpp v24, v20 row_shr:2 row_mask:0xf bank_mask:0xf
	v_mov_b32_dpp v25, v21 row_shr:2 row_mask:0xf bank_mask:0xf
	v_add_f64 v[20:21], v[20:21], v[24:25]
	v_mov_b32_dpp v26, v22 row_shr:2 row_mask:0xf bank_mask:0xf
	v_mov_b32_dpp v27, v23 row_shr:2 row_mask:0xf bank_mask:0xf
	v_mov_b32_dpp v24, v20 row_shr:4 row_mask:0xf bank_mask:0xe
	v_mov_b32_dpp v25, v21 row_shr:4 row_mask:0xf bank_mask:0xe
	v_add_f64 v[20:21], v[20:21], v[24:25]
	v_mov_b32_dpp v24, v18 row_shr:1 row_mask:0xf bank_mask:0xf
	v_mov_b32_dpp v25, v19 row_shr:1 row_mask:0xf bank_mask:0xf
	v_add_f64 v[18:19], v[18:19], v[24:25]
	v_mov_b32_dpp v28, v16 row_shr:2 row_mask:0xf bank_mask:0xf
	v_mov_b32_dpp v29, v17 row_shr:2 row_mask:0xf bank_mask:0xf
	;; [unrolled: 1-line block ×4, first 2 shown]
	v_add_f64 v[18:19], v[18:19], v[24:25]
	v_add_f64 v[22:23], v[22:23], v[26:27]
	;; [unrolled: 1-line block ×3, first 2 shown]
	v_mov_b32_dpp v24, v18 row_shr:4 row_mask:0xf bank_mask:0xe
	v_mov_b32_dpp v25, v19 row_shr:4 row_mask:0xf bank_mask:0xe
	v_add_f64 v[36:37], v[18:19], v[24:25]
	v_mov_b32_dpp v18, v14 row_shr:1 row_mask:0xf bank_mask:0xf
	v_mov_b32_dpp v19, v15 row_shr:1 row_mask:0xf bank_mask:0xf
	v_add_f64 v[14:15], v[14:15], v[18:19]
	v_mov_b32_dpp v26, v22 row_shr:4 row_mask:0xf bank_mask:0xe
	v_mov_b32_dpp v27, v23 row_shr:4 row_mask:0xf bank_mask:0xe
	v_mov_b32_dpp v18, v14 row_shr:2 row_mask:0xf bank_mask:0xf
	v_mov_b32_dpp v19, v15 row_shr:2 row_mask:0xf bank_mask:0xf
	v_add_f64 v[14:15], v[14:15], v[18:19]
	v_mov_b32_dpp v28, v16 row_shr:4 row_mask:0xf bank_mask:0xe
	v_mov_b32_dpp v29, v17 row_shr:4 row_mask:0xf bank_mask:0xe
	;; [unrolled: 5-line block ×3, first 2 shown]
	v_add_f64 v[12:13], v[12:13], v[14:15]
	v_add_f64 v[22:23], v[22:23], v[26:27]
	v_add_f64 v[16:17], v[16:17], v[28:29]
	v_mov_b32_dpp v14, v12 row_shr:2 row_mask:0xf bank_mask:0xf
	v_mov_b32_dpp v15, v13 row_shr:2 row_mask:0xf bank_mask:0xf
	v_add_f64 v[12:13], v[12:13], v[14:15]
	v_mov_b32_dpp v26, v22 row_shr:8 row_mask:0xf bank_mask:0xc
	v_mov_b32_dpp v27, v23 row_shr:8 row_mask:0xf bank_mask:0xc
	;; [unrolled: 1-line block ×4, first 2 shown]
	v_add_f64 v[44:45], v[12:13], v[14:15]
	v_mov_b32_dpp v12, v0 row_shr:1 row_mask:0xf bank_mask:0xf
	v_mov_b32_dpp v13, v1 row_shr:1 row_mask:0xf bank_mask:0xf
	v_add_f64 v[0:1], v[0:1], v[12:13]
	v_mov_b32_dpp v28, v16 row_shr:8 row_mask:0xf bank_mask:0xc
	v_mov_b32_dpp v29, v17 row_shr:8 row_mask:0xf bank_mask:0xc
	v_mov_b32_dpp v12, v0 row_shr:2 row_mask:0xf bank_mask:0xf
	v_mov_b32_dpp v13, v1 row_shr:2 row_mask:0xf bank_mask:0xf
	v_add_f64 v[0:1], v[0:1], v[12:13]
	v_mov_b32_dpp v32, v30 row_shr:8 row_mask:0xf bank_mask:0xc
	v_mov_b32_dpp v33, v31 row_shr:8 row_mask:0xf bank_mask:0xc
	;; [unrolled: 5-line block ×3, first 2 shown]
	v_mov_b32_dpp v38, v36 row_shr:8 row_mask:0xf bank_mask:0xc
	v_mov_b32_dpp v39, v37 row_shr:8 row_mask:0xf bank_mask:0xc
	;; [unrolled: 1-line block ×8, first 2 shown]
	v_cmp_eq_u32_e32 vcc, 15, v11
	s_and_b64 exec, exec, vcc
	s_cbranch_execz .LBB118_21
; %bb.17:
	s_load_dwordx2 s[2:3], s[0:1], 0x48
	v_cmp_eq_f64_e32 vcc, 0, v[6:7]
	v_cmp_eq_f64_e64 s[0:1], 0, v[8:9]
	v_add_f64 v[18:19], v[22:23], v[26:27]
	v_add_f64 v[24:25], v[16:17], v[28:29]
	;; [unrolled: 1-line block ×8, first 2 shown]
	s_and_b64 s[0:1], vcc, s[0:1]
	s_and_saveexec_b64 s[4:5], s[0:1]
	s_xor_b64 s[0:1], exec, s[4:5]
	s_cbranch_execz .LBB118_19
; %bb.18:
	v_lshlrev_b32_e32 v10, 2, v10
	v_mul_f64 v[6:7], v[24:25], -v[4:5]
	v_mul_f64 v[8:9], v[2:3], v[24:25]
	v_ashrrev_i32_e32 v11, 31, v10
	v_fmac_f64_e32 v[6:7], v[2:3], v[18:19]
	v_fmac_f64_e32 v[8:9], v[4:5], v[18:19]
	s_waitcnt lgkmcnt(0)
	v_lshl_add_u64 v[10:11], v[10:11], 4, s[2:3]
	global_store_dwordx4 v[10:11], v[6:9], off
                                        ; implicit-def: $vgpr18_vgpr19
                                        ; implicit-def: $vgpr24_vgpr25
	s_nop 1
	v_mul_f64 v[6:7], v[22:23], -v[4:5]
	v_mul_f64 v[8:9], v[2:3], v[22:23]
	v_fmac_f64_e32 v[6:7], v[2:3], v[14:15]
	v_fmac_f64_e32 v[8:9], v[4:5], v[14:15]
	global_store_dwordx4 v[10:11], v[6:9], off offset:16
                                        ; implicit-def: $vgpr14_vgpr15
                                        ; implicit-def: $vgpr22_vgpr23
	s_nop 1
	v_mul_f64 v[6:7], v[20:21], -v[4:5]
	v_mul_f64 v[8:9], v[2:3], v[20:21]
	v_fmac_f64_e32 v[6:7], v[2:3], v[12:13]
	v_fmac_f64_e32 v[8:9], v[4:5], v[12:13]
	global_store_dwordx4 v[10:11], v[6:9], off offset:32
                                        ; implicit-def: $vgpr12_vgpr13
                                        ; implicit-def: $vgpr20_vgpr21
	s_nop 1
	v_mul_f64 v[6:7], v[16:17], -v[4:5]
	v_mul_f64 v[8:9], v[2:3], v[16:17]
	v_fmac_f64_e32 v[6:7], v[2:3], v[0:1]
	v_fmac_f64_e32 v[8:9], v[4:5], v[0:1]
	global_store_dwordx4 v[10:11], v[6:9], off offset:48
                                        ; implicit-def: $vgpr10
                                        ; implicit-def: $vgpr0_vgpr1
                                        ; implicit-def: $vgpr16_vgpr17
                                        ; implicit-def: $vgpr8_vgpr9
                                        ; implicit-def: $vgpr4_vgpr5
.LBB118_19:
	s_andn2_saveexec_b64 s[0:1], s[0:1]
	s_cbranch_execz .LBB118_21
; %bb.20:
	v_lshlrev_b32_e32 v10, 2, v10
	v_ashrrev_i32_e32 v11, 31, v10
	s_waitcnt lgkmcnt(0)
	v_lshl_add_u64 v[46:47], v[10:11], 4, s[2:3]
	global_load_dwordx4 v[26:29], v[46:47], off
	global_load_dwordx4 v[30:33], v[46:47], off offset:16
	global_load_dwordx4 v[34:37], v[46:47], off offset:32
	;; [unrolled: 1-line block ×3, first 2 shown]
	v_mul_f64 v[42:43], v[24:25], -v[4:5]
	v_mul_f64 v[24:25], v[2:3], v[24:25]
	v_mul_f64 v[48:49], v[22:23], -v[4:5]
	v_mul_f64 v[44:45], v[2:3], v[22:23]
	;; [unrolled: 2-line block ×4, first 2 shown]
	v_fmac_f64_e32 v[42:43], v[2:3], v[18:19]
	v_fmac_f64_e32 v[24:25], v[4:5], v[18:19]
	;; [unrolled: 1-line block ×8, first 2 shown]
	s_waitcnt vmcnt(3)
	v_fmac_f64_e32 v[42:43], v[6:7], v[26:27]
	v_fmac_f64_e32 v[24:25], v[8:9], v[26:27]
	s_waitcnt vmcnt(2)
	v_fmac_f64_e32 v[48:49], v[6:7], v[30:31]
	v_fmac_f64_e32 v[44:45], v[8:9], v[30:31]
	;; [unrolled: 3-line block ×4, first 2 shown]
	v_fma_f64 v[22:23], -v[8:9], v[28:29], v[42:43]
	v_fmac_f64_e32 v[24:25], v[6:7], v[28:29]
	v_fma_f64 v[42:43], -v[8:9], v[32:33], v[48:49]
	v_fmac_f64_e32 v[44:45], v[6:7], v[32:33]
	;; [unrolled: 2-line block ×4, first 2 shown]
	global_store_dwordx4 v[46:47], v[22:25], off
	global_store_dwordx4 v[46:47], v[42:45], off offset:16
	global_store_dwordx4 v[46:47], v[18:21], off offset:32
	global_store_dwordx4 v[46:47], v[8:11], off offset:48
.LBB118_21:
	s_endpgm
	.section	.rodata,"a",@progbits
	.p2align	6, 0x0
	.amdhsa_kernel _ZN9rocsparseL19gebsrmvn_4xn_kernelILj128ELj2ELj16E21rocsparse_complex_numIdEEEvi20rocsparse_direction_NS_24const_host_device_scalarIT2_EEPKiS8_PKS5_SA_S6_PS5_21rocsparse_index_base_b
		.amdhsa_group_segment_fixed_size 0
		.amdhsa_private_segment_fixed_size 0
		.amdhsa_kernarg_size 88
		.amdhsa_user_sgpr_count 2
		.amdhsa_user_sgpr_dispatch_ptr 0
		.amdhsa_user_sgpr_queue_ptr 0
		.amdhsa_user_sgpr_kernarg_segment_ptr 1
		.amdhsa_user_sgpr_dispatch_id 0
		.amdhsa_user_sgpr_kernarg_preload_length 0
		.amdhsa_user_sgpr_kernarg_preload_offset 0
		.amdhsa_user_sgpr_private_segment_size 0
		.amdhsa_uses_dynamic_stack 0
		.amdhsa_enable_private_segment 0
		.amdhsa_system_sgpr_workgroup_id_x 1
		.amdhsa_system_sgpr_workgroup_id_y 0
		.amdhsa_system_sgpr_workgroup_id_z 0
		.amdhsa_system_sgpr_workgroup_info 0
		.amdhsa_system_vgpr_workitem_id 0
		.amdhsa_next_free_vgpr 76
		.amdhsa_next_free_sgpr 16
		.amdhsa_accum_offset 76
		.amdhsa_reserve_vcc 1
		.amdhsa_float_round_mode_32 0
		.amdhsa_float_round_mode_16_64 0
		.amdhsa_float_denorm_mode_32 3
		.amdhsa_float_denorm_mode_16_64 3
		.amdhsa_dx10_clamp 1
		.amdhsa_ieee_mode 1
		.amdhsa_fp16_overflow 0
		.amdhsa_tg_split 0
		.amdhsa_exception_fp_ieee_invalid_op 0
		.amdhsa_exception_fp_denorm_src 0
		.amdhsa_exception_fp_ieee_div_zero 0
		.amdhsa_exception_fp_ieee_overflow 0
		.amdhsa_exception_fp_ieee_underflow 0
		.amdhsa_exception_fp_ieee_inexact 0
		.amdhsa_exception_int_div_zero 0
	.end_amdhsa_kernel
	.section	.text._ZN9rocsparseL19gebsrmvn_4xn_kernelILj128ELj2ELj16E21rocsparse_complex_numIdEEEvi20rocsparse_direction_NS_24const_host_device_scalarIT2_EEPKiS8_PKS5_SA_S6_PS5_21rocsparse_index_base_b,"axG",@progbits,_ZN9rocsparseL19gebsrmvn_4xn_kernelILj128ELj2ELj16E21rocsparse_complex_numIdEEEvi20rocsparse_direction_NS_24const_host_device_scalarIT2_EEPKiS8_PKS5_SA_S6_PS5_21rocsparse_index_base_b,comdat
.Lfunc_end118:
	.size	_ZN9rocsparseL19gebsrmvn_4xn_kernelILj128ELj2ELj16E21rocsparse_complex_numIdEEEvi20rocsparse_direction_NS_24const_host_device_scalarIT2_EEPKiS8_PKS5_SA_S6_PS5_21rocsparse_index_base_b, .Lfunc_end118-_ZN9rocsparseL19gebsrmvn_4xn_kernelILj128ELj2ELj16E21rocsparse_complex_numIdEEEvi20rocsparse_direction_NS_24const_host_device_scalarIT2_EEPKiS8_PKS5_SA_S6_PS5_21rocsparse_index_base_b
                                        ; -- End function
	.set _ZN9rocsparseL19gebsrmvn_4xn_kernelILj128ELj2ELj16E21rocsparse_complex_numIdEEEvi20rocsparse_direction_NS_24const_host_device_scalarIT2_EEPKiS8_PKS5_SA_S6_PS5_21rocsparse_index_base_b.num_vgpr, 76
	.set _ZN9rocsparseL19gebsrmvn_4xn_kernelILj128ELj2ELj16E21rocsparse_complex_numIdEEEvi20rocsparse_direction_NS_24const_host_device_scalarIT2_EEPKiS8_PKS5_SA_S6_PS5_21rocsparse_index_base_b.num_agpr, 0
	.set _ZN9rocsparseL19gebsrmvn_4xn_kernelILj128ELj2ELj16E21rocsparse_complex_numIdEEEvi20rocsparse_direction_NS_24const_host_device_scalarIT2_EEPKiS8_PKS5_SA_S6_PS5_21rocsparse_index_base_b.numbered_sgpr, 16
	.set _ZN9rocsparseL19gebsrmvn_4xn_kernelILj128ELj2ELj16E21rocsparse_complex_numIdEEEvi20rocsparse_direction_NS_24const_host_device_scalarIT2_EEPKiS8_PKS5_SA_S6_PS5_21rocsparse_index_base_b.num_named_barrier, 0
	.set _ZN9rocsparseL19gebsrmvn_4xn_kernelILj128ELj2ELj16E21rocsparse_complex_numIdEEEvi20rocsparse_direction_NS_24const_host_device_scalarIT2_EEPKiS8_PKS5_SA_S6_PS5_21rocsparse_index_base_b.private_seg_size, 0
	.set _ZN9rocsparseL19gebsrmvn_4xn_kernelILj128ELj2ELj16E21rocsparse_complex_numIdEEEvi20rocsparse_direction_NS_24const_host_device_scalarIT2_EEPKiS8_PKS5_SA_S6_PS5_21rocsparse_index_base_b.uses_vcc, 1
	.set _ZN9rocsparseL19gebsrmvn_4xn_kernelILj128ELj2ELj16E21rocsparse_complex_numIdEEEvi20rocsparse_direction_NS_24const_host_device_scalarIT2_EEPKiS8_PKS5_SA_S6_PS5_21rocsparse_index_base_b.uses_flat_scratch, 0
	.set _ZN9rocsparseL19gebsrmvn_4xn_kernelILj128ELj2ELj16E21rocsparse_complex_numIdEEEvi20rocsparse_direction_NS_24const_host_device_scalarIT2_EEPKiS8_PKS5_SA_S6_PS5_21rocsparse_index_base_b.has_dyn_sized_stack, 0
	.set _ZN9rocsparseL19gebsrmvn_4xn_kernelILj128ELj2ELj16E21rocsparse_complex_numIdEEEvi20rocsparse_direction_NS_24const_host_device_scalarIT2_EEPKiS8_PKS5_SA_S6_PS5_21rocsparse_index_base_b.has_recursion, 0
	.set _ZN9rocsparseL19gebsrmvn_4xn_kernelILj128ELj2ELj16E21rocsparse_complex_numIdEEEvi20rocsparse_direction_NS_24const_host_device_scalarIT2_EEPKiS8_PKS5_SA_S6_PS5_21rocsparse_index_base_b.has_indirect_call, 0
	.section	.AMDGPU.csdata,"",@progbits
; Kernel info:
; codeLenInByte = 2376
; TotalNumSgprs: 22
; NumVgprs: 76
; NumAgprs: 0
; TotalNumVgprs: 76
; ScratchSize: 0
; MemoryBound: 0
; FloatMode: 240
; IeeeMode: 1
; LDSByteSize: 0 bytes/workgroup (compile time only)
; SGPRBlocks: 2
; VGPRBlocks: 9
; NumSGPRsForWavesPerEU: 22
; NumVGPRsForWavesPerEU: 76
; AccumOffset: 76
; Occupancy: 6
; WaveLimiterHint : 1
; COMPUTE_PGM_RSRC2:SCRATCH_EN: 0
; COMPUTE_PGM_RSRC2:USER_SGPR: 2
; COMPUTE_PGM_RSRC2:TRAP_HANDLER: 0
; COMPUTE_PGM_RSRC2:TGID_X_EN: 1
; COMPUTE_PGM_RSRC2:TGID_Y_EN: 0
; COMPUTE_PGM_RSRC2:TGID_Z_EN: 0
; COMPUTE_PGM_RSRC2:TIDIG_COMP_CNT: 0
; COMPUTE_PGM_RSRC3_GFX90A:ACCUM_OFFSET: 18
; COMPUTE_PGM_RSRC3_GFX90A:TG_SPLIT: 0
	.section	.text._ZN9rocsparseL19gebsrmvn_4xn_kernelILj128ELj2ELj32E21rocsparse_complex_numIdEEEvi20rocsparse_direction_NS_24const_host_device_scalarIT2_EEPKiS8_PKS5_SA_S6_PS5_21rocsparse_index_base_b,"axG",@progbits,_ZN9rocsparseL19gebsrmvn_4xn_kernelILj128ELj2ELj32E21rocsparse_complex_numIdEEEvi20rocsparse_direction_NS_24const_host_device_scalarIT2_EEPKiS8_PKS5_SA_S6_PS5_21rocsparse_index_base_b,comdat
	.globl	_ZN9rocsparseL19gebsrmvn_4xn_kernelILj128ELj2ELj32E21rocsparse_complex_numIdEEEvi20rocsparse_direction_NS_24const_host_device_scalarIT2_EEPKiS8_PKS5_SA_S6_PS5_21rocsparse_index_base_b ; -- Begin function _ZN9rocsparseL19gebsrmvn_4xn_kernelILj128ELj2ELj32E21rocsparse_complex_numIdEEEvi20rocsparse_direction_NS_24const_host_device_scalarIT2_EEPKiS8_PKS5_SA_S6_PS5_21rocsparse_index_base_b
	.p2align	8
	.type	_ZN9rocsparseL19gebsrmvn_4xn_kernelILj128ELj2ELj32E21rocsparse_complex_numIdEEEvi20rocsparse_direction_NS_24const_host_device_scalarIT2_EEPKiS8_PKS5_SA_S6_PS5_21rocsparse_index_base_b,@function
_ZN9rocsparseL19gebsrmvn_4xn_kernelILj128ELj2ELj32E21rocsparse_complex_numIdEEEvi20rocsparse_direction_NS_24const_host_device_scalarIT2_EEPKiS8_PKS5_SA_S6_PS5_21rocsparse_index_base_b: ; @_ZN9rocsparseL19gebsrmvn_4xn_kernelILj128ELj2ELj32E21rocsparse_complex_numIdEEEvi20rocsparse_direction_NS_24const_host_device_scalarIT2_EEPKiS8_PKS5_SA_S6_PS5_21rocsparse_index_base_b
; %bb.0:
	s_load_dwordx2 s[4:5], s[0:1], 0x8
	s_load_dwordx2 s[6:7], s[0:1], 0x38
	;; [unrolled: 1-line block ×3, first 2 shown]
	s_add_u32 s3, s0, 8
	s_addc_u32 s8, s1, 0
	s_add_u32 s9, s0, 56
	s_addc_u32 s10, s1, 0
	s_waitcnt lgkmcnt(0)
	s_bitcmp1_b32 s13, 0
	s_cselect_b32 s5, s8, s5
	s_cselect_b32 s3, s3, s4
	v_mov_b32_e32 v2, s3
	v_mov_b32_e32 v3, s5
	flat_load_dwordx4 v[2:5], v[2:3]
	s_cselect_b32 s3, s10, s7
	s_cselect_b32 s4, s9, s6
	v_mov_b32_e32 v6, s4
	v_mov_b32_e32 v7, s3
	flat_load_dwordx4 v[6:9], v[6:7]
	s_waitcnt vmcnt(0) lgkmcnt(0)
	v_cmp_eq_f64_e32 vcc, 0, v[2:3]
	v_cmp_eq_f64_e64 s[4:5], 0, v[4:5]
	s_and_b64 s[8:9], vcc, s[4:5]
	s_mov_b64 s[4:5], -1
	s_and_saveexec_b64 s[6:7], s[8:9]
; %bb.1:
	v_cmp_neq_f64_e32 vcc, 1.0, v[6:7]
	v_cmp_neq_f64_e64 s[4:5], 0, v[8:9]
	s_or_b64 s[4:5], vcc, s[4:5]
	s_orn2_b64 s[4:5], s[4:5], exec
; %bb.2:
	s_or_b64 exec, exec, s[6:7]
	s_and_saveexec_b64 s[6:7], s[4:5]
	s_cbranch_execz .LBB119_21
; %bb.3:
	s_load_dwordx2 s[14:15], s[0:1], 0x0
	v_lshrrev_b32_e32 v1, 5, v0
	v_lshl_or_b32 v10, s2, 2, v1
	s_waitcnt lgkmcnt(0)
	v_cmp_gt_i32_e32 vcc, s14, v10
	s_and_b64 exec, exec, vcc
	s_cbranch_execz .LBB119_21
; %bb.4:
	s_load_dwordx8 s[4:11], s[0:1], 0x18
	v_ashrrev_i32_e32 v11, 31, v10
	s_cmp_lg_u32 s15, 0
	s_waitcnt lgkmcnt(0)
	v_lshl_add_u64 v[12:13], v[10:11], 2, s[4:5]
	global_load_dwordx2 v[12:13], v[12:13], off
	v_and_b32_e32 v11, 31, v0
	s_waitcnt vmcnt(0)
	v_subrev_u32_e32 v0, s12, v12
	v_subrev_u32_e32 v32, s12, v13
	v_add_u32_e32 v22, v0, v11
	v_cmp_lt_i32_e64 s[2:3], v22, v32
	s_cbranch_scc0 .LBB119_10
; %bb.5:
	v_mov_b64_e32 v[16:17], 0
	v_mov_b64_e32 v[26:27], 0
	;; [unrolled: 1-line block ×8, first 2 shown]
	s_and_saveexec_b64 s[4:5], s[2:3]
	s_cbranch_execz .LBB119_9
; %bb.6:
	v_lshlrev_b32_e32 v28, 3, v22
	v_mov_b64_e32 v[16:17], 0
	s_mov_b64 s[14:15], 0
	v_mov_b32_e32 v29, 0
	v_mov_b32_e32 v30, v22
	v_mov_b64_e32 v[26:27], 0
	v_mov_b64_e32 v[12:13], 0
	;; [unrolled: 1-line block ×7, first 2 shown]
.LBB119_7:                              ; =>This Inner Loop Header: Depth=1
	v_ashrrev_i32_e32 v31, 31, v30
	v_lshl_add_u64 v[34:35], v[30:31], 2, s[6:7]
	global_load_dword v23, v[34:35], off
	v_mov_b32_e32 v69, v29
	v_lshl_add_u64 v[66:67], v[28:29], 4, s[8:9]
	global_load_dwordx4 v[34:37], v[66:67], off offset:48
	global_load_dwordx4 v[38:41], v[66:67], off offset:32
	;; [unrolled: 1-line block ×3, first 2 shown]
	global_load_dwordx4 v[46:49], v[66:67], off
	global_load_dwordx4 v[50:53], v[66:67], off offset:96
	global_load_dwordx4 v[54:57], v[66:67], off offset:80
	;; [unrolled: 1-line block ×4, first 2 shown]
	v_add_u32_e32 v30, 32, v30
	v_cmp_ge_i32_e32 vcc, v30, v32
	v_add_u32_e32 v28, 0x100, v28
	s_or_b64 s[14:15], vcc, s[14:15]
	s_waitcnt vmcnt(8)
	v_subrev_u32_e32 v23, s12, v23
	v_lshlrev_b32_e32 v68, 1, v23
	v_lshl_add_u64 v[74:75], v[68:69], 4, s[10:11]
	global_load_dwordx4 v[66:69], v[74:75], off
	global_load_dwordx4 v[70:73], v[74:75], off offset:16
	s_waitcnt vmcnt(1)
	v_fmac_f64_e32 v[26:27], v[46:47], v[66:67]
	v_fmac_f64_e32 v[16:17], v[48:49], v[66:67]
	;; [unrolled: 1-line block ×8, first 2 shown]
	v_fma_f64 v[26:27], -v[48:49], v[68:69], v[26:27]
	v_fmac_f64_e32 v[16:17], v[46:47], v[68:69]
	v_fma_f64 v[24:25], -v[44:45], v[68:69], v[24:25]
	v_fmac_f64_e32 v[20:21], v[42:43], v[68:69]
	;; [unrolled: 2-line block ×4, first 2 shown]
	s_waitcnt vmcnt(0)
	v_fmac_f64_e32 v[26:27], v[58:59], v[70:71]
	v_fmac_f64_e32 v[16:17], v[60:61], v[70:71]
	;; [unrolled: 1-line block ×8, first 2 shown]
	v_fma_f64 v[26:27], -v[60:61], v[72:73], v[26:27]
	v_fmac_f64_e32 v[16:17], v[58:59], v[72:73]
	v_fma_f64 v[24:25], -v[56:57], v[72:73], v[24:25]
	v_fmac_f64_e32 v[20:21], v[54:55], v[72:73]
	;; [unrolled: 2-line block ×4, first 2 shown]
	s_andn2_b64 exec, exec, s[14:15]
	s_cbranch_execnz .LBB119_7
; %bb.8:
	s_or_b64 exec, exec, s[14:15]
.LBB119_9:
	s_or_b64 exec, exec, s[4:5]
	s_cbranch_execz .LBB119_11
	s_branch .LBB119_16
.LBB119_10:
                                        ; implicit-def: $vgpr16_vgpr17
                                        ; implicit-def: $vgpr26_vgpr27
                                        ; implicit-def: $vgpr12_vgpr13
                                        ; implicit-def: $vgpr0_vgpr1
                                        ; implicit-def: $vgpr18_vgpr19
                                        ; implicit-def: $vgpr14_vgpr15
                                        ; implicit-def: $vgpr24_vgpr25
                                        ; implicit-def: $vgpr20_vgpr21
.LBB119_11:
	v_mov_b64_e32 v[16:17], 0
	v_mov_b64_e32 v[26:27], 0
	;; [unrolled: 1-line block ×8, first 2 shown]
	s_and_saveexec_b64 s[4:5], s[2:3]
	s_cbranch_execz .LBB119_15
; %bb.12:
	v_lshlrev_b32_e32 v28, 3, v22
	v_mov_b64_e32 v[16:17], 0
	s_mov_b64 s[2:3], 0
	v_mov_b32_e32 v29, 0
	v_mov_b64_e32 v[26:27], 0
	v_mov_b64_e32 v[12:13], 0
	;; [unrolled: 1-line block ×7, first 2 shown]
.LBB119_13:                             ; =>This Inner Loop Header: Depth=1
	v_ashrrev_i32_e32 v23, 31, v22
	v_lshl_add_u64 v[30:31], v[22:23], 2, s[6:7]
	global_load_dword v23, v[30:31], off
	v_lshl_add_u64 v[30:31], v[28:29], 4, s[8:9]
	v_mov_b32_e32 v67, v29
	global_load_dwordx4 v[34:37], v[30:31], off offset:48
	global_load_dwordx4 v[38:41], v[30:31], off offset:32
	;; [unrolled: 1-line block ×3, first 2 shown]
	global_load_dwordx4 v[46:49], v[30:31], off
	global_load_dwordx4 v[50:53], v[30:31], off offset:112
	global_load_dwordx4 v[54:57], v[30:31], off offset:96
	;; [unrolled: 1-line block ×4, first 2 shown]
	v_add_u32_e32 v22, 32, v22
	v_cmp_ge_i32_e32 vcc, v22, v32
	v_add_u32_e32 v28, 0x100, v28
	s_or_b64 s[2:3], vcc, s[2:3]
	s_waitcnt vmcnt(8)
	v_subrev_u32_e32 v23, s12, v23
	v_lshlrev_b32_e32 v66, 1, v23
	v_lshl_add_u64 v[30:31], v[66:67], 4, s[10:11]
	global_load_dwordx4 v[66:69], v[30:31], off
	global_load_dwordx4 v[70:73], v[30:31], off offset:16
	s_waitcnt vmcnt(1)
	v_fmac_f64_e32 v[26:27], v[46:47], v[66:67]
	v_fmac_f64_e32 v[16:17], v[48:49], v[66:67]
	;; [unrolled: 1-line block ×8, first 2 shown]
	v_fma_f64 v[26:27], -v[48:49], v[68:69], v[26:27]
	v_fmac_f64_e32 v[16:17], v[46:47], v[68:69]
	v_fma_f64 v[24:25], -v[40:41], v[68:69], v[24:25]
	v_fmac_f64_e32 v[20:21], v[38:39], v[68:69]
	;; [unrolled: 2-line block ×4, first 2 shown]
	s_waitcnt vmcnt(0)
	v_fmac_f64_e32 v[26:27], v[42:43], v[70:71]
	v_fmac_f64_e32 v[16:17], v[44:45], v[70:71]
	;; [unrolled: 1-line block ×8, first 2 shown]
	v_fma_f64 v[26:27], -v[44:45], v[72:73], v[26:27]
	v_fmac_f64_e32 v[16:17], v[42:43], v[72:73]
	v_fma_f64 v[24:25], -v[36:37], v[72:73], v[24:25]
	v_fmac_f64_e32 v[20:21], v[34:35], v[72:73]
	v_fma_f64 v[18:19], -v[60:61], v[72:73], v[18:19]
	v_fmac_f64_e32 v[14:15], v[58:59], v[72:73]
	v_fma_f64 v[12:13], -v[52:53], v[72:73], v[12:13]
	v_fmac_f64_e32 v[0:1], v[50:51], v[72:73]
	s_andn2_b64 exec, exec, s[2:3]
	s_cbranch_execnz .LBB119_13
; %bb.14:
	s_or_b64 exec, exec, s[2:3]
.LBB119_15:
	s_or_b64 exec, exec, s[4:5]
.LBB119_16:
	v_mov_b32_dpp v34, v18 row_shr:1 row_mask:0xf bank_mask:0xf
	v_mov_b32_dpp v35, v19 row_shr:1 row_mask:0xf bank_mask:0xf
	v_add_f64 v[18:19], v[18:19], v[34:35]
	v_mov_b32_dpp v22, v26 row_shr:1 row_mask:0xf bank_mask:0xf
	v_mov_b32_dpp v23, v27 row_shr:1 row_mask:0xf bank_mask:0xf
	v_mov_b32_dpp v34, v18 row_shr:2 row_mask:0xf bank_mask:0xf
	v_mov_b32_dpp v35, v19 row_shr:2 row_mask:0xf bank_mask:0xf
	v_add_f64 v[18:19], v[18:19], v[34:35]
	v_mov_b32_dpp v28, v16 row_shr:1 row_mask:0xf bank_mask:0xf
	v_mov_b32_dpp v29, v17 row_shr:1 row_mask:0xf bank_mask:0xf
	;; [unrolled: 5-line block ×4, first 2 shown]
	v_add_f64 v[14:15], v[14:15], v[18:19]
	v_mov_b32_dpp v32, v20 row_shr:1 row_mask:0xf bank_mask:0xf
	v_mov_b32_dpp v33, v21 row_shr:1 row_mask:0xf bank_mask:0xf
	;; [unrolled: 1-line block ×4, first 2 shown]
	v_add_f64 v[14:15], v[14:15], v[18:19]
	v_add_f64 v[22:23], v[26:27], v[22:23]
	;; [unrolled: 1-line block ×3, first 2 shown]
	v_mov_b32_dpp v18, v14 row_shr:4 row_mask:0xf bank_mask:0xe
	v_mov_b32_dpp v19, v15 row_shr:4 row_mask:0xf bank_mask:0xe
	v_add_f64 v[14:15], v[14:15], v[18:19]
	v_add_f64 v[24:25], v[24:25], v[30:31]
	;; [unrolled: 1-line block ×3, first 2 shown]
	v_mov_b32_dpp v18, v14 row_shr:8 row_mask:0xf bank_mask:0xc
	v_mov_b32_dpp v19, v15 row_shr:8 row_mask:0xf bank_mask:0xc
	v_add_f64 v[38:39], v[14:15], v[18:19]
	v_mov_b32_dpp v14, v12 row_shr:1 row_mask:0xf bank_mask:0xf
	v_mov_b32_dpp v15, v13 row_shr:1 row_mask:0xf bank_mask:0xf
	v_add_f64 v[12:13], v[12:13], v[14:15]
	v_mov_b32_dpp v26, v22 row_shr:2 row_mask:0xf bank_mask:0xf
	v_mov_b32_dpp v27, v23 row_shr:2 row_mask:0xf bank_mask:0xf
	v_mov_b32_dpp v14, v12 row_shr:2 row_mask:0xf bank_mask:0xf
	v_mov_b32_dpp v15, v13 row_shr:2 row_mask:0xf bank_mask:0xf
	v_add_f64 v[12:13], v[12:13], v[14:15]
	v_mov_b32_dpp v28, v16 row_shr:2 row_mask:0xf bank_mask:0xf
	v_mov_b32_dpp v29, v17 row_shr:2 row_mask:0xf bank_mask:0xf
	;; [unrolled: 5-line block ×4, first 2 shown]
	v_add_f64 v[0:1], v[0:1], v[12:13]
	v_mov_b32_dpp v32, v20 row_shr:2 row_mask:0xf bank_mask:0xf
	v_mov_b32_dpp v33, v21 row_shr:2 row_mask:0xf bank_mask:0xf
	v_mov_b32_dpp v12, v0 row_shr:2 row_mask:0xf bank_mask:0xf
	v_mov_b32_dpp v13, v1 row_shr:2 row_mask:0xf bank_mask:0xf
	v_add_f64 v[22:23], v[22:23], v[26:27]
	v_add_f64 v[16:17], v[16:17], v[28:29]
	;; [unrolled: 1-line block ×5, first 2 shown]
	v_mov_b32_dpp v26, v22 row_shr:4 row_mask:0xf bank_mask:0xe
	v_mov_b32_dpp v27, v23 row_shr:4 row_mask:0xf bank_mask:0xe
	;; [unrolled: 1-line block ×10, first 2 shown]
	v_add_f64 v[22:23], v[22:23], v[26:27]
	v_add_f64 v[16:17], v[16:17], v[28:29]
	;; [unrolled: 1-line block ×5, first 2 shown]
	v_mov_b32_dpp v26, v22 row_shr:8 row_mask:0xf bank_mask:0xc
	v_mov_b32_dpp v27, v23 row_shr:8 row_mask:0xf bank_mask:0xc
	;; [unrolled: 1-line block ×10, first 2 shown]
	v_add_f64 v[22:23], v[22:23], v[26:27]
	v_add_f64 v[16:17], v[16:17], v[28:29]
	;; [unrolled: 1-line block ×5, first 2 shown]
	v_mov_b32_dpp v26, v22 row_bcast:15 row_mask:0xa bank_mask:0xf
	v_mov_b32_dpp v27, v23 row_bcast:15 row_mask:0xa bank_mask:0xf
	;; [unrolled: 1-line block ×16, first 2 shown]
	v_cmp_eq_u32_e32 vcc, 31, v11
	s_and_b64 exec, exec, vcc
	s_cbranch_execz .LBB119_21
; %bb.17:
	s_load_dwordx2 s[2:3], s[0:1], 0x48
	v_cmp_eq_f64_e32 vcc, 0, v[6:7]
	v_cmp_eq_f64_e64 s[0:1], 0, v[8:9]
	v_add_f64 v[18:19], v[22:23], v[26:27]
	v_add_f64 v[26:27], v[16:17], v[28:29]
	v_add_f64 v[14:15], v[24:25], v[30:31]
	v_add_f64 v[22:23], v[20:21], v[32:33]
	v_add_f64 v[12:13], v[34:35], v[36:37]
	v_add_f64 v[20:21], v[38:39], v[40:41]
	v_add_f64 v[0:1], v[42:43], v[44:45]
	v_add_f64 v[16:17], v[46:47], v[48:49]
	s_and_b64 s[0:1], vcc, s[0:1]
	s_and_saveexec_b64 s[4:5], s[0:1]
	s_xor_b64 s[0:1], exec, s[4:5]
	s_cbranch_execz .LBB119_19
; %bb.18:
	v_lshlrev_b32_e32 v10, 2, v10
	v_mul_f64 v[6:7], v[26:27], -v[4:5]
	v_mul_f64 v[8:9], v[2:3], v[26:27]
	v_ashrrev_i32_e32 v11, 31, v10
	v_fmac_f64_e32 v[6:7], v[2:3], v[18:19]
	v_fmac_f64_e32 v[8:9], v[4:5], v[18:19]
	s_waitcnt lgkmcnt(0)
	v_lshl_add_u64 v[10:11], v[10:11], 4, s[2:3]
	global_store_dwordx4 v[10:11], v[6:9], off
                                        ; implicit-def: $vgpr18_vgpr19
                                        ; implicit-def: $vgpr26_vgpr27
	s_nop 1
	v_mul_f64 v[6:7], v[22:23], -v[4:5]
	v_mul_f64 v[8:9], v[2:3], v[22:23]
	v_fmac_f64_e32 v[6:7], v[2:3], v[14:15]
	v_fmac_f64_e32 v[8:9], v[4:5], v[14:15]
	global_store_dwordx4 v[10:11], v[6:9], off offset:16
                                        ; implicit-def: $vgpr14_vgpr15
                                        ; implicit-def: $vgpr22_vgpr23
	s_nop 1
	v_mul_f64 v[6:7], v[20:21], -v[4:5]
	v_mul_f64 v[8:9], v[2:3], v[20:21]
	v_fmac_f64_e32 v[6:7], v[2:3], v[12:13]
	v_fmac_f64_e32 v[8:9], v[4:5], v[12:13]
	global_store_dwordx4 v[10:11], v[6:9], off offset:32
                                        ; implicit-def: $vgpr12_vgpr13
                                        ; implicit-def: $vgpr20_vgpr21
	s_nop 1
	v_mul_f64 v[6:7], v[16:17], -v[4:5]
	v_mul_f64 v[8:9], v[2:3], v[16:17]
	v_fmac_f64_e32 v[6:7], v[2:3], v[0:1]
	v_fmac_f64_e32 v[8:9], v[4:5], v[0:1]
	global_store_dwordx4 v[10:11], v[6:9], off offset:48
                                        ; implicit-def: $vgpr10
                                        ; implicit-def: $vgpr0_vgpr1
                                        ; implicit-def: $vgpr16_vgpr17
                                        ; implicit-def: $vgpr8_vgpr9
                                        ; implicit-def: $vgpr4_vgpr5
.LBB119_19:
	s_andn2_saveexec_b64 s[0:1], s[0:1]
	s_cbranch_execz .LBB119_21
; %bb.20:
	v_lshlrev_b32_e32 v10, 2, v10
	v_ashrrev_i32_e32 v11, 31, v10
	s_waitcnt lgkmcnt(0)
	v_lshl_add_u64 v[48:49], v[10:11], 4, s[2:3]
	global_load_dwordx4 v[28:31], v[48:49], off
	global_load_dwordx4 v[32:35], v[48:49], off offset:16
	global_load_dwordx4 v[36:39], v[48:49], off offset:32
	;; [unrolled: 1-line block ×3, first 2 shown]
	v_mul_f64 v[44:45], v[26:27], -v[4:5]
	v_mul_f64 v[24:25], v[2:3], v[26:27]
	v_mul_f64 v[26:27], v[22:23], -v[4:5]
	v_mul_f64 v[46:47], v[2:3], v[22:23]
	;; [unrolled: 2-line block ×4, first 2 shown]
	v_fmac_f64_e32 v[44:45], v[2:3], v[18:19]
	v_fmac_f64_e32 v[24:25], v[4:5], v[18:19]
	;; [unrolled: 1-line block ×8, first 2 shown]
	s_waitcnt vmcnt(3)
	v_fmac_f64_e32 v[44:45], v[6:7], v[28:29]
	v_fmac_f64_e32 v[24:25], v[8:9], v[28:29]
	s_waitcnt vmcnt(2)
	v_fmac_f64_e32 v[26:27], v[6:7], v[32:33]
	v_fmac_f64_e32 v[46:47], v[8:9], v[32:33]
	;; [unrolled: 3-line block ×4, first 2 shown]
	v_fma_f64 v[22:23], -v[8:9], v[30:31], v[44:45]
	v_fmac_f64_e32 v[24:25], v[6:7], v[30:31]
	v_fma_f64 v[44:45], -v[8:9], v[34:35], v[26:27]
	v_fmac_f64_e32 v[46:47], v[6:7], v[34:35]
	;; [unrolled: 2-line block ×4, first 2 shown]
	global_store_dwordx4 v[48:49], v[22:25], off
	global_store_dwordx4 v[48:49], v[44:47], off offset:16
	global_store_dwordx4 v[48:49], v[18:21], off offset:32
	;; [unrolled: 1-line block ×3, first 2 shown]
.LBB119_21:
	s_endpgm
	.section	.rodata,"a",@progbits
	.p2align	6, 0x0
	.amdhsa_kernel _ZN9rocsparseL19gebsrmvn_4xn_kernelILj128ELj2ELj32E21rocsparse_complex_numIdEEEvi20rocsparse_direction_NS_24const_host_device_scalarIT2_EEPKiS8_PKS5_SA_S6_PS5_21rocsparse_index_base_b
		.amdhsa_group_segment_fixed_size 0
		.amdhsa_private_segment_fixed_size 0
		.amdhsa_kernarg_size 88
		.amdhsa_user_sgpr_count 2
		.amdhsa_user_sgpr_dispatch_ptr 0
		.amdhsa_user_sgpr_queue_ptr 0
		.amdhsa_user_sgpr_kernarg_segment_ptr 1
		.amdhsa_user_sgpr_dispatch_id 0
		.amdhsa_user_sgpr_kernarg_preload_length 0
		.amdhsa_user_sgpr_kernarg_preload_offset 0
		.amdhsa_user_sgpr_private_segment_size 0
		.amdhsa_uses_dynamic_stack 0
		.amdhsa_enable_private_segment 0
		.amdhsa_system_sgpr_workgroup_id_x 1
		.amdhsa_system_sgpr_workgroup_id_y 0
		.amdhsa_system_sgpr_workgroup_id_z 0
		.amdhsa_system_sgpr_workgroup_info 0
		.amdhsa_system_vgpr_workitem_id 0
		.amdhsa_next_free_vgpr 76
		.amdhsa_next_free_sgpr 16
		.amdhsa_accum_offset 76
		.amdhsa_reserve_vcc 1
		.amdhsa_float_round_mode_32 0
		.amdhsa_float_round_mode_16_64 0
		.amdhsa_float_denorm_mode_32 3
		.amdhsa_float_denorm_mode_16_64 3
		.amdhsa_dx10_clamp 1
		.amdhsa_ieee_mode 1
		.amdhsa_fp16_overflow 0
		.amdhsa_tg_split 0
		.amdhsa_exception_fp_ieee_invalid_op 0
		.amdhsa_exception_fp_denorm_src 0
		.amdhsa_exception_fp_ieee_div_zero 0
		.amdhsa_exception_fp_ieee_overflow 0
		.amdhsa_exception_fp_ieee_underflow 0
		.amdhsa_exception_fp_ieee_inexact 0
		.amdhsa_exception_int_div_zero 0
	.end_amdhsa_kernel
	.section	.text._ZN9rocsparseL19gebsrmvn_4xn_kernelILj128ELj2ELj32E21rocsparse_complex_numIdEEEvi20rocsparse_direction_NS_24const_host_device_scalarIT2_EEPKiS8_PKS5_SA_S6_PS5_21rocsparse_index_base_b,"axG",@progbits,_ZN9rocsparseL19gebsrmvn_4xn_kernelILj128ELj2ELj32E21rocsparse_complex_numIdEEEvi20rocsparse_direction_NS_24const_host_device_scalarIT2_EEPKiS8_PKS5_SA_S6_PS5_21rocsparse_index_base_b,comdat
.Lfunc_end119:
	.size	_ZN9rocsparseL19gebsrmvn_4xn_kernelILj128ELj2ELj32E21rocsparse_complex_numIdEEEvi20rocsparse_direction_NS_24const_host_device_scalarIT2_EEPKiS8_PKS5_SA_S6_PS5_21rocsparse_index_base_b, .Lfunc_end119-_ZN9rocsparseL19gebsrmvn_4xn_kernelILj128ELj2ELj32E21rocsparse_complex_numIdEEEvi20rocsparse_direction_NS_24const_host_device_scalarIT2_EEPKiS8_PKS5_SA_S6_PS5_21rocsparse_index_base_b
                                        ; -- End function
	.set _ZN9rocsparseL19gebsrmvn_4xn_kernelILj128ELj2ELj32E21rocsparse_complex_numIdEEEvi20rocsparse_direction_NS_24const_host_device_scalarIT2_EEPKiS8_PKS5_SA_S6_PS5_21rocsparse_index_base_b.num_vgpr, 76
	.set _ZN9rocsparseL19gebsrmvn_4xn_kernelILj128ELj2ELj32E21rocsparse_complex_numIdEEEvi20rocsparse_direction_NS_24const_host_device_scalarIT2_EEPKiS8_PKS5_SA_S6_PS5_21rocsparse_index_base_b.num_agpr, 0
	.set _ZN9rocsparseL19gebsrmvn_4xn_kernelILj128ELj2ELj32E21rocsparse_complex_numIdEEEvi20rocsparse_direction_NS_24const_host_device_scalarIT2_EEPKiS8_PKS5_SA_S6_PS5_21rocsparse_index_base_b.numbered_sgpr, 16
	.set _ZN9rocsparseL19gebsrmvn_4xn_kernelILj128ELj2ELj32E21rocsparse_complex_numIdEEEvi20rocsparse_direction_NS_24const_host_device_scalarIT2_EEPKiS8_PKS5_SA_S6_PS5_21rocsparse_index_base_b.num_named_barrier, 0
	.set _ZN9rocsparseL19gebsrmvn_4xn_kernelILj128ELj2ELj32E21rocsparse_complex_numIdEEEvi20rocsparse_direction_NS_24const_host_device_scalarIT2_EEPKiS8_PKS5_SA_S6_PS5_21rocsparse_index_base_b.private_seg_size, 0
	.set _ZN9rocsparseL19gebsrmvn_4xn_kernelILj128ELj2ELj32E21rocsparse_complex_numIdEEEvi20rocsparse_direction_NS_24const_host_device_scalarIT2_EEPKiS8_PKS5_SA_S6_PS5_21rocsparse_index_base_b.uses_vcc, 1
	.set _ZN9rocsparseL19gebsrmvn_4xn_kernelILj128ELj2ELj32E21rocsparse_complex_numIdEEEvi20rocsparse_direction_NS_24const_host_device_scalarIT2_EEPKiS8_PKS5_SA_S6_PS5_21rocsparse_index_base_b.uses_flat_scratch, 0
	.set _ZN9rocsparseL19gebsrmvn_4xn_kernelILj128ELj2ELj32E21rocsparse_complex_numIdEEEvi20rocsparse_direction_NS_24const_host_device_scalarIT2_EEPKiS8_PKS5_SA_S6_PS5_21rocsparse_index_base_b.has_dyn_sized_stack, 0
	.set _ZN9rocsparseL19gebsrmvn_4xn_kernelILj128ELj2ELj32E21rocsparse_complex_numIdEEEvi20rocsparse_direction_NS_24const_host_device_scalarIT2_EEPKiS8_PKS5_SA_S6_PS5_21rocsparse_index_base_b.has_recursion, 0
	.set _ZN9rocsparseL19gebsrmvn_4xn_kernelILj128ELj2ELj32E21rocsparse_complex_numIdEEEvi20rocsparse_direction_NS_24const_host_device_scalarIT2_EEPKiS8_PKS5_SA_S6_PS5_21rocsparse_index_base_b.has_indirect_call, 0
	.section	.AMDGPU.csdata,"",@progbits
; Kernel info:
; codeLenInByte = 2568
; TotalNumSgprs: 22
; NumVgprs: 76
; NumAgprs: 0
; TotalNumVgprs: 76
; ScratchSize: 0
; MemoryBound: 0
; FloatMode: 240
; IeeeMode: 1
; LDSByteSize: 0 bytes/workgroup (compile time only)
; SGPRBlocks: 2
; VGPRBlocks: 9
; NumSGPRsForWavesPerEU: 22
; NumVGPRsForWavesPerEU: 76
; AccumOffset: 76
; Occupancy: 6
; WaveLimiterHint : 1
; COMPUTE_PGM_RSRC2:SCRATCH_EN: 0
; COMPUTE_PGM_RSRC2:USER_SGPR: 2
; COMPUTE_PGM_RSRC2:TRAP_HANDLER: 0
; COMPUTE_PGM_RSRC2:TGID_X_EN: 1
; COMPUTE_PGM_RSRC2:TGID_Y_EN: 0
; COMPUTE_PGM_RSRC2:TGID_Z_EN: 0
; COMPUTE_PGM_RSRC2:TIDIG_COMP_CNT: 0
; COMPUTE_PGM_RSRC3_GFX90A:ACCUM_OFFSET: 18
; COMPUTE_PGM_RSRC3_GFX90A:TG_SPLIT: 0
	.section	.text._ZN9rocsparseL19gebsrmvn_4xn_kernelILj128ELj2ELj64E21rocsparse_complex_numIdEEEvi20rocsparse_direction_NS_24const_host_device_scalarIT2_EEPKiS8_PKS5_SA_S6_PS5_21rocsparse_index_base_b,"axG",@progbits,_ZN9rocsparseL19gebsrmvn_4xn_kernelILj128ELj2ELj64E21rocsparse_complex_numIdEEEvi20rocsparse_direction_NS_24const_host_device_scalarIT2_EEPKiS8_PKS5_SA_S6_PS5_21rocsparse_index_base_b,comdat
	.globl	_ZN9rocsparseL19gebsrmvn_4xn_kernelILj128ELj2ELj64E21rocsparse_complex_numIdEEEvi20rocsparse_direction_NS_24const_host_device_scalarIT2_EEPKiS8_PKS5_SA_S6_PS5_21rocsparse_index_base_b ; -- Begin function _ZN9rocsparseL19gebsrmvn_4xn_kernelILj128ELj2ELj64E21rocsparse_complex_numIdEEEvi20rocsparse_direction_NS_24const_host_device_scalarIT2_EEPKiS8_PKS5_SA_S6_PS5_21rocsparse_index_base_b
	.p2align	8
	.type	_ZN9rocsparseL19gebsrmvn_4xn_kernelILj128ELj2ELj64E21rocsparse_complex_numIdEEEvi20rocsparse_direction_NS_24const_host_device_scalarIT2_EEPKiS8_PKS5_SA_S6_PS5_21rocsparse_index_base_b,@function
_ZN9rocsparseL19gebsrmvn_4xn_kernelILj128ELj2ELj64E21rocsparse_complex_numIdEEEvi20rocsparse_direction_NS_24const_host_device_scalarIT2_EEPKiS8_PKS5_SA_S6_PS5_21rocsparse_index_base_b: ; @_ZN9rocsparseL19gebsrmvn_4xn_kernelILj128ELj2ELj64E21rocsparse_complex_numIdEEEvi20rocsparse_direction_NS_24const_host_device_scalarIT2_EEPKiS8_PKS5_SA_S6_PS5_21rocsparse_index_base_b
; %bb.0:
	s_load_dwordx2 s[4:5], s[0:1], 0x8
	s_load_dwordx2 s[6:7], s[0:1], 0x38
	s_load_dwordx2 s[12:13], s[0:1], 0x50
	s_add_u32 s3, s0, 8
	s_addc_u32 s8, s1, 0
	s_add_u32 s9, s0, 56
	s_addc_u32 s10, s1, 0
	s_waitcnt lgkmcnt(0)
	s_bitcmp1_b32 s13, 0
	s_cselect_b32 s5, s8, s5
	s_cselect_b32 s3, s3, s4
	v_mov_b32_e32 v2, s3
	v_mov_b32_e32 v3, s5
	flat_load_dwordx4 v[2:5], v[2:3]
	s_cselect_b32 s3, s10, s7
	s_cselect_b32 s4, s9, s6
	v_mov_b32_e32 v6, s4
	v_mov_b32_e32 v7, s3
	flat_load_dwordx4 v[6:9], v[6:7]
	s_waitcnt vmcnt(0) lgkmcnt(0)
	v_cmp_eq_f64_e32 vcc, 0, v[2:3]
	v_cmp_eq_f64_e64 s[4:5], 0, v[4:5]
	s_and_b64 s[8:9], vcc, s[4:5]
	s_mov_b64 s[4:5], -1
	s_and_saveexec_b64 s[6:7], s[8:9]
; %bb.1:
	v_cmp_neq_f64_e32 vcc, 1.0, v[6:7]
	v_cmp_neq_f64_e64 s[4:5], 0, v[8:9]
	s_or_b64 s[4:5], vcc, s[4:5]
	s_orn2_b64 s[4:5], s[4:5], exec
; %bb.2:
	s_or_b64 exec, exec, s[6:7]
	s_and_saveexec_b64 s[6:7], s[4:5]
	s_cbranch_execz .LBB120_21
; %bb.3:
	s_load_dwordx2 s[14:15], s[0:1], 0x0
	v_lshrrev_b32_e32 v1, 6, v0
	v_lshl_or_b32 v10, s2, 1, v1
	s_waitcnt lgkmcnt(0)
	v_cmp_gt_i32_e32 vcc, s14, v10
	s_and_b64 exec, exec, vcc
	s_cbranch_execz .LBB120_21
; %bb.4:
	s_load_dwordx8 s[4:11], s[0:1], 0x18
	v_ashrrev_i32_e32 v11, 31, v10
	s_cmp_lg_u32 s15, 0
	s_waitcnt lgkmcnt(0)
	v_lshl_add_u64 v[12:13], v[10:11], 2, s[4:5]
	global_load_dwordx2 v[12:13], v[12:13], off
	v_and_b32_e32 v11, 63, v0
	s_waitcnt vmcnt(0)
	v_subrev_u32_e32 v0, s12, v12
	v_subrev_u32_e32 v32, s12, v13
	v_add_u32_e32 v24, v0, v11
	v_cmp_lt_i32_e64 s[2:3], v24, v32
	s_cbranch_scc0 .LBB120_10
; %bb.5:
	v_mov_b64_e32 v[20:21], 0
	v_mov_b64_e32 v[26:27], 0
	;; [unrolled: 1-line block ×8, first 2 shown]
	s_and_saveexec_b64 s[4:5], s[2:3]
	s_cbranch_execz .LBB120_9
; %bb.6:
	v_lshlrev_b32_e32 v28, 3, v24
	v_mov_b64_e32 v[20:21], 0
	s_mov_b64 s[14:15], 0
	v_mov_b32_e32 v29, 0
	v_mov_b32_e32 v30, v24
	v_mov_b64_e32 v[26:27], 0
	v_mov_b64_e32 v[12:13], 0
	;; [unrolled: 1-line block ×7, first 2 shown]
.LBB120_7:                              ; =>This Inner Loop Header: Depth=1
	v_ashrrev_i32_e32 v31, 31, v30
	v_lshl_add_u64 v[34:35], v[30:31], 2, s[6:7]
	global_load_dword v25, v[34:35], off
	v_mov_b32_e32 v69, v29
	v_lshl_add_u64 v[66:67], v[28:29], 4, s[8:9]
	global_load_dwordx4 v[34:37], v[66:67], off offset:48
	global_load_dwordx4 v[38:41], v[66:67], off offset:32
	global_load_dwordx4 v[42:45], v[66:67], off offset:16
	global_load_dwordx4 v[46:49], v[66:67], off
	global_load_dwordx4 v[50:53], v[66:67], off offset:96
	global_load_dwordx4 v[54:57], v[66:67], off offset:80
	;; [unrolled: 1-line block ×4, first 2 shown]
	v_add_u32_e32 v30, 64, v30
	v_cmp_ge_i32_e32 vcc, v30, v32
	v_add_u32_e32 v28, 0x200, v28
	s_or_b64 s[14:15], vcc, s[14:15]
	s_waitcnt vmcnt(8)
	v_subrev_u32_e32 v25, s12, v25
	v_lshlrev_b32_e32 v68, 1, v25
	v_lshl_add_u64 v[74:75], v[68:69], 4, s[10:11]
	global_load_dwordx4 v[66:69], v[74:75], off
	global_load_dwordx4 v[70:73], v[74:75], off offset:16
	s_waitcnt vmcnt(1)
	v_fmac_f64_e32 v[26:27], v[46:47], v[66:67]
	v_fmac_f64_e32 v[20:21], v[48:49], v[66:67]
	;; [unrolled: 1-line block ×8, first 2 shown]
	v_fma_f64 v[26:27], -v[48:49], v[68:69], v[26:27]
	v_fmac_f64_e32 v[20:21], v[46:47], v[68:69]
	v_fma_f64 v[22:23], -v[44:45], v[68:69], v[22:23]
	v_fmac_f64_e32 v[18:19], v[42:43], v[68:69]
	;; [unrolled: 2-line block ×4, first 2 shown]
	s_waitcnt vmcnt(0)
	v_fmac_f64_e32 v[26:27], v[58:59], v[70:71]
	v_fmac_f64_e32 v[20:21], v[60:61], v[70:71]
	;; [unrolled: 1-line block ×8, first 2 shown]
	v_fma_f64 v[26:27], -v[60:61], v[72:73], v[26:27]
	v_fmac_f64_e32 v[20:21], v[58:59], v[72:73]
	v_fma_f64 v[22:23], -v[56:57], v[72:73], v[22:23]
	v_fmac_f64_e32 v[18:19], v[54:55], v[72:73]
	;; [unrolled: 2-line block ×4, first 2 shown]
	s_andn2_b64 exec, exec, s[14:15]
	s_cbranch_execnz .LBB120_7
; %bb.8:
	s_or_b64 exec, exec, s[14:15]
.LBB120_9:
	s_or_b64 exec, exec, s[4:5]
	s_cbranch_execz .LBB120_11
	s_branch .LBB120_16
.LBB120_10:
                                        ; implicit-def: $vgpr20_vgpr21
                                        ; implicit-def: $vgpr26_vgpr27
                                        ; implicit-def: $vgpr12_vgpr13
                                        ; implicit-def: $vgpr0_vgpr1
                                        ; implicit-def: $vgpr16_vgpr17
                                        ; implicit-def: $vgpr14_vgpr15
                                        ; implicit-def: $vgpr22_vgpr23
                                        ; implicit-def: $vgpr18_vgpr19
.LBB120_11:
	v_mov_b64_e32 v[20:21], 0
	v_mov_b64_e32 v[26:27], 0
	;; [unrolled: 1-line block ×8, first 2 shown]
	s_and_saveexec_b64 s[4:5], s[2:3]
	s_cbranch_execz .LBB120_15
; %bb.12:
	v_lshlrev_b32_e32 v28, 3, v24
	v_mov_b64_e32 v[20:21], 0
	s_mov_b64 s[2:3], 0
	v_mov_b32_e32 v29, 0
	v_mov_b64_e32 v[26:27], 0
	v_mov_b64_e32 v[12:13], 0
	v_mov_b64_e32 v[0:1], 0
	v_mov_b64_e32 v[16:17], 0
	v_mov_b64_e32 v[14:15], 0
	v_mov_b64_e32 v[22:23], 0
	v_mov_b64_e32 v[18:19], 0
.LBB120_13:                             ; =>This Inner Loop Header: Depth=1
	v_ashrrev_i32_e32 v25, 31, v24
	v_lshl_add_u64 v[30:31], v[24:25], 2, s[6:7]
	global_load_dword v25, v[30:31], off
	v_lshl_add_u64 v[30:31], v[28:29], 4, s[8:9]
	v_mov_b32_e32 v67, v29
	global_load_dwordx4 v[34:37], v[30:31], off offset:48
	global_load_dwordx4 v[38:41], v[30:31], off offset:32
	;; [unrolled: 1-line block ×3, first 2 shown]
	global_load_dwordx4 v[46:49], v[30:31], off
	global_load_dwordx4 v[50:53], v[30:31], off offset:112
	global_load_dwordx4 v[54:57], v[30:31], off offset:96
	;; [unrolled: 1-line block ×4, first 2 shown]
	v_add_u32_e32 v24, 64, v24
	v_cmp_ge_i32_e32 vcc, v24, v32
	v_add_u32_e32 v28, 0x200, v28
	s_or_b64 s[2:3], vcc, s[2:3]
	s_waitcnt vmcnt(8)
	v_subrev_u32_e32 v25, s12, v25
	v_lshlrev_b32_e32 v66, 1, v25
	v_lshl_add_u64 v[30:31], v[66:67], 4, s[10:11]
	global_load_dwordx4 v[66:69], v[30:31], off
	global_load_dwordx4 v[70:73], v[30:31], off offset:16
	s_waitcnt vmcnt(1)
	v_fmac_f64_e32 v[26:27], v[46:47], v[66:67]
	v_fmac_f64_e32 v[20:21], v[48:49], v[66:67]
	v_fmac_f64_e32 v[22:23], v[38:39], v[66:67]
	v_fmac_f64_e32 v[18:19], v[40:41], v[66:67]
	v_fmac_f64_e32 v[16:17], v[62:63], v[66:67]
	v_fmac_f64_e32 v[14:15], v[64:65], v[66:67]
	v_fmac_f64_e32 v[12:13], v[54:55], v[66:67]
	v_fmac_f64_e32 v[0:1], v[56:57], v[66:67]
	v_fma_f64 v[26:27], -v[48:49], v[68:69], v[26:27]
	v_fmac_f64_e32 v[20:21], v[46:47], v[68:69]
	v_fma_f64 v[22:23], -v[40:41], v[68:69], v[22:23]
	v_fmac_f64_e32 v[18:19], v[38:39], v[68:69]
	v_fma_f64 v[16:17], -v[64:65], v[68:69], v[16:17]
	v_fmac_f64_e32 v[14:15], v[62:63], v[68:69]
	v_fma_f64 v[12:13], -v[56:57], v[68:69], v[12:13]
	v_fmac_f64_e32 v[0:1], v[54:55], v[68:69]
	s_waitcnt vmcnt(0)
	v_fmac_f64_e32 v[26:27], v[42:43], v[70:71]
	v_fmac_f64_e32 v[20:21], v[44:45], v[70:71]
	;; [unrolled: 1-line block ×8, first 2 shown]
	v_fma_f64 v[26:27], -v[44:45], v[72:73], v[26:27]
	v_fmac_f64_e32 v[20:21], v[42:43], v[72:73]
	v_fma_f64 v[22:23], -v[36:37], v[72:73], v[22:23]
	v_fmac_f64_e32 v[18:19], v[34:35], v[72:73]
	;; [unrolled: 2-line block ×4, first 2 shown]
	s_andn2_b64 exec, exec, s[2:3]
	s_cbranch_execnz .LBB120_13
; %bb.14:
	s_or_b64 exec, exec, s[2:3]
.LBB120_15:
	s_or_b64 exec, exec, s[4:5]
.LBB120_16:
	v_mov_b32_dpp v32, v18 row_shr:1 row_mask:0xf bank_mask:0xf
	v_mov_b32_dpp v33, v19 row_shr:1 row_mask:0xf bank_mask:0xf
	v_add_f64 v[18:19], v[18:19], v[32:33]
	v_mov_b32_dpp v24, v26 row_shr:1 row_mask:0xf bank_mask:0xf
	v_mov_b32_dpp v25, v27 row_shr:1 row_mask:0xf bank_mask:0xf
	v_mov_b32_dpp v32, v18 row_shr:2 row_mask:0xf bank_mask:0xf
	v_mov_b32_dpp v33, v19 row_shr:2 row_mask:0xf bank_mask:0xf
	v_add_f64 v[18:19], v[18:19], v[32:33]
	v_mov_b32_dpp v28, v20 row_shr:1 row_mask:0xf bank_mask:0xf
	v_mov_b32_dpp v29, v21 row_shr:1 row_mask:0xf bank_mask:0xf
	v_mov_b32_dpp v32, v18 row_shr:4 row_mask:0xf bank_mask:0xe
	v_mov_b32_dpp v33, v19 row_shr:4 row_mask:0xf bank_mask:0xe
	v_add_f64 v[18:19], v[18:19], v[32:33]
	v_mov_b32_dpp v30, v22 row_shr:1 row_mask:0xf bank_mask:0xf
	v_mov_b32_dpp v31, v23 row_shr:1 row_mask:0xf bank_mask:0xf
	v_mov_b32_dpp v32, v18 row_shr:8 row_mask:0xf bank_mask:0xc
	v_mov_b32_dpp v33, v19 row_shr:8 row_mask:0xf bank_mask:0xc
	v_add_f64 v[18:19], v[18:19], v[32:33]
	v_add_f64 v[24:25], v[26:27], v[24:25]
	;; [unrolled: 1-line block ×3, first 2 shown]
	v_mov_b32_dpp v32, v18 row_bcast:15 row_mask:0xa bank_mask:0xf
	v_mov_b32_dpp v33, v19 row_bcast:15 row_mask:0xa bank_mask:0xf
	v_add_f64 v[32:33], v[18:19], v[32:33]
	v_mov_b32_dpp v18, v16 row_shr:1 row_mask:0xf bank_mask:0xf
	v_mov_b32_dpp v19, v17 row_shr:1 row_mask:0xf bank_mask:0xf
	v_add_f64 v[16:17], v[16:17], v[18:19]
	v_add_f64 v[22:23], v[22:23], v[30:31]
	v_mov_b32_dpp v26, v24 row_shr:2 row_mask:0xf bank_mask:0xf
	v_mov_b32_dpp v18, v16 row_shr:2 row_mask:0xf bank_mask:0xf
	v_mov_b32_dpp v19, v17 row_shr:2 row_mask:0xf bank_mask:0xf
	v_add_f64 v[16:17], v[16:17], v[18:19]
	v_mov_b32_dpp v27, v25 row_shr:2 row_mask:0xf bank_mask:0xf
	v_mov_b32_dpp v28, v20 row_shr:2 row_mask:0xf bank_mask:0xf
	v_mov_b32_dpp v18, v16 row_shr:4 row_mask:0xf bank_mask:0xe
	v_mov_b32_dpp v19, v17 row_shr:4 row_mask:0xf bank_mask:0xe
	v_add_f64 v[16:17], v[16:17], v[18:19]
	v_mov_b32_dpp v29, v21 row_shr:2 row_mask:0xf bank_mask:0xf
	;; [unrolled: 5-line block ×3, first 2 shown]
	v_add_f64 v[24:25], v[24:25], v[26:27]
	v_mov_b32_dpp v18, v16 row_bcast:15 row_mask:0xa bank_mask:0xf
	v_mov_b32_dpp v19, v17 row_bcast:15 row_mask:0xa bank_mask:0xf
	v_add_f64 v[16:17], v[16:17], v[18:19]
	v_mov_b32_dpp v18, v14 row_shr:1 row_mask:0xf bank_mask:0xf
	v_mov_b32_dpp v19, v15 row_shr:1 row_mask:0xf bank_mask:0xf
	v_add_f64 v[14:15], v[14:15], v[18:19]
	v_add_f64 v[20:21], v[20:21], v[28:29]
	;; [unrolled: 1-line block ×3, first 2 shown]
	v_mov_b32_dpp v18, v14 row_shr:2 row_mask:0xf bank_mask:0xf
	v_mov_b32_dpp v19, v15 row_shr:2 row_mask:0xf bank_mask:0xf
	v_add_f64 v[14:15], v[14:15], v[18:19]
	v_mov_b32_dpp v26, v24 row_shr:4 row_mask:0xf bank_mask:0xe
	v_mov_b32_dpp v27, v25 row_shr:4 row_mask:0xf bank_mask:0xe
	v_mov_b32_dpp v18, v14 row_shr:4 row_mask:0xf bank_mask:0xe
	v_mov_b32_dpp v19, v15 row_shr:4 row_mask:0xf bank_mask:0xe
	v_add_f64 v[14:15], v[14:15], v[18:19]
	v_mov_b32_dpp v28, v20 row_shr:4 row_mask:0xf bank_mask:0xe
	v_mov_b32_dpp v29, v21 row_shr:4 row_mask:0xf bank_mask:0xe
	;; [unrolled: 5-line block ×3, first 2 shown]
	v_mov_b32_dpp v18, v14 row_bcast:15 row_mask:0xa bank_mask:0xf
	v_mov_b32_dpp v19, v15 row_bcast:15 row_mask:0xa bank_mask:0xf
	v_add_f64 v[38:39], v[14:15], v[18:19]
	v_mov_b32_dpp v14, v12 row_shr:1 row_mask:0xf bank_mask:0xf
	v_mov_b32_dpp v15, v13 row_shr:1 row_mask:0xf bank_mask:0xf
	v_add_f64 v[12:13], v[12:13], v[14:15]
	v_add_f64 v[24:25], v[24:25], v[26:27]
	;; [unrolled: 1-line block ×3, first 2 shown]
	v_mov_b32_dpp v14, v12 row_shr:2 row_mask:0xf bank_mask:0xf
	v_mov_b32_dpp v15, v13 row_shr:2 row_mask:0xf bank_mask:0xf
	v_add_f64 v[12:13], v[12:13], v[14:15]
	v_add_f64 v[22:23], v[22:23], v[30:31]
	v_mov_b32_dpp v26, v24 row_shr:8 row_mask:0xf bank_mask:0xc
	v_mov_b32_dpp v14, v12 row_shr:4 row_mask:0xf bank_mask:0xe
	;; [unrolled: 1-line block ×3, first 2 shown]
	v_add_f64 v[12:13], v[12:13], v[14:15]
	v_mov_b32_dpp v27, v25 row_shr:8 row_mask:0xf bank_mask:0xc
	v_mov_b32_dpp v28, v20 row_shr:8 row_mask:0xf bank_mask:0xc
	;; [unrolled: 1-line block ×4, first 2 shown]
	v_add_f64 v[12:13], v[12:13], v[14:15]
	v_mov_b32_dpp v29, v21 row_shr:8 row_mask:0xf bank_mask:0xc
	v_mov_b32_dpp v30, v22 row_shr:8 row_mask:0xf bank_mask:0xc
	v_mov_b32_dpp v14, v12 row_bcast:15 row_mask:0xa bank_mask:0xf
	v_mov_b32_dpp v15, v13 row_bcast:15 row_mask:0xa bank_mask:0xf
	v_add_f64 v[42:43], v[12:13], v[14:15]
	v_mov_b32_dpp v12, v0 row_shr:1 row_mask:0xf bank_mask:0xf
	v_mov_b32_dpp v13, v1 row_shr:1 row_mask:0xf bank_mask:0xf
	v_add_f64 v[0:1], v[0:1], v[12:13]
	v_mov_b32_dpp v31, v23 row_shr:8 row_mask:0xf bank_mask:0xc
	v_add_f64 v[24:25], v[24:25], v[26:27]
	v_mov_b32_dpp v12, v0 row_shr:2 row_mask:0xf bank_mask:0xf
	v_mov_b32_dpp v13, v1 row_shr:2 row_mask:0xf bank_mask:0xf
	v_add_f64 v[0:1], v[0:1], v[12:13]
	v_add_f64 v[20:21], v[20:21], v[28:29]
	v_add_f64 v[22:23], v[22:23], v[30:31]
	v_mov_b32_dpp v12, v0 row_shr:4 row_mask:0xf bank_mask:0xe
	v_mov_b32_dpp v13, v1 row_shr:4 row_mask:0xf bank_mask:0xe
	v_add_f64 v[0:1], v[0:1], v[12:13]
	v_mov_b32_dpp v26, v24 row_bcast:15 row_mask:0xa bank_mask:0xf
	v_mov_b32_dpp v27, v25 row_bcast:15 row_mask:0xa bank_mask:0xf
	v_mov_b32_dpp v12, v0 row_shr:8 row_mask:0xf bank_mask:0xc
	v_mov_b32_dpp v13, v1 row_shr:8 row_mask:0xf bank_mask:0xc
	v_add_f64 v[0:1], v[0:1], v[12:13]
	v_mov_b32_dpp v28, v20 row_bcast:15 row_mask:0xa bank_mask:0xf
	v_mov_b32_dpp v29, v21 row_bcast:15 row_mask:0xa bank_mask:0xf
	;; [unrolled: 1-line block ×6, first 2 shown]
	v_add_f64 v[24:25], v[24:25], v[26:27]
	v_add_f64 v[20:21], v[20:21], v[28:29]
	;; [unrolled: 1-line block ×4, first 2 shown]
	v_mov_b32_dpp v26, v24 row_bcast:31 row_mask:0xc bank_mask:0xf
	v_mov_b32_dpp v27, v25 row_bcast:31 row_mask:0xc bank_mask:0xf
	;; [unrolled: 1-line block ×16, first 2 shown]
	v_cmp_eq_u32_e32 vcc, 63, v11
	s_and_b64 exec, exec, vcc
	s_cbranch_execz .LBB120_21
; %bb.17:
	s_load_dwordx2 s[2:3], s[0:1], 0x48
	v_cmp_eq_f64_e32 vcc, 0, v[6:7]
	v_cmp_eq_f64_e64 s[0:1], 0, v[8:9]
	v_add_f64 v[18:19], v[24:25], v[26:27]
	v_add_f64 v[24:25], v[20:21], v[28:29]
	;; [unrolled: 1-line block ×8, first 2 shown]
	s_and_b64 s[0:1], vcc, s[0:1]
	s_and_saveexec_b64 s[4:5], s[0:1]
	s_xor_b64 s[0:1], exec, s[4:5]
	s_cbranch_execz .LBB120_19
; %bb.18:
	v_lshlrev_b32_e32 v10, 2, v10
	v_mul_f64 v[6:7], v[24:25], -v[4:5]
	v_mul_f64 v[8:9], v[2:3], v[24:25]
	v_ashrrev_i32_e32 v11, 31, v10
	v_fmac_f64_e32 v[6:7], v[2:3], v[18:19]
	v_fmac_f64_e32 v[8:9], v[4:5], v[18:19]
	s_waitcnt lgkmcnt(0)
	v_lshl_add_u64 v[10:11], v[10:11], 4, s[2:3]
	global_store_dwordx4 v[10:11], v[6:9], off
                                        ; implicit-def: $vgpr18_vgpr19
                                        ; implicit-def: $vgpr24_vgpr25
	s_nop 1
	v_mul_f64 v[6:7], v[22:23], -v[4:5]
	v_mul_f64 v[8:9], v[2:3], v[22:23]
	v_fmac_f64_e32 v[6:7], v[2:3], v[14:15]
	v_fmac_f64_e32 v[8:9], v[4:5], v[14:15]
	global_store_dwordx4 v[10:11], v[6:9], off offset:16
                                        ; implicit-def: $vgpr14_vgpr15
                                        ; implicit-def: $vgpr22_vgpr23
	s_nop 1
	v_mul_f64 v[6:7], v[20:21], -v[4:5]
	v_mul_f64 v[8:9], v[2:3], v[20:21]
	v_fmac_f64_e32 v[6:7], v[2:3], v[12:13]
	v_fmac_f64_e32 v[8:9], v[4:5], v[12:13]
	global_store_dwordx4 v[10:11], v[6:9], off offset:32
                                        ; implicit-def: $vgpr12_vgpr13
                                        ; implicit-def: $vgpr20_vgpr21
	s_nop 1
	v_mul_f64 v[6:7], v[16:17], -v[4:5]
	v_mul_f64 v[8:9], v[2:3], v[16:17]
	v_fmac_f64_e32 v[6:7], v[2:3], v[0:1]
	v_fmac_f64_e32 v[8:9], v[4:5], v[0:1]
	global_store_dwordx4 v[10:11], v[6:9], off offset:48
                                        ; implicit-def: $vgpr10
                                        ; implicit-def: $vgpr0_vgpr1
                                        ; implicit-def: $vgpr16_vgpr17
                                        ; implicit-def: $vgpr8_vgpr9
                                        ; implicit-def: $vgpr4_vgpr5
.LBB120_19:
	s_andn2_saveexec_b64 s[0:1], s[0:1]
	s_cbranch_execz .LBB120_21
; %bb.20:
	v_lshlrev_b32_e32 v10, 2, v10
	v_ashrrev_i32_e32 v11, 31, v10
	s_waitcnt lgkmcnt(0)
	v_lshl_add_u64 v[46:47], v[10:11], 4, s[2:3]
	global_load_dwordx4 v[26:29], v[46:47], off
	global_load_dwordx4 v[30:33], v[46:47], off offset:16
	global_load_dwordx4 v[34:37], v[46:47], off offset:32
	;; [unrolled: 1-line block ×3, first 2 shown]
	v_mul_f64 v[42:43], v[24:25], -v[4:5]
	v_mul_f64 v[24:25], v[2:3], v[24:25]
	v_mul_f64 v[48:49], v[22:23], -v[4:5]
	v_mul_f64 v[44:45], v[2:3], v[22:23]
	;; [unrolled: 2-line block ×4, first 2 shown]
	v_fmac_f64_e32 v[42:43], v[2:3], v[18:19]
	v_fmac_f64_e32 v[24:25], v[4:5], v[18:19]
	;; [unrolled: 1-line block ×8, first 2 shown]
	s_waitcnt vmcnt(3)
	v_fmac_f64_e32 v[42:43], v[6:7], v[26:27]
	v_fmac_f64_e32 v[24:25], v[8:9], v[26:27]
	s_waitcnt vmcnt(2)
	v_fmac_f64_e32 v[48:49], v[6:7], v[30:31]
	v_fmac_f64_e32 v[44:45], v[8:9], v[30:31]
	;; [unrolled: 3-line block ×4, first 2 shown]
	v_fma_f64 v[22:23], -v[8:9], v[28:29], v[42:43]
	v_fmac_f64_e32 v[24:25], v[6:7], v[28:29]
	v_fma_f64 v[42:43], -v[8:9], v[32:33], v[48:49]
	v_fmac_f64_e32 v[44:45], v[6:7], v[32:33]
	;; [unrolled: 2-line block ×4, first 2 shown]
	global_store_dwordx4 v[46:47], v[22:25], off
	global_store_dwordx4 v[46:47], v[42:45], off offset:16
	global_store_dwordx4 v[46:47], v[18:21], off offset:32
	;; [unrolled: 1-line block ×3, first 2 shown]
.LBB120_21:
	s_endpgm
	.section	.rodata,"a",@progbits
	.p2align	6, 0x0
	.amdhsa_kernel _ZN9rocsparseL19gebsrmvn_4xn_kernelILj128ELj2ELj64E21rocsparse_complex_numIdEEEvi20rocsparse_direction_NS_24const_host_device_scalarIT2_EEPKiS8_PKS5_SA_S6_PS5_21rocsparse_index_base_b
		.amdhsa_group_segment_fixed_size 0
		.amdhsa_private_segment_fixed_size 0
		.amdhsa_kernarg_size 88
		.amdhsa_user_sgpr_count 2
		.amdhsa_user_sgpr_dispatch_ptr 0
		.amdhsa_user_sgpr_queue_ptr 0
		.amdhsa_user_sgpr_kernarg_segment_ptr 1
		.amdhsa_user_sgpr_dispatch_id 0
		.amdhsa_user_sgpr_kernarg_preload_length 0
		.amdhsa_user_sgpr_kernarg_preload_offset 0
		.amdhsa_user_sgpr_private_segment_size 0
		.amdhsa_uses_dynamic_stack 0
		.amdhsa_enable_private_segment 0
		.amdhsa_system_sgpr_workgroup_id_x 1
		.amdhsa_system_sgpr_workgroup_id_y 0
		.amdhsa_system_sgpr_workgroup_id_z 0
		.amdhsa_system_sgpr_workgroup_info 0
		.amdhsa_system_vgpr_workitem_id 0
		.amdhsa_next_free_vgpr 76
		.amdhsa_next_free_sgpr 16
		.amdhsa_accum_offset 76
		.amdhsa_reserve_vcc 1
		.amdhsa_float_round_mode_32 0
		.amdhsa_float_round_mode_16_64 0
		.amdhsa_float_denorm_mode_32 3
		.amdhsa_float_denorm_mode_16_64 3
		.amdhsa_dx10_clamp 1
		.amdhsa_ieee_mode 1
		.amdhsa_fp16_overflow 0
		.amdhsa_tg_split 0
		.amdhsa_exception_fp_ieee_invalid_op 0
		.amdhsa_exception_fp_denorm_src 0
		.amdhsa_exception_fp_ieee_div_zero 0
		.amdhsa_exception_fp_ieee_overflow 0
		.amdhsa_exception_fp_ieee_underflow 0
		.amdhsa_exception_fp_ieee_inexact 0
		.amdhsa_exception_int_div_zero 0
	.end_amdhsa_kernel
	.section	.text._ZN9rocsparseL19gebsrmvn_4xn_kernelILj128ELj2ELj64E21rocsparse_complex_numIdEEEvi20rocsparse_direction_NS_24const_host_device_scalarIT2_EEPKiS8_PKS5_SA_S6_PS5_21rocsparse_index_base_b,"axG",@progbits,_ZN9rocsparseL19gebsrmvn_4xn_kernelILj128ELj2ELj64E21rocsparse_complex_numIdEEEvi20rocsparse_direction_NS_24const_host_device_scalarIT2_EEPKiS8_PKS5_SA_S6_PS5_21rocsparse_index_base_b,comdat
.Lfunc_end120:
	.size	_ZN9rocsparseL19gebsrmvn_4xn_kernelILj128ELj2ELj64E21rocsparse_complex_numIdEEEvi20rocsparse_direction_NS_24const_host_device_scalarIT2_EEPKiS8_PKS5_SA_S6_PS5_21rocsparse_index_base_b, .Lfunc_end120-_ZN9rocsparseL19gebsrmvn_4xn_kernelILj128ELj2ELj64E21rocsparse_complex_numIdEEEvi20rocsparse_direction_NS_24const_host_device_scalarIT2_EEPKiS8_PKS5_SA_S6_PS5_21rocsparse_index_base_b
                                        ; -- End function
	.set _ZN9rocsparseL19gebsrmvn_4xn_kernelILj128ELj2ELj64E21rocsparse_complex_numIdEEEvi20rocsparse_direction_NS_24const_host_device_scalarIT2_EEPKiS8_PKS5_SA_S6_PS5_21rocsparse_index_base_b.num_vgpr, 76
	.set _ZN9rocsparseL19gebsrmvn_4xn_kernelILj128ELj2ELj64E21rocsparse_complex_numIdEEEvi20rocsparse_direction_NS_24const_host_device_scalarIT2_EEPKiS8_PKS5_SA_S6_PS5_21rocsparse_index_base_b.num_agpr, 0
	.set _ZN9rocsparseL19gebsrmvn_4xn_kernelILj128ELj2ELj64E21rocsparse_complex_numIdEEEvi20rocsparse_direction_NS_24const_host_device_scalarIT2_EEPKiS8_PKS5_SA_S6_PS5_21rocsparse_index_base_b.numbered_sgpr, 16
	.set _ZN9rocsparseL19gebsrmvn_4xn_kernelILj128ELj2ELj64E21rocsparse_complex_numIdEEEvi20rocsparse_direction_NS_24const_host_device_scalarIT2_EEPKiS8_PKS5_SA_S6_PS5_21rocsparse_index_base_b.num_named_barrier, 0
	.set _ZN9rocsparseL19gebsrmvn_4xn_kernelILj128ELj2ELj64E21rocsparse_complex_numIdEEEvi20rocsparse_direction_NS_24const_host_device_scalarIT2_EEPKiS8_PKS5_SA_S6_PS5_21rocsparse_index_base_b.private_seg_size, 0
	.set _ZN9rocsparseL19gebsrmvn_4xn_kernelILj128ELj2ELj64E21rocsparse_complex_numIdEEEvi20rocsparse_direction_NS_24const_host_device_scalarIT2_EEPKiS8_PKS5_SA_S6_PS5_21rocsparse_index_base_b.uses_vcc, 1
	.set _ZN9rocsparseL19gebsrmvn_4xn_kernelILj128ELj2ELj64E21rocsparse_complex_numIdEEEvi20rocsparse_direction_NS_24const_host_device_scalarIT2_EEPKiS8_PKS5_SA_S6_PS5_21rocsparse_index_base_b.uses_flat_scratch, 0
	.set _ZN9rocsparseL19gebsrmvn_4xn_kernelILj128ELj2ELj64E21rocsparse_complex_numIdEEEvi20rocsparse_direction_NS_24const_host_device_scalarIT2_EEPKiS8_PKS5_SA_S6_PS5_21rocsparse_index_base_b.has_dyn_sized_stack, 0
	.set _ZN9rocsparseL19gebsrmvn_4xn_kernelILj128ELj2ELj64E21rocsparse_complex_numIdEEEvi20rocsparse_direction_NS_24const_host_device_scalarIT2_EEPKiS8_PKS5_SA_S6_PS5_21rocsparse_index_base_b.has_recursion, 0
	.set _ZN9rocsparseL19gebsrmvn_4xn_kernelILj128ELj2ELj64E21rocsparse_complex_numIdEEEvi20rocsparse_direction_NS_24const_host_device_scalarIT2_EEPKiS8_PKS5_SA_S6_PS5_21rocsparse_index_base_b.has_indirect_call, 0
	.section	.AMDGPU.csdata,"",@progbits
; Kernel info:
; codeLenInByte = 2760
; TotalNumSgprs: 22
; NumVgprs: 76
; NumAgprs: 0
; TotalNumVgprs: 76
; ScratchSize: 0
; MemoryBound: 0
; FloatMode: 240
; IeeeMode: 1
; LDSByteSize: 0 bytes/workgroup (compile time only)
; SGPRBlocks: 2
; VGPRBlocks: 9
; NumSGPRsForWavesPerEU: 22
; NumVGPRsForWavesPerEU: 76
; AccumOffset: 76
; Occupancy: 6
; WaveLimiterHint : 1
; COMPUTE_PGM_RSRC2:SCRATCH_EN: 0
; COMPUTE_PGM_RSRC2:USER_SGPR: 2
; COMPUTE_PGM_RSRC2:TRAP_HANDLER: 0
; COMPUTE_PGM_RSRC2:TGID_X_EN: 1
; COMPUTE_PGM_RSRC2:TGID_Y_EN: 0
; COMPUTE_PGM_RSRC2:TGID_Z_EN: 0
; COMPUTE_PGM_RSRC2:TIDIG_COMP_CNT: 0
; COMPUTE_PGM_RSRC3_GFX90A:ACCUM_OFFSET: 18
; COMPUTE_PGM_RSRC3_GFX90A:TG_SPLIT: 0
	.section	.text._ZN9rocsparseL19gebsrmvn_4xn_kernelILj128ELj3ELj4E21rocsparse_complex_numIdEEEvi20rocsparse_direction_NS_24const_host_device_scalarIT2_EEPKiS8_PKS5_SA_S6_PS5_21rocsparse_index_base_b,"axG",@progbits,_ZN9rocsparseL19gebsrmvn_4xn_kernelILj128ELj3ELj4E21rocsparse_complex_numIdEEEvi20rocsparse_direction_NS_24const_host_device_scalarIT2_EEPKiS8_PKS5_SA_S6_PS5_21rocsparse_index_base_b,comdat
	.globl	_ZN9rocsparseL19gebsrmvn_4xn_kernelILj128ELj3ELj4E21rocsparse_complex_numIdEEEvi20rocsparse_direction_NS_24const_host_device_scalarIT2_EEPKiS8_PKS5_SA_S6_PS5_21rocsparse_index_base_b ; -- Begin function _ZN9rocsparseL19gebsrmvn_4xn_kernelILj128ELj3ELj4E21rocsparse_complex_numIdEEEvi20rocsparse_direction_NS_24const_host_device_scalarIT2_EEPKiS8_PKS5_SA_S6_PS5_21rocsparse_index_base_b
	.p2align	8
	.type	_ZN9rocsparseL19gebsrmvn_4xn_kernelILj128ELj3ELj4E21rocsparse_complex_numIdEEEvi20rocsparse_direction_NS_24const_host_device_scalarIT2_EEPKiS8_PKS5_SA_S6_PS5_21rocsparse_index_base_b,@function
_ZN9rocsparseL19gebsrmvn_4xn_kernelILj128ELj3ELj4E21rocsparse_complex_numIdEEEvi20rocsparse_direction_NS_24const_host_device_scalarIT2_EEPKiS8_PKS5_SA_S6_PS5_21rocsparse_index_base_b: ; @_ZN9rocsparseL19gebsrmvn_4xn_kernelILj128ELj3ELj4E21rocsparse_complex_numIdEEEvi20rocsparse_direction_NS_24const_host_device_scalarIT2_EEPKiS8_PKS5_SA_S6_PS5_21rocsparse_index_base_b
; %bb.0:
	s_load_dwordx2 s[4:5], s[0:1], 0x8
	s_load_dwordx2 s[6:7], s[0:1], 0x38
	;; [unrolled: 1-line block ×3, first 2 shown]
	s_add_u32 s3, s0, 8
	s_addc_u32 s8, s1, 0
	s_add_u32 s9, s0, 56
	s_addc_u32 s10, s1, 0
	s_waitcnt lgkmcnt(0)
	s_bitcmp1_b32 s13, 0
	s_cselect_b32 s5, s8, s5
	s_cselect_b32 s3, s3, s4
	v_mov_b32_e32 v2, s3
	v_mov_b32_e32 v3, s5
	flat_load_dwordx4 v[2:5], v[2:3]
	s_cselect_b32 s3, s10, s7
	s_cselect_b32 s4, s9, s6
	v_mov_b32_e32 v6, s4
	v_mov_b32_e32 v7, s3
	flat_load_dwordx4 v[6:9], v[6:7]
	s_waitcnt vmcnt(0) lgkmcnt(0)
	v_cmp_eq_f64_e32 vcc, 0, v[2:3]
	v_cmp_eq_f64_e64 s[4:5], 0, v[4:5]
	s_and_b64 s[8:9], vcc, s[4:5]
	s_mov_b64 s[4:5], -1
	s_and_saveexec_b64 s[6:7], s[8:9]
; %bb.1:
	v_cmp_neq_f64_e32 vcc, 1.0, v[6:7]
	v_cmp_neq_f64_e64 s[4:5], 0, v[8:9]
	s_or_b64 s[4:5], vcc, s[4:5]
	s_orn2_b64 s[4:5], s[4:5], exec
; %bb.2:
	s_or_b64 exec, exec, s[6:7]
	s_and_saveexec_b64 s[6:7], s[4:5]
	s_cbranch_execz .LBB121_21
; %bb.3:
	s_load_dwordx2 s[14:15], s[0:1], 0x0
	v_lshrrev_b32_e32 v1, 2, v0
	v_lshl_or_b32 v10, s2, 5, v1
	s_waitcnt lgkmcnt(0)
	v_cmp_gt_i32_e32 vcc, s14, v10
	s_and_b64 exec, exec, vcc
	s_cbranch_execz .LBB121_21
; %bb.4:
	s_load_dwordx8 s[4:11], s[0:1], 0x18
	v_ashrrev_i32_e32 v11, 31, v10
	s_cmp_lg_u32 s15, 0
	s_waitcnt lgkmcnt(0)
	v_lshl_add_u64 v[12:13], v[10:11], 2, s[4:5]
	global_load_dwordx2 v[12:13], v[12:13], off
	v_and_b32_e32 v11, 3, v0
	s_waitcnt vmcnt(0)
	v_subrev_u32_e32 v0, s12, v12
	v_subrev_u32_e32 v32, s12, v13
	v_add_u32_e32 v18, v0, v11
	v_cmp_lt_i32_e64 s[2:3], v18, v32
	s_cbranch_scc0 .LBB121_10
; %bb.5:
	v_mov_b64_e32 v[12:13], 0
	v_mov_b64_e32 v[24:25], 0
	;; [unrolled: 1-line block ×8, first 2 shown]
	s_and_saveexec_b64 s[4:5], s[2:3]
	s_cbranch_execz .LBB121_9
; %bb.6:
	v_mul_lo_u32 v28, v18, 12
	v_mov_b64_e32 v[12:13], 0
	s_mov_b64 s[14:15], 0
	v_mov_b32_e32 v29, 0
	v_mov_b32_e32 v30, v18
	v_mov_b64_e32 v[24:25], 0
	v_mov_b64_e32 v[20:21], 0
	;; [unrolled: 1-line block ×7, first 2 shown]
.LBB121_7:                              ; =>This Inner Loop Header: Depth=1
	v_ashrrev_i32_e32 v31, 31, v30
	v_lshl_add_u64 v[34:35], v[30:31], 2, s[6:7]
	global_load_dword v19, v[34:35], off
	v_add_u32_e32 v52, 4, v28
	v_mov_b32_e32 v53, v29
	v_lshl_add_u64 v[50:51], v[28:29], 4, s[8:9]
	v_mov_b32_e32 v83, v29
	v_add_u32_e32 v54, 8, v28
	v_mov_b32_e32 v55, v29
	v_lshl_add_u64 v[84:85], v[52:53], 4, s[8:9]
	global_load_dwordx4 v[34:37], v[50:51], off offset:48
	global_load_dwordx4 v[38:41], v[50:51], off offset:32
	;; [unrolled: 1-line block ×3, first 2 shown]
	global_load_dwordx4 v[46:49], v[50:51], off
	v_lshl_add_u64 v[90:91], v[54:55], 4, s[8:9]
	global_load_dwordx4 v[50:53], v[84:85], off offset:48
	global_load_dwordx4 v[54:57], v[84:85], off offset:32
	global_load_dwordx4 v[58:61], v[84:85], off offset:16
	global_load_dwordx4 v[62:65], v[84:85], off
	global_load_dwordx4 v[66:69], v[90:91], off offset:48
	global_load_dwordx4 v[70:73], v[90:91], off offset:32
	;; [unrolled: 1-line block ×3, first 2 shown]
	global_load_dwordx4 v[78:81], v[90:91], off
	v_mov_b32_e32 v87, v29
	v_mov_b32_e32 v89, v29
	v_add_u32_e32 v30, 4, v30
	v_cmp_ge_i32_e32 vcc, v30, v32
	v_add_u32_e32 v28, 48, v28
	s_or_b64 s[14:15], vcc, s[14:15]
	s_waitcnt vmcnt(12)
	v_subrev_u32_e32 v19, s12, v19
	v_lshl_add_u32 v82, v19, 1, v19
	v_lshl_add_u64 v[84:85], v[82:83], 4, s[10:11]
	v_add_u32_e32 v86, 1, v82
	v_add_u32_e32 v88, 2, v82
	global_load_dwordx4 v[82:85], v[84:85], off
	v_lshl_add_u64 v[94:95], v[86:87], 4, s[10:11]
	v_lshl_add_u64 v[96:97], v[88:89], 4, s[10:11]
	global_load_dwordx4 v[86:89], v[94:95], off
	global_load_dwordx4 v[90:93], v[96:97], off
	s_waitcnt vmcnt(2)
	v_fmac_f64_e32 v[24:25], v[46:47], v[82:83]
	v_fmac_f64_e32 v[12:13], v[48:49], v[82:83]
	v_fmac_f64_e32 v[26:27], v[42:43], v[82:83]
	v_fmac_f64_e32 v[16:17], v[44:45], v[82:83]
	v_fmac_f64_e32 v[22:23], v[38:39], v[82:83]
	v_fmac_f64_e32 v[14:15], v[40:41], v[82:83]
	v_fmac_f64_e32 v[20:21], v[34:35], v[82:83]
	v_fmac_f64_e32 v[0:1], v[36:37], v[82:83]
	v_fma_f64 v[24:25], -v[48:49], v[84:85], v[24:25]
	v_fmac_f64_e32 v[12:13], v[46:47], v[84:85]
	v_fma_f64 v[26:27], -v[44:45], v[84:85], v[26:27]
	v_fmac_f64_e32 v[16:17], v[42:43], v[84:85]
	v_fma_f64 v[22:23], -v[40:41], v[84:85], v[22:23]
	v_fmac_f64_e32 v[14:15], v[38:39], v[84:85]
	v_fma_f64 v[20:21], -v[36:37], v[84:85], v[20:21]
	v_fmac_f64_e32 v[0:1], v[34:35], v[84:85]
	s_waitcnt vmcnt(1)
	v_fmac_f64_e32 v[24:25], v[62:63], v[86:87]
	v_fmac_f64_e32 v[12:13], v[64:65], v[86:87]
	v_fmac_f64_e32 v[26:27], v[58:59], v[86:87]
	v_fmac_f64_e32 v[16:17], v[60:61], v[86:87]
	v_fmac_f64_e32 v[22:23], v[54:55], v[86:87]
	v_fmac_f64_e32 v[14:15], v[56:57], v[86:87]
	v_fmac_f64_e32 v[20:21], v[50:51], v[86:87]
	v_fmac_f64_e32 v[0:1], v[52:53], v[86:87]
	v_fma_f64 v[24:25], -v[64:65], v[88:89], v[24:25]
	v_fmac_f64_e32 v[12:13], v[62:63], v[88:89]
	v_fma_f64 v[26:27], -v[60:61], v[88:89], v[26:27]
	v_fmac_f64_e32 v[16:17], v[58:59], v[88:89]
	v_fma_f64 v[22:23], -v[56:57], v[88:89], v[22:23]
	v_fmac_f64_e32 v[14:15], v[54:55], v[88:89]
	v_fma_f64 v[20:21], -v[52:53], v[88:89], v[20:21]
	v_fmac_f64_e32 v[0:1], v[50:51], v[88:89]
	;; [unrolled: 17-line block ×3, first 2 shown]
	s_andn2_b64 exec, exec, s[14:15]
	s_cbranch_execnz .LBB121_7
; %bb.8:
	s_or_b64 exec, exec, s[14:15]
.LBB121_9:
	s_or_b64 exec, exec, s[4:5]
	s_cbranch_execz .LBB121_11
	s_branch .LBB121_16
.LBB121_10:
                                        ; implicit-def: $vgpr12_vgpr13
                                        ; implicit-def: $vgpr24_vgpr25
                                        ; implicit-def: $vgpr20_vgpr21
                                        ; implicit-def: $vgpr0_vgpr1
                                        ; implicit-def: $vgpr22_vgpr23
                                        ; implicit-def: $vgpr14_vgpr15
                                        ; implicit-def: $vgpr26_vgpr27
                                        ; implicit-def: $vgpr16_vgpr17
.LBB121_11:
	v_mov_b64_e32 v[12:13], 0
	v_mov_b64_e32 v[24:25], 0
	;; [unrolled: 1-line block ×8, first 2 shown]
	s_and_saveexec_b64 s[4:5], s[2:3]
	s_cbranch_execz .LBB121_15
; %bb.12:
	v_mad_u64_u32 v[28:29], s[2:3], v18, 12, 11
	v_mov_b64_e32 v[12:13], 0
	s_mov_b64 s[2:3], 0
	v_mov_b32_e32 v31, 0
	v_mov_b64_e32 v[24:25], 0
	v_mov_b64_e32 v[20:21], 0
	;; [unrolled: 1-line block ×7, first 2 shown]
.LBB121_13:                             ; =>This Inner Loop Header: Depth=1
	v_ashrrev_i32_e32 v19, 31, v18
	v_add_u32_e32 v30, -11, v28
	v_add_u32_e32 v34, -5, v28
	;; [unrolled: 1-line block ×3, first 2 shown]
	v_mov_b32_e32 v35, v31
	v_mov_b32_e32 v37, v31
	;; [unrolled: 1-line block ×3, first 2 shown]
	v_lshl_add_u64 v[62:63], v[18:19], 2, s[6:7]
	v_lshl_add_u64 v[64:65], v[30:31], 4, s[8:9]
	;; [unrolled: 1-line block ×5, first 2 shown]
	global_load_dword v19, v[62:63], off
	global_load_dwordx4 v[34:37], v[64:65], off offset:48
	global_load_dwordx4 v[38:41], v[64:65], off offset:32
	;; [unrolled: 1-line block ×3, first 2 shown]
	global_load_dwordx4 v[46:49], v[64:65], off
	global_load_dwordx4 v[50:53], v[66:67], off
	;; [unrolled: 1-line block ×4, first 2 shown]
	v_mov_b32_e32 v79, v31
	v_add_u32_e32 v18, 4, v18
	v_cmp_ge_i32_e32 vcc, v18, v32
	s_or_b64 s[2:3], vcc, s[2:3]
	s_waitcnt vmcnt(7)
	v_subrev_u32_e32 v19, s12, v19
	v_lshl_add_u32 v78, v19, 1, v19
	v_lshl_add_u64 v[62:63], v[78:79], 4, s[10:11]
	global_load_dwordx4 v[62:65], v[62:63], off
	v_add_u32_e32 v30, 1, v78
	v_lshl_add_u64 v[66:67], v[30:31], 4, s[10:11]
	v_add_u32_e32 v30, -7, v28
	v_lshl_add_u64 v[70:71], v[30:31], 4, s[8:9]
	v_add_u32_e32 v30, -4, v28
	;; [unrolled: 2-line block ×3, first 2 shown]
	v_lshl_add_u64 v[80:81], v[30:31], 4, s[8:9]
	v_add_u32_e32 v30, 2, v78
	global_load_dwordx4 v[66:69], v[66:67], off
	v_lshl_add_u64 v[82:83], v[30:31], 4, s[10:11]
	v_add_u32_e32 v30, -6, v28
	global_load_dwordx4 v[70:73], v[70:71], off
	s_waitcnt vmcnt(2)
	v_fmac_f64_e32 v[12:13], v[48:49], v[62:63]
	global_load_dwordx4 v[74:77], v[74:75], off
	v_fmac_f64_e32 v[24:25], v[46:47], v[62:63]
	global_load_dwordx4 v[78:81], v[80:81], off
	v_fmac_f64_e32 v[12:13], v[46:47], v[64:65]
	v_lshl_add_u64 v[46:47], v[30:31], 4, s[8:9]
	v_add_u32_e32 v30, -3, v28
	v_fmac_f64_e32 v[16:17], v[36:37], v[62:63]
	v_fmac_f64_e32 v[26:27], v[34:35], v[62:63]
	;; [unrolled: 1-line block ×3, first 2 shown]
	v_lshl_add_u64 v[34:35], v[30:31], 4, s[8:9]
	global_load_dwordx4 v[82:85], v[82:83], off
	v_fma_f64 v[24:25], -v[48:49], v[64:65], v[24:25]
	global_load_dwordx4 v[46:49], v[46:47], off
	v_fma_f64 v[26:27], -v[36:37], v[64:65], v[26:27]
	global_load_dwordx4 v[34:37], v[34:35], off
	v_fmac_f64_e32 v[22:23], v[50:51], v[62:63]
	v_fmac_f64_e32 v[14:15], v[52:53], v[62:63]
	;; [unrolled: 1-line block ×4, first 2 shown]
	v_fma_f64 v[22:23], -v[52:53], v[64:65], v[22:23]
	v_fmac_f64_e32 v[14:15], v[50:51], v[64:65]
	v_fma_f64 v[20:21], -v[56:57], v[64:65], v[20:21]
	v_fmac_f64_e32 v[0:1], v[54:55], v[64:65]
	s_waitcnt vmcnt(6)
	v_fmac_f64_e32 v[24:25], v[42:43], v[66:67]
	v_fmac_f64_e32 v[12:13], v[44:45], v[66:67]
	s_waitcnt vmcnt(5)
	v_fmac_f64_e32 v[26:27], v[70:71], v[66:67]
	v_fmac_f64_e32 v[16:17], v[72:73], v[66:67]
	v_fma_f64 v[24:25], -v[44:45], v[68:69], v[24:25]
	v_fmac_f64_e32 v[12:13], v[42:43], v[68:69]
	v_fma_f64 v[26:27], -v[72:73], v[68:69], v[26:27]
	v_fmac_f64_e32 v[16:17], v[70:71], v[68:69]
	v_add_u32_e32 v28, 48, v28
	s_waitcnt vmcnt(4)
	v_fmac_f64_e32 v[22:23], v[74:75], v[66:67]
	v_fmac_f64_e32 v[14:15], v[76:77], v[66:67]
	s_waitcnt vmcnt(3)
	v_fmac_f64_e32 v[20:21], v[78:79], v[66:67]
	v_fmac_f64_e32 v[0:1], v[80:81], v[66:67]
	v_fma_f64 v[22:23], -v[76:77], v[68:69], v[22:23]
	v_fmac_f64_e32 v[14:15], v[74:75], v[68:69]
	v_fma_f64 v[20:21], -v[80:81], v[68:69], v[20:21]
	v_fmac_f64_e32 v[0:1], v[78:79], v[68:69]
	s_waitcnt vmcnt(2)
	v_fmac_f64_e32 v[24:25], v[38:39], v[82:83]
	v_fmac_f64_e32 v[12:13], v[40:41], v[82:83]
	s_waitcnt vmcnt(1)
	v_fmac_f64_e32 v[26:27], v[46:47], v[82:83]
	v_fmac_f64_e32 v[16:17], v[48:49], v[82:83]
	;; [unrolled: 1-line block ×4, first 2 shown]
	s_waitcnt vmcnt(0)
	v_fmac_f64_e32 v[22:23], v[34:35], v[82:83]
	v_fmac_f64_e32 v[14:15], v[36:37], v[82:83]
	v_fma_f64 v[24:25], -v[40:41], v[84:85], v[24:25]
	v_fmac_f64_e32 v[12:13], v[38:39], v[84:85]
	v_fma_f64 v[26:27], -v[48:49], v[84:85], v[26:27]
	;; [unrolled: 2-line block ×4, first 2 shown]
	v_fmac_f64_e32 v[14:15], v[34:35], v[84:85]
	s_andn2_b64 exec, exec, s[2:3]
	s_cbranch_execnz .LBB121_13
; %bb.14:
	s_or_b64 exec, exec, s[2:3]
.LBB121_15:
	s_or_b64 exec, exec, s[4:5]
.LBB121_16:
	v_mov_b32_dpp v34, v22 row_shr:1 row_mask:0xf bank_mask:0xf
	v_mov_b32_dpp v35, v23 row_shr:1 row_mask:0xf bank_mask:0xf
	v_add_f64 v[34:35], v[22:23], v[34:35]
	v_mov_b32_dpp v22, v14 row_shr:1 row_mask:0xf bank_mask:0xf
	v_mov_b32_dpp v23, v15 row_shr:1 row_mask:0xf bank_mask:0xf
	v_add_f64 v[38:39], v[14:15], v[22:23]
	v_mov_b32_dpp v14, v20 row_shr:1 row_mask:0xf bank_mask:0xf
	v_mov_b32_dpp v15, v21 row_shr:1 row_mask:0xf bank_mask:0xf
	;; [unrolled: 1-line block ×10, first 2 shown]
	v_add_f64 v[42:43], v[20:21], v[14:15]
	v_mov_b32_dpp v14, v0 row_shr:1 row_mask:0xf bank_mask:0xf
	v_mov_b32_dpp v15, v1 row_shr:1 row_mask:0xf bank_mask:0xf
	v_add_f64 v[18:19], v[24:25], v[18:19]
	v_add_f64 v[12:13], v[12:13], v[28:29]
	;; [unrolled: 1-line block ×5, first 2 shown]
	v_mov_b32_dpp v24, v18 row_shr:2 row_mask:0xf bank_mask:0xf
	v_mov_b32_dpp v25, v19 row_shr:2 row_mask:0xf bank_mask:0xf
	;; [unrolled: 1-line block ×16, first 2 shown]
	v_cmp_eq_u32_e32 vcc, 3, v11
	s_and_b64 exec, exec, vcc
	s_cbranch_execz .LBB121_21
; %bb.17:
	s_load_dwordx2 s[2:3], s[0:1], 0x48
	v_cmp_eq_f64_e32 vcc, 0, v[6:7]
	v_cmp_eq_f64_e64 s[0:1], 0, v[8:9]
	v_add_f64 v[18:19], v[18:19], v[24:25]
	v_add_f64 v[24:25], v[12:13], v[28:29]
	;; [unrolled: 1-line block ×8, first 2 shown]
	s_and_b64 s[0:1], vcc, s[0:1]
	s_and_saveexec_b64 s[4:5], s[0:1]
	s_xor_b64 s[0:1], exec, s[4:5]
	s_cbranch_execz .LBB121_19
; %bb.18:
	v_lshlrev_b32_e32 v10, 2, v10
	v_mul_f64 v[6:7], v[24:25], -v[4:5]
	v_mul_f64 v[8:9], v[2:3], v[24:25]
	v_ashrrev_i32_e32 v11, 31, v10
	v_fmac_f64_e32 v[6:7], v[2:3], v[18:19]
	v_fmac_f64_e32 v[8:9], v[4:5], v[18:19]
	s_waitcnt lgkmcnt(0)
	v_lshl_add_u64 v[10:11], v[10:11], 4, s[2:3]
	global_store_dwordx4 v[10:11], v[6:9], off
                                        ; implicit-def: $vgpr18_vgpr19
                                        ; implicit-def: $vgpr24_vgpr25
	s_nop 1
	v_mul_f64 v[6:7], v[22:23], -v[4:5]
	v_mul_f64 v[8:9], v[2:3], v[22:23]
	v_fmac_f64_e32 v[6:7], v[2:3], v[14:15]
	v_fmac_f64_e32 v[8:9], v[4:5], v[14:15]
	global_store_dwordx4 v[10:11], v[6:9], off offset:16
                                        ; implicit-def: $vgpr14_vgpr15
                                        ; implicit-def: $vgpr22_vgpr23
	s_nop 1
	v_mul_f64 v[6:7], v[20:21], -v[4:5]
	v_mul_f64 v[8:9], v[2:3], v[20:21]
	v_fmac_f64_e32 v[6:7], v[2:3], v[12:13]
	v_fmac_f64_e32 v[8:9], v[4:5], v[12:13]
	global_store_dwordx4 v[10:11], v[6:9], off offset:32
                                        ; implicit-def: $vgpr12_vgpr13
                                        ; implicit-def: $vgpr20_vgpr21
	s_nop 1
	v_mul_f64 v[6:7], v[16:17], -v[4:5]
	v_mul_f64 v[8:9], v[2:3], v[16:17]
	v_fmac_f64_e32 v[6:7], v[2:3], v[0:1]
	v_fmac_f64_e32 v[8:9], v[4:5], v[0:1]
	global_store_dwordx4 v[10:11], v[6:9], off offset:48
                                        ; implicit-def: $vgpr10
                                        ; implicit-def: $vgpr0_vgpr1
                                        ; implicit-def: $vgpr16_vgpr17
                                        ; implicit-def: $vgpr8_vgpr9
                                        ; implicit-def: $vgpr4_vgpr5
.LBB121_19:
	s_andn2_saveexec_b64 s[0:1], s[0:1]
	s_cbranch_execz .LBB121_21
; %bb.20:
	v_lshlrev_b32_e32 v10, 2, v10
	v_ashrrev_i32_e32 v11, 31, v10
	s_waitcnt lgkmcnt(0)
	v_lshl_add_u64 v[46:47], v[10:11], 4, s[2:3]
	global_load_dwordx4 v[26:29], v[46:47], off
	global_load_dwordx4 v[30:33], v[46:47], off offset:16
	global_load_dwordx4 v[34:37], v[46:47], off offset:32
	;; [unrolled: 1-line block ×3, first 2 shown]
	v_mul_f64 v[42:43], v[24:25], -v[4:5]
	v_mul_f64 v[24:25], v[2:3], v[24:25]
	v_mul_f64 v[48:49], v[22:23], -v[4:5]
	v_mul_f64 v[44:45], v[2:3], v[22:23]
	;; [unrolled: 2-line block ×4, first 2 shown]
	v_fmac_f64_e32 v[42:43], v[2:3], v[18:19]
	v_fmac_f64_e32 v[24:25], v[4:5], v[18:19]
	;; [unrolled: 1-line block ×8, first 2 shown]
	s_waitcnt vmcnt(3)
	v_fmac_f64_e32 v[42:43], v[6:7], v[26:27]
	v_fmac_f64_e32 v[24:25], v[8:9], v[26:27]
	s_waitcnt vmcnt(2)
	v_fmac_f64_e32 v[48:49], v[6:7], v[30:31]
	v_fmac_f64_e32 v[44:45], v[8:9], v[30:31]
	;; [unrolled: 3-line block ×4, first 2 shown]
	v_fma_f64 v[22:23], -v[8:9], v[28:29], v[42:43]
	v_fmac_f64_e32 v[24:25], v[6:7], v[28:29]
	v_fma_f64 v[42:43], -v[8:9], v[32:33], v[48:49]
	v_fmac_f64_e32 v[44:45], v[6:7], v[32:33]
	;; [unrolled: 2-line block ×4, first 2 shown]
	global_store_dwordx4 v[46:47], v[22:25], off
	global_store_dwordx4 v[46:47], v[42:45], off offset:16
	global_store_dwordx4 v[46:47], v[18:21], off offset:32
	;; [unrolled: 1-line block ×3, first 2 shown]
.LBB121_21:
	s_endpgm
	.section	.rodata,"a",@progbits
	.p2align	6, 0x0
	.amdhsa_kernel _ZN9rocsparseL19gebsrmvn_4xn_kernelILj128ELj3ELj4E21rocsparse_complex_numIdEEEvi20rocsparse_direction_NS_24const_host_device_scalarIT2_EEPKiS8_PKS5_SA_S6_PS5_21rocsparse_index_base_b
		.amdhsa_group_segment_fixed_size 0
		.amdhsa_private_segment_fixed_size 0
		.amdhsa_kernarg_size 88
		.amdhsa_user_sgpr_count 2
		.amdhsa_user_sgpr_dispatch_ptr 0
		.amdhsa_user_sgpr_queue_ptr 0
		.amdhsa_user_sgpr_kernarg_segment_ptr 1
		.amdhsa_user_sgpr_dispatch_id 0
		.amdhsa_user_sgpr_kernarg_preload_length 0
		.amdhsa_user_sgpr_kernarg_preload_offset 0
		.amdhsa_user_sgpr_private_segment_size 0
		.amdhsa_uses_dynamic_stack 0
		.amdhsa_enable_private_segment 0
		.amdhsa_system_sgpr_workgroup_id_x 1
		.amdhsa_system_sgpr_workgroup_id_y 0
		.amdhsa_system_sgpr_workgroup_id_z 0
		.amdhsa_system_sgpr_workgroup_info 0
		.amdhsa_system_vgpr_workitem_id 0
		.amdhsa_next_free_vgpr 98
		.amdhsa_next_free_sgpr 16
		.amdhsa_accum_offset 100
		.amdhsa_reserve_vcc 1
		.amdhsa_float_round_mode_32 0
		.amdhsa_float_round_mode_16_64 0
		.amdhsa_float_denorm_mode_32 3
		.amdhsa_float_denorm_mode_16_64 3
		.amdhsa_dx10_clamp 1
		.amdhsa_ieee_mode 1
		.amdhsa_fp16_overflow 0
		.amdhsa_tg_split 0
		.amdhsa_exception_fp_ieee_invalid_op 0
		.amdhsa_exception_fp_denorm_src 0
		.amdhsa_exception_fp_ieee_div_zero 0
		.amdhsa_exception_fp_ieee_overflow 0
		.amdhsa_exception_fp_ieee_underflow 0
		.amdhsa_exception_fp_ieee_inexact 0
		.amdhsa_exception_int_div_zero 0
	.end_amdhsa_kernel
	.section	.text._ZN9rocsparseL19gebsrmvn_4xn_kernelILj128ELj3ELj4E21rocsparse_complex_numIdEEEvi20rocsparse_direction_NS_24const_host_device_scalarIT2_EEPKiS8_PKS5_SA_S6_PS5_21rocsparse_index_base_b,"axG",@progbits,_ZN9rocsparseL19gebsrmvn_4xn_kernelILj128ELj3ELj4E21rocsparse_complex_numIdEEEvi20rocsparse_direction_NS_24const_host_device_scalarIT2_EEPKiS8_PKS5_SA_S6_PS5_21rocsparse_index_base_b,comdat
.Lfunc_end121:
	.size	_ZN9rocsparseL19gebsrmvn_4xn_kernelILj128ELj3ELj4E21rocsparse_complex_numIdEEEvi20rocsparse_direction_NS_24const_host_device_scalarIT2_EEPKiS8_PKS5_SA_S6_PS5_21rocsparse_index_base_b, .Lfunc_end121-_ZN9rocsparseL19gebsrmvn_4xn_kernelILj128ELj3ELj4E21rocsparse_complex_numIdEEEvi20rocsparse_direction_NS_24const_host_device_scalarIT2_EEPKiS8_PKS5_SA_S6_PS5_21rocsparse_index_base_b
                                        ; -- End function
	.set _ZN9rocsparseL19gebsrmvn_4xn_kernelILj128ELj3ELj4E21rocsparse_complex_numIdEEEvi20rocsparse_direction_NS_24const_host_device_scalarIT2_EEPKiS8_PKS5_SA_S6_PS5_21rocsparse_index_base_b.num_vgpr, 98
	.set _ZN9rocsparseL19gebsrmvn_4xn_kernelILj128ELj3ELj4E21rocsparse_complex_numIdEEEvi20rocsparse_direction_NS_24const_host_device_scalarIT2_EEPKiS8_PKS5_SA_S6_PS5_21rocsparse_index_base_b.num_agpr, 0
	.set _ZN9rocsparseL19gebsrmvn_4xn_kernelILj128ELj3ELj4E21rocsparse_complex_numIdEEEvi20rocsparse_direction_NS_24const_host_device_scalarIT2_EEPKiS8_PKS5_SA_S6_PS5_21rocsparse_index_base_b.numbered_sgpr, 16
	.set _ZN9rocsparseL19gebsrmvn_4xn_kernelILj128ELj3ELj4E21rocsparse_complex_numIdEEEvi20rocsparse_direction_NS_24const_host_device_scalarIT2_EEPKiS8_PKS5_SA_S6_PS5_21rocsparse_index_base_b.num_named_barrier, 0
	.set _ZN9rocsparseL19gebsrmvn_4xn_kernelILj128ELj3ELj4E21rocsparse_complex_numIdEEEvi20rocsparse_direction_NS_24const_host_device_scalarIT2_EEPKiS8_PKS5_SA_S6_PS5_21rocsparse_index_base_b.private_seg_size, 0
	.set _ZN9rocsparseL19gebsrmvn_4xn_kernelILj128ELj3ELj4E21rocsparse_complex_numIdEEEvi20rocsparse_direction_NS_24const_host_device_scalarIT2_EEPKiS8_PKS5_SA_S6_PS5_21rocsparse_index_base_b.uses_vcc, 1
	.set _ZN9rocsparseL19gebsrmvn_4xn_kernelILj128ELj3ELj4E21rocsparse_complex_numIdEEEvi20rocsparse_direction_NS_24const_host_device_scalarIT2_EEPKiS8_PKS5_SA_S6_PS5_21rocsparse_index_base_b.uses_flat_scratch, 0
	.set _ZN9rocsparseL19gebsrmvn_4xn_kernelILj128ELj3ELj4E21rocsparse_complex_numIdEEEvi20rocsparse_direction_NS_24const_host_device_scalarIT2_EEPKiS8_PKS5_SA_S6_PS5_21rocsparse_index_base_b.has_dyn_sized_stack, 0
	.set _ZN9rocsparseL19gebsrmvn_4xn_kernelILj128ELj3ELj4E21rocsparse_complex_numIdEEEvi20rocsparse_direction_NS_24const_host_device_scalarIT2_EEPKiS8_PKS5_SA_S6_PS5_21rocsparse_index_base_b.has_recursion, 0
	.set _ZN9rocsparseL19gebsrmvn_4xn_kernelILj128ELj3ELj4E21rocsparse_complex_numIdEEEvi20rocsparse_direction_NS_24const_host_device_scalarIT2_EEPKiS8_PKS5_SA_S6_PS5_21rocsparse_index_base_b.has_indirect_call, 0
	.section	.AMDGPU.csdata,"",@progbits
; Kernel info:
; codeLenInByte = 2464
; TotalNumSgprs: 22
; NumVgprs: 98
; NumAgprs: 0
; TotalNumVgprs: 98
; ScratchSize: 0
; MemoryBound: 0
; FloatMode: 240
; IeeeMode: 1
; LDSByteSize: 0 bytes/workgroup (compile time only)
; SGPRBlocks: 2
; VGPRBlocks: 12
; NumSGPRsForWavesPerEU: 22
; NumVGPRsForWavesPerEU: 98
; AccumOffset: 100
; Occupancy: 4
; WaveLimiterHint : 1
; COMPUTE_PGM_RSRC2:SCRATCH_EN: 0
; COMPUTE_PGM_RSRC2:USER_SGPR: 2
; COMPUTE_PGM_RSRC2:TRAP_HANDLER: 0
; COMPUTE_PGM_RSRC2:TGID_X_EN: 1
; COMPUTE_PGM_RSRC2:TGID_Y_EN: 0
; COMPUTE_PGM_RSRC2:TGID_Z_EN: 0
; COMPUTE_PGM_RSRC2:TIDIG_COMP_CNT: 0
; COMPUTE_PGM_RSRC3_GFX90A:ACCUM_OFFSET: 24
; COMPUTE_PGM_RSRC3_GFX90A:TG_SPLIT: 0
	.section	.text._ZN9rocsparseL19gebsrmvn_4xn_kernelILj128ELj3ELj8E21rocsparse_complex_numIdEEEvi20rocsparse_direction_NS_24const_host_device_scalarIT2_EEPKiS8_PKS5_SA_S6_PS5_21rocsparse_index_base_b,"axG",@progbits,_ZN9rocsparseL19gebsrmvn_4xn_kernelILj128ELj3ELj8E21rocsparse_complex_numIdEEEvi20rocsparse_direction_NS_24const_host_device_scalarIT2_EEPKiS8_PKS5_SA_S6_PS5_21rocsparse_index_base_b,comdat
	.globl	_ZN9rocsparseL19gebsrmvn_4xn_kernelILj128ELj3ELj8E21rocsparse_complex_numIdEEEvi20rocsparse_direction_NS_24const_host_device_scalarIT2_EEPKiS8_PKS5_SA_S6_PS5_21rocsparse_index_base_b ; -- Begin function _ZN9rocsparseL19gebsrmvn_4xn_kernelILj128ELj3ELj8E21rocsparse_complex_numIdEEEvi20rocsparse_direction_NS_24const_host_device_scalarIT2_EEPKiS8_PKS5_SA_S6_PS5_21rocsparse_index_base_b
	.p2align	8
	.type	_ZN9rocsparseL19gebsrmvn_4xn_kernelILj128ELj3ELj8E21rocsparse_complex_numIdEEEvi20rocsparse_direction_NS_24const_host_device_scalarIT2_EEPKiS8_PKS5_SA_S6_PS5_21rocsparse_index_base_b,@function
_ZN9rocsparseL19gebsrmvn_4xn_kernelILj128ELj3ELj8E21rocsparse_complex_numIdEEEvi20rocsparse_direction_NS_24const_host_device_scalarIT2_EEPKiS8_PKS5_SA_S6_PS5_21rocsparse_index_base_b: ; @_ZN9rocsparseL19gebsrmvn_4xn_kernelILj128ELj3ELj8E21rocsparse_complex_numIdEEEvi20rocsparse_direction_NS_24const_host_device_scalarIT2_EEPKiS8_PKS5_SA_S6_PS5_21rocsparse_index_base_b
; %bb.0:
	s_load_dwordx2 s[4:5], s[0:1], 0x8
	s_load_dwordx2 s[6:7], s[0:1], 0x38
	;; [unrolled: 1-line block ×3, first 2 shown]
	s_add_u32 s3, s0, 8
	s_addc_u32 s8, s1, 0
	s_add_u32 s9, s0, 56
	s_addc_u32 s10, s1, 0
	s_waitcnt lgkmcnt(0)
	s_bitcmp1_b32 s13, 0
	s_cselect_b32 s5, s8, s5
	s_cselect_b32 s3, s3, s4
	v_mov_b32_e32 v2, s3
	v_mov_b32_e32 v3, s5
	flat_load_dwordx4 v[2:5], v[2:3]
	s_cselect_b32 s3, s10, s7
	s_cselect_b32 s4, s9, s6
	v_mov_b32_e32 v6, s4
	v_mov_b32_e32 v7, s3
	flat_load_dwordx4 v[6:9], v[6:7]
	s_waitcnt vmcnt(0) lgkmcnt(0)
	v_cmp_eq_f64_e32 vcc, 0, v[2:3]
	v_cmp_eq_f64_e64 s[4:5], 0, v[4:5]
	s_and_b64 s[8:9], vcc, s[4:5]
	s_mov_b64 s[4:5], -1
	s_and_saveexec_b64 s[6:7], s[8:9]
; %bb.1:
	v_cmp_neq_f64_e32 vcc, 1.0, v[6:7]
	v_cmp_neq_f64_e64 s[4:5], 0, v[8:9]
	s_or_b64 s[4:5], vcc, s[4:5]
	s_orn2_b64 s[4:5], s[4:5], exec
; %bb.2:
	s_or_b64 exec, exec, s[6:7]
	s_and_saveexec_b64 s[6:7], s[4:5]
	s_cbranch_execz .LBB122_21
; %bb.3:
	s_load_dwordx2 s[14:15], s[0:1], 0x0
	v_lshrrev_b32_e32 v1, 3, v0
	v_lshl_or_b32 v10, s2, 4, v1
	s_waitcnt lgkmcnt(0)
	v_cmp_gt_i32_e32 vcc, s14, v10
	s_and_b64 exec, exec, vcc
	s_cbranch_execz .LBB122_21
; %bb.4:
	s_load_dwordx8 s[4:11], s[0:1], 0x18
	v_ashrrev_i32_e32 v11, 31, v10
	s_cmp_lg_u32 s15, 0
	s_waitcnt lgkmcnt(0)
	v_lshl_add_u64 v[12:13], v[10:11], 2, s[4:5]
	global_load_dwordx2 v[12:13], v[12:13], off
	v_and_b32_e32 v11, 7, v0
	s_waitcnt vmcnt(0)
	v_subrev_u32_e32 v0, s12, v12
	v_subrev_u32_e32 v32, s12, v13
	v_add_u32_e32 v20, v0, v11
	v_cmp_lt_i32_e64 s[2:3], v20, v32
	s_cbranch_scc0 .LBB122_10
; %bb.5:
	v_mov_b64_e32 v[14:15], 0
	v_mov_b64_e32 v[26:27], 0
	;; [unrolled: 1-line block ×8, first 2 shown]
	s_and_saveexec_b64 s[4:5], s[2:3]
	s_cbranch_execz .LBB122_9
; %bb.6:
	v_mul_lo_u32 v28, v20, 12
	v_mov_b64_e32 v[14:15], 0
	s_mov_b64 s[14:15], 0
	v_mov_b32_e32 v29, 0
	v_mov_b32_e32 v30, v20
	v_mov_b64_e32 v[26:27], 0
	v_mov_b64_e32 v[18:19], 0
	;; [unrolled: 1-line block ×7, first 2 shown]
.LBB122_7:                              ; =>This Inner Loop Header: Depth=1
	v_ashrrev_i32_e32 v31, 31, v30
	v_lshl_add_u64 v[34:35], v[30:31], 2, s[6:7]
	global_load_dword v21, v[34:35], off
	v_add_u32_e32 v52, 4, v28
	v_mov_b32_e32 v53, v29
	v_lshl_add_u64 v[50:51], v[28:29], 4, s[8:9]
	v_mov_b32_e32 v83, v29
	v_add_u32_e32 v54, 8, v28
	v_mov_b32_e32 v55, v29
	v_lshl_add_u64 v[84:85], v[52:53], 4, s[8:9]
	global_load_dwordx4 v[34:37], v[50:51], off offset:48
	global_load_dwordx4 v[38:41], v[50:51], off offset:32
	global_load_dwordx4 v[42:45], v[50:51], off offset:16
	global_load_dwordx4 v[46:49], v[50:51], off
	v_lshl_add_u64 v[90:91], v[54:55], 4, s[8:9]
	global_load_dwordx4 v[50:53], v[84:85], off offset:48
	global_load_dwordx4 v[54:57], v[84:85], off offset:32
	global_load_dwordx4 v[58:61], v[84:85], off offset:16
	global_load_dwordx4 v[62:65], v[84:85], off
	global_load_dwordx4 v[66:69], v[90:91], off offset:48
	global_load_dwordx4 v[70:73], v[90:91], off offset:32
	;; [unrolled: 1-line block ×3, first 2 shown]
	global_load_dwordx4 v[78:81], v[90:91], off
	v_mov_b32_e32 v87, v29
	v_mov_b32_e32 v89, v29
	v_add_u32_e32 v30, 8, v30
	v_cmp_ge_i32_e32 vcc, v30, v32
	v_add_u32_e32 v28, 0x60, v28
	s_or_b64 s[14:15], vcc, s[14:15]
	s_waitcnt vmcnt(12)
	v_subrev_u32_e32 v21, s12, v21
	v_lshl_add_u32 v82, v21, 1, v21
	v_lshl_add_u64 v[84:85], v[82:83], 4, s[10:11]
	v_add_u32_e32 v86, 1, v82
	v_add_u32_e32 v88, 2, v82
	global_load_dwordx4 v[82:85], v[84:85], off
	v_lshl_add_u64 v[94:95], v[86:87], 4, s[10:11]
	v_lshl_add_u64 v[96:97], v[88:89], 4, s[10:11]
	global_load_dwordx4 v[86:89], v[94:95], off
	global_load_dwordx4 v[90:93], v[96:97], off
	s_waitcnt vmcnt(2)
	v_fmac_f64_e32 v[26:27], v[46:47], v[82:83]
	v_fmac_f64_e32 v[14:15], v[48:49], v[82:83]
	v_fmac_f64_e32 v[24:25], v[42:43], v[82:83]
	v_fmac_f64_e32 v[16:17], v[44:45], v[82:83]
	v_fmac_f64_e32 v[22:23], v[38:39], v[82:83]
	v_fmac_f64_e32 v[12:13], v[40:41], v[82:83]
	v_fmac_f64_e32 v[18:19], v[34:35], v[82:83]
	v_fmac_f64_e32 v[0:1], v[36:37], v[82:83]
	v_fma_f64 v[26:27], -v[48:49], v[84:85], v[26:27]
	v_fmac_f64_e32 v[14:15], v[46:47], v[84:85]
	v_fma_f64 v[24:25], -v[44:45], v[84:85], v[24:25]
	v_fmac_f64_e32 v[16:17], v[42:43], v[84:85]
	v_fma_f64 v[22:23], -v[40:41], v[84:85], v[22:23]
	v_fmac_f64_e32 v[12:13], v[38:39], v[84:85]
	v_fma_f64 v[18:19], -v[36:37], v[84:85], v[18:19]
	v_fmac_f64_e32 v[0:1], v[34:35], v[84:85]
	s_waitcnt vmcnt(1)
	v_fmac_f64_e32 v[26:27], v[62:63], v[86:87]
	v_fmac_f64_e32 v[14:15], v[64:65], v[86:87]
	v_fmac_f64_e32 v[24:25], v[58:59], v[86:87]
	v_fmac_f64_e32 v[16:17], v[60:61], v[86:87]
	v_fmac_f64_e32 v[22:23], v[54:55], v[86:87]
	v_fmac_f64_e32 v[12:13], v[56:57], v[86:87]
	v_fmac_f64_e32 v[18:19], v[50:51], v[86:87]
	v_fmac_f64_e32 v[0:1], v[52:53], v[86:87]
	v_fma_f64 v[26:27], -v[64:65], v[88:89], v[26:27]
	v_fmac_f64_e32 v[14:15], v[62:63], v[88:89]
	v_fma_f64 v[24:25], -v[60:61], v[88:89], v[24:25]
	v_fmac_f64_e32 v[16:17], v[58:59], v[88:89]
	v_fma_f64 v[22:23], -v[56:57], v[88:89], v[22:23]
	v_fmac_f64_e32 v[12:13], v[54:55], v[88:89]
	v_fma_f64 v[18:19], -v[52:53], v[88:89], v[18:19]
	v_fmac_f64_e32 v[0:1], v[50:51], v[88:89]
	;; [unrolled: 17-line block ×3, first 2 shown]
	s_andn2_b64 exec, exec, s[14:15]
	s_cbranch_execnz .LBB122_7
; %bb.8:
	s_or_b64 exec, exec, s[14:15]
.LBB122_9:
	s_or_b64 exec, exec, s[4:5]
	s_cbranch_execz .LBB122_11
	s_branch .LBB122_16
.LBB122_10:
                                        ; implicit-def: $vgpr14_vgpr15
                                        ; implicit-def: $vgpr26_vgpr27
                                        ; implicit-def: $vgpr18_vgpr19
                                        ; implicit-def: $vgpr0_vgpr1
                                        ; implicit-def: $vgpr22_vgpr23
                                        ; implicit-def: $vgpr12_vgpr13
                                        ; implicit-def: $vgpr24_vgpr25
                                        ; implicit-def: $vgpr16_vgpr17
.LBB122_11:
	v_mov_b64_e32 v[14:15], 0
	v_mov_b64_e32 v[26:27], 0
	;; [unrolled: 1-line block ×8, first 2 shown]
	s_and_saveexec_b64 s[4:5], s[2:3]
	s_cbranch_execz .LBB122_15
; %bb.12:
	v_mad_u64_u32 v[28:29], s[2:3], v20, 12, 11
	v_mov_b64_e32 v[14:15], 0
	s_mov_b64 s[2:3], 0
	v_mov_b32_e32 v31, 0
	v_mov_b64_e32 v[26:27], 0
	v_mov_b64_e32 v[18:19], 0
	;; [unrolled: 1-line block ×7, first 2 shown]
.LBB122_13:                             ; =>This Inner Loop Header: Depth=1
	v_ashrrev_i32_e32 v21, 31, v20
	v_add_u32_e32 v30, -11, v28
	v_add_u32_e32 v34, -5, v28
	;; [unrolled: 1-line block ×3, first 2 shown]
	v_mov_b32_e32 v35, v31
	v_mov_b32_e32 v37, v31
	;; [unrolled: 1-line block ×3, first 2 shown]
	v_lshl_add_u64 v[62:63], v[20:21], 2, s[6:7]
	v_lshl_add_u64 v[64:65], v[30:31], 4, s[8:9]
	v_lshl_add_u64 v[66:67], v[34:35], 4, s[8:9]
	v_lshl_add_u64 v[68:69], v[36:37], 4, s[8:9]
	v_lshl_add_u64 v[70:71], v[28:29], 4, s[8:9]
	global_load_dword v21, v[62:63], off
	global_load_dwordx4 v[34:37], v[64:65], off offset:48
	global_load_dwordx4 v[38:41], v[64:65], off offset:32
	;; [unrolled: 1-line block ×3, first 2 shown]
	global_load_dwordx4 v[46:49], v[64:65], off
	global_load_dwordx4 v[50:53], v[66:67], off
	;; [unrolled: 1-line block ×4, first 2 shown]
	v_mov_b32_e32 v79, v31
	v_add_u32_e32 v20, 8, v20
	v_cmp_ge_i32_e32 vcc, v20, v32
	s_or_b64 s[2:3], vcc, s[2:3]
	s_waitcnt vmcnt(7)
	v_subrev_u32_e32 v21, s12, v21
	v_lshl_add_u32 v78, v21, 1, v21
	v_lshl_add_u64 v[62:63], v[78:79], 4, s[10:11]
	global_load_dwordx4 v[62:65], v[62:63], off
	v_add_u32_e32 v30, 1, v78
	v_lshl_add_u64 v[66:67], v[30:31], 4, s[10:11]
	v_add_u32_e32 v30, -7, v28
	v_lshl_add_u64 v[70:71], v[30:31], 4, s[8:9]
	v_add_u32_e32 v30, -4, v28
	v_lshl_add_u64 v[74:75], v[30:31], 4, s[8:9]
	v_add_u32_e32 v30, -1, v28
	v_lshl_add_u64 v[80:81], v[30:31], 4, s[8:9]
	v_add_u32_e32 v30, 2, v78
	global_load_dwordx4 v[66:69], v[66:67], off
	v_lshl_add_u64 v[82:83], v[30:31], 4, s[10:11]
	v_add_u32_e32 v30, -6, v28
	global_load_dwordx4 v[70:73], v[70:71], off
	s_waitcnt vmcnt(2)
	v_fmac_f64_e32 v[14:15], v[48:49], v[62:63]
	global_load_dwordx4 v[74:77], v[74:75], off
	v_fmac_f64_e32 v[26:27], v[46:47], v[62:63]
	global_load_dwordx4 v[78:81], v[80:81], off
	v_fmac_f64_e32 v[14:15], v[46:47], v[64:65]
	v_lshl_add_u64 v[46:47], v[30:31], 4, s[8:9]
	v_add_u32_e32 v30, -3, v28
	v_fmac_f64_e32 v[16:17], v[36:37], v[62:63]
	v_fmac_f64_e32 v[24:25], v[34:35], v[62:63]
	;; [unrolled: 1-line block ×3, first 2 shown]
	v_lshl_add_u64 v[34:35], v[30:31], 4, s[8:9]
	global_load_dwordx4 v[82:85], v[82:83], off
	v_fma_f64 v[26:27], -v[48:49], v[64:65], v[26:27]
	global_load_dwordx4 v[46:49], v[46:47], off
	v_fma_f64 v[24:25], -v[36:37], v[64:65], v[24:25]
	global_load_dwordx4 v[34:37], v[34:35], off
	v_fmac_f64_e32 v[22:23], v[50:51], v[62:63]
	v_fmac_f64_e32 v[12:13], v[52:53], v[62:63]
	;; [unrolled: 1-line block ×4, first 2 shown]
	v_fma_f64 v[22:23], -v[52:53], v[64:65], v[22:23]
	v_fmac_f64_e32 v[12:13], v[50:51], v[64:65]
	v_fma_f64 v[18:19], -v[56:57], v[64:65], v[18:19]
	v_fmac_f64_e32 v[0:1], v[54:55], v[64:65]
	s_waitcnt vmcnt(6)
	v_fmac_f64_e32 v[26:27], v[42:43], v[66:67]
	v_fmac_f64_e32 v[14:15], v[44:45], v[66:67]
	s_waitcnt vmcnt(5)
	v_fmac_f64_e32 v[24:25], v[70:71], v[66:67]
	v_fmac_f64_e32 v[16:17], v[72:73], v[66:67]
	v_fma_f64 v[26:27], -v[44:45], v[68:69], v[26:27]
	v_fmac_f64_e32 v[14:15], v[42:43], v[68:69]
	v_fma_f64 v[24:25], -v[72:73], v[68:69], v[24:25]
	v_fmac_f64_e32 v[16:17], v[70:71], v[68:69]
	v_add_u32_e32 v28, 0x60, v28
	s_waitcnt vmcnt(4)
	v_fmac_f64_e32 v[22:23], v[74:75], v[66:67]
	v_fmac_f64_e32 v[12:13], v[76:77], v[66:67]
	s_waitcnt vmcnt(3)
	v_fmac_f64_e32 v[18:19], v[78:79], v[66:67]
	v_fmac_f64_e32 v[0:1], v[80:81], v[66:67]
	v_fma_f64 v[22:23], -v[76:77], v[68:69], v[22:23]
	v_fmac_f64_e32 v[12:13], v[74:75], v[68:69]
	v_fma_f64 v[18:19], -v[80:81], v[68:69], v[18:19]
	v_fmac_f64_e32 v[0:1], v[78:79], v[68:69]
	s_waitcnt vmcnt(2)
	v_fmac_f64_e32 v[26:27], v[38:39], v[82:83]
	v_fmac_f64_e32 v[14:15], v[40:41], v[82:83]
	s_waitcnt vmcnt(1)
	v_fmac_f64_e32 v[24:25], v[46:47], v[82:83]
	v_fmac_f64_e32 v[16:17], v[48:49], v[82:83]
	;; [unrolled: 1-line block ×4, first 2 shown]
	s_waitcnt vmcnt(0)
	v_fmac_f64_e32 v[22:23], v[34:35], v[82:83]
	v_fmac_f64_e32 v[12:13], v[36:37], v[82:83]
	v_fma_f64 v[26:27], -v[40:41], v[84:85], v[26:27]
	v_fmac_f64_e32 v[14:15], v[38:39], v[84:85]
	v_fma_f64 v[24:25], -v[48:49], v[84:85], v[24:25]
	v_fmac_f64_e32 v[16:17], v[46:47], v[84:85]
	v_fma_f64 v[18:19], -v[60:61], v[84:85], v[18:19]
	v_fmac_f64_e32 v[0:1], v[58:59], v[84:85]
	v_fma_f64 v[22:23], -v[36:37], v[84:85], v[22:23]
	v_fmac_f64_e32 v[12:13], v[34:35], v[84:85]
	s_andn2_b64 exec, exec, s[2:3]
	s_cbranch_execnz .LBB122_13
; %bb.14:
	s_or_b64 exec, exec, s[2:3]
.LBB122_15:
	s_or_b64 exec, exec, s[4:5]
.LBB122_16:
	v_mov_b32_dpp v30, v24 row_shr:1 row_mask:0xf bank_mask:0xf
	v_mov_b32_dpp v31, v25 row_shr:1 row_mask:0xf bank_mask:0xf
	v_add_f64 v[24:25], v[24:25], v[30:31]
	v_mov_b32_dpp v20, v26 row_shr:1 row_mask:0xf bank_mask:0xf
	v_mov_b32_dpp v21, v27 row_shr:1 row_mask:0xf bank_mask:0xf
	;; [unrolled: 1-line block ×4, first 2 shown]
	v_add_f64 v[30:31], v[24:25], v[30:31]
	v_mov_b32_dpp v24, v16 row_shr:1 row_mask:0xf bank_mask:0xf
	v_mov_b32_dpp v25, v17 row_shr:1 row_mask:0xf bank_mask:0xf
	v_add_f64 v[16:17], v[16:17], v[24:25]
	v_mov_b32_dpp v28, v14 row_shr:1 row_mask:0xf bank_mask:0xf
	v_mov_b32_dpp v29, v15 row_shr:1 row_mask:0xf bank_mask:0xf
	;; [unrolled: 1-line block ×4, first 2 shown]
	v_add_f64 v[16:17], v[16:17], v[24:25]
	v_mov_b32_dpp v24, v22 row_shr:1 row_mask:0xf bank_mask:0xf
	v_mov_b32_dpp v25, v23 row_shr:1 row_mask:0xf bank_mask:0xf
	v_add_f64 v[22:23], v[22:23], v[24:25]
	v_add_f64 v[20:21], v[26:27], v[20:21]
	;; [unrolled: 1-line block ×3, first 2 shown]
	v_mov_b32_dpp v24, v22 row_shr:2 row_mask:0xf bank_mask:0xf
	v_mov_b32_dpp v25, v23 row_shr:2 row_mask:0xf bank_mask:0xf
	v_add_f64 v[36:37], v[22:23], v[24:25]
	v_mov_b32_dpp v22, v12 row_shr:1 row_mask:0xf bank_mask:0xf
	v_mov_b32_dpp v23, v13 row_shr:1 row_mask:0xf bank_mask:0xf
	v_add_f64 v[12:13], v[12:13], v[22:23]
	v_mov_b32_dpp v26, v20 row_shr:2 row_mask:0xf bank_mask:0xf
	v_mov_b32_dpp v27, v21 row_shr:2 row_mask:0xf bank_mask:0xf
	;; [unrolled: 1-line block ×4, first 2 shown]
	v_add_f64 v[40:41], v[12:13], v[22:23]
	v_mov_b32_dpp v12, v18 row_shr:1 row_mask:0xf bank_mask:0xf
	v_mov_b32_dpp v13, v19 row_shr:1 row_mask:0xf bank_mask:0xf
	v_add_f64 v[12:13], v[18:19], v[12:13]
	v_mov_b32_dpp v28, v14 row_shr:2 row_mask:0xf bank_mask:0xf
	v_mov_b32_dpp v29, v15 row_shr:2 row_mask:0xf bank_mask:0xf
	;; [unrolled: 1-line block ×4, first 2 shown]
	v_add_f64 v[44:45], v[12:13], v[18:19]
	v_mov_b32_dpp v12, v0 row_shr:1 row_mask:0xf bank_mask:0xf
	v_mov_b32_dpp v13, v1 row_shr:1 row_mask:0xf bank_mask:0xf
	v_add_f64 v[0:1], v[0:1], v[12:13]
	v_add_f64 v[20:21], v[20:21], v[26:27]
	;; [unrolled: 1-line block ×3, first 2 shown]
	v_mov_b32_dpp v12, v0 row_shr:2 row_mask:0xf bank_mask:0xf
	v_mov_b32_dpp v13, v1 row_shr:2 row_mask:0xf bank_mask:0xf
	v_add_f64 v[48:49], v[0:1], v[12:13]
	v_mov_b32_dpp v26, v20 row_shr:4 row_mask:0xf bank_mask:0xe
	v_mov_b32_dpp v27, v21 row_shr:4 row_mask:0xf bank_mask:0xe
	;; [unrolled: 1-line block ×16, first 2 shown]
	v_cmp_eq_u32_e32 vcc, 7, v11
	s_and_b64 exec, exec, vcc
	s_cbranch_execz .LBB122_21
; %bb.17:
	s_load_dwordx2 s[2:3], s[0:1], 0x48
	v_cmp_eq_f64_e32 vcc, 0, v[6:7]
	v_cmp_eq_f64_e64 s[0:1], 0, v[8:9]
	v_add_f64 v[18:19], v[20:21], v[26:27]
	v_add_f64 v[24:25], v[14:15], v[28:29]
	;; [unrolled: 1-line block ×8, first 2 shown]
	s_and_b64 s[0:1], vcc, s[0:1]
	s_and_saveexec_b64 s[4:5], s[0:1]
	s_xor_b64 s[0:1], exec, s[4:5]
	s_cbranch_execz .LBB122_19
; %bb.18:
	v_lshlrev_b32_e32 v10, 2, v10
	v_mul_f64 v[6:7], v[24:25], -v[4:5]
	v_mul_f64 v[8:9], v[2:3], v[24:25]
	v_ashrrev_i32_e32 v11, 31, v10
	v_fmac_f64_e32 v[6:7], v[2:3], v[18:19]
	v_fmac_f64_e32 v[8:9], v[4:5], v[18:19]
	s_waitcnt lgkmcnt(0)
	v_lshl_add_u64 v[10:11], v[10:11], 4, s[2:3]
	global_store_dwordx4 v[10:11], v[6:9], off
                                        ; implicit-def: $vgpr18_vgpr19
                                        ; implicit-def: $vgpr24_vgpr25
	s_nop 1
	v_mul_f64 v[6:7], v[22:23], -v[4:5]
	v_mul_f64 v[8:9], v[2:3], v[22:23]
	v_fmac_f64_e32 v[6:7], v[2:3], v[14:15]
	v_fmac_f64_e32 v[8:9], v[4:5], v[14:15]
	global_store_dwordx4 v[10:11], v[6:9], off offset:16
                                        ; implicit-def: $vgpr14_vgpr15
                                        ; implicit-def: $vgpr22_vgpr23
	s_nop 1
	v_mul_f64 v[6:7], v[20:21], -v[4:5]
	v_mul_f64 v[8:9], v[2:3], v[20:21]
	v_fmac_f64_e32 v[6:7], v[2:3], v[12:13]
	v_fmac_f64_e32 v[8:9], v[4:5], v[12:13]
	global_store_dwordx4 v[10:11], v[6:9], off offset:32
                                        ; implicit-def: $vgpr12_vgpr13
                                        ; implicit-def: $vgpr20_vgpr21
	s_nop 1
	v_mul_f64 v[6:7], v[16:17], -v[4:5]
	v_mul_f64 v[8:9], v[2:3], v[16:17]
	v_fmac_f64_e32 v[6:7], v[2:3], v[0:1]
	v_fmac_f64_e32 v[8:9], v[4:5], v[0:1]
	global_store_dwordx4 v[10:11], v[6:9], off offset:48
                                        ; implicit-def: $vgpr10
                                        ; implicit-def: $vgpr0_vgpr1
                                        ; implicit-def: $vgpr16_vgpr17
                                        ; implicit-def: $vgpr8_vgpr9
                                        ; implicit-def: $vgpr4_vgpr5
.LBB122_19:
	s_andn2_saveexec_b64 s[0:1], s[0:1]
	s_cbranch_execz .LBB122_21
; %bb.20:
	v_lshlrev_b32_e32 v10, 2, v10
	v_ashrrev_i32_e32 v11, 31, v10
	s_waitcnt lgkmcnt(0)
	v_lshl_add_u64 v[46:47], v[10:11], 4, s[2:3]
	global_load_dwordx4 v[26:29], v[46:47], off
	global_load_dwordx4 v[30:33], v[46:47], off offset:16
	global_load_dwordx4 v[34:37], v[46:47], off offset:32
	;; [unrolled: 1-line block ×3, first 2 shown]
	v_mul_f64 v[42:43], v[24:25], -v[4:5]
	v_mul_f64 v[24:25], v[2:3], v[24:25]
	v_mul_f64 v[48:49], v[22:23], -v[4:5]
	v_mul_f64 v[44:45], v[2:3], v[22:23]
	;; [unrolled: 2-line block ×4, first 2 shown]
	v_fmac_f64_e32 v[42:43], v[2:3], v[18:19]
	v_fmac_f64_e32 v[24:25], v[4:5], v[18:19]
	;; [unrolled: 1-line block ×8, first 2 shown]
	s_waitcnt vmcnt(3)
	v_fmac_f64_e32 v[42:43], v[6:7], v[26:27]
	v_fmac_f64_e32 v[24:25], v[8:9], v[26:27]
	s_waitcnt vmcnt(2)
	v_fmac_f64_e32 v[48:49], v[6:7], v[30:31]
	v_fmac_f64_e32 v[44:45], v[8:9], v[30:31]
	;; [unrolled: 3-line block ×4, first 2 shown]
	v_fma_f64 v[22:23], -v[8:9], v[28:29], v[42:43]
	v_fmac_f64_e32 v[24:25], v[6:7], v[28:29]
	v_fma_f64 v[42:43], -v[8:9], v[32:33], v[48:49]
	v_fmac_f64_e32 v[44:45], v[6:7], v[32:33]
	;; [unrolled: 2-line block ×4, first 2 shown]
	global_store_dwordx4 v[46:47], v[22:25], off
	global_store_dwordx4 v[46:47], v[42:45], off offset:16
	global_store_dwordx4 v[46:47], v[18:21], off offset:32
	;; [unrolled: 1-line block ×3, first 2 shown]
.LBB122_21:
	s_endpgm
	.section	.rodata,"a",@progbits
	.p2align	6, 0x0
	.amdhsa_kernel _ZN9rocsparseL19gebsrmvn_4xn_kernelILj128ELj3ELj8E21rocsparse_complex_numIdEEEvi20rocsparse_direction_NS_24const_host_device_scalarIT2_EEPKiS8_PKS5_SA_S6_PS5_21rocsparse_index_base_b
		.amdhsa_group_segment_fixed_size 0
		.amdhsa_private_segment_fixed_size 0
		.amdhsa_kernarg_size 88
		.amdhsa_user_sgpr_count 2
		.amdhsa_user_sgpr_dispatch_ptr 0
		.amdhsa_user_sgpr_queue_ptr 0
		.amdhsa_user_sgpr_kernarg_segment_ptr 1
		.amdhsa_user_sgpr_dispatch_id 0
		.amdhsa_user_sgpr_kernarg_preload_length 0
		.amdhsa_user_sgpr_kernarg_preload_offset 0
		.amdhsa_user_sgpr_private_segment_size 0
		.amdhsa_uses_dynamic_stack 0
		.amdhsa_enable_private_segment 0
		.amdhsa_system_sgpr_workgroup_id_x 1
		.amdhsa_system_sgpr_workgroup_id_y 0
		.amdhsa_system_sgpr_workgroup_id_z 0
		.amdhsa_system_sgpr_workgroup_info 0
		.amdhsa_system_vgpr_workitem_id 0
		.amdhsa_next_free_vgpr 98
		.amdhsa_next_free_sgpr 16
		.amdhsa_accum_offset 100
		.amdhsa_reserve_vcc 1
		.amdhsa_float_round_mode_32 0
		.amdhsa_float_round_mode_16_64 0
		.amdhsa_float_denorm_mode_32 3
		.amdhsa_float_denorm_mode_16_64 3
		.amdhsa_dx10_clamp 1
		.amdhsa_ieee_mode 1
		.amdhsa_fp16_overflow 0
		.amdhsa_tg_split 0
		.amdhsa_exception_fp_ieee_invalid_op 0
		.amdhsa_exception_fp_denorm_src 0
		.amdhsa_exception_fp_ieee_div_zero 0
		.amdhsa_exception_fp_ieee_overflow 0
		.amdhsa_exception_fp_ieee_underflow 0
		.amdhsa_exception_fp_ieee_inexact 0
		.amdhsa_exception_int_div_zero 0
	.end_amdhsa_kernel
	.section	.text._ZN9rocsparseL19gebsrmvn_4xn_kernelILj128ELj3ELj8E21rocsparse_complex_numIdEEEvi20rocsparse_direction_NS_24const_host_device_scalarIT2_EEPKiS8_PKS5_SA_S6_PS5_21rocsparse_index_base_b,"axG",@progbits,_ZN9rocsparseL19gebsrmvn_4xn_kernelILj128ELj3ELj8E21rocsparse_complex_numIdEEEvi20rocsparse_direction_NS_24const_host_device_scalarIT2_EEPKiS8_PKS5_SA_S6_PS5_21rocsparse_index_base_b,comdat
.Lfunc_end122:
	.size	_ZN9rocsparseL19gebsrmvn_4xn_kernelILj128ELj3ELj8E21rocsparse_complex_numIdEEEvi20rocsparse_direction_NS_24const_host_device_scalarIT2_EEPKiS8_PKS5_SA_S6_PS5_21rocsparse_index_base_b, .Lfunc_end122-_ZN9rocsparseL19gebsrmvn_4xn_kernelILj128ELj3ELj8E21rocsparse_complex_numIdEEEvi20rocsparse_direction_NS_24const_host_device_scalarIT2_EEPKiS8_PKS5_SA_S6_PS5_21rocsparse_index_base_b
                                        ; -- End function
	.set _ZN9rocsparseL19gebsrmvn_4xn_kernelILj128ELj3ELj8E21rocsparse_complex_numIdEEEvi20rocsparse_direction_NS_24const_host_device_scalarIT2_EEPKiS8_PKS5_SA_S6_PS5_21rocsparse_index_base_b.num_vgpr, 98
	.set _ZN9rocsparseL19gebsrmvn_4xn_kernelILj128ELj3ELj8E21rocsparse_complex_numIdEEEvi20rocsparse_direction_NS_24const_host_device_scalarIT2_EEPKiS8_PKS5_SA_S6_PS5_21rocsparse_index_base_b.num_agpr, 0
	.set _ZN9rocsparseL19gebsrmvn_4xn_kernelILj128ELj3ELj8E21rocsparse_complex_numIdEEEvi20rocsparse_direction_NS_24const_host_device_scalarIT2_EEPKiS8_PKS5_SA_S6_PS5_21rocsparse_index_base_b.numbered_sgpr, 16
	.set _ZN9rocsparseL19gebsrmvn_4xn_kernelILj128ELj3ELj8E21rocsparse_complex_numIdEEEvi20rocsparse_direction_NS_24const_host_device_scalarIT2_EEPKiS8_PKS5_SA_S6_PS5_21rocsparse_index_base_b.num_named_barrier, 0
	.set _ZN9rocsparseL19gebsrmvn_4xn_kernelILj128ELj3ELj8E21rocsparse_complex_numIdEEEvi20rocsparse_direction_NS_24const_host_device_scalarIT2_EEPKiS8_PKS5_SA_S6_PS5_21rocsparse_index_base_b.private_seg_size, 0
	.set _ZN9rocsparseL19gebsrmvn_4xn_kernelILj128ELj3ELj8E21rocsparse_complex_numIdEEEvi20rocsparse_direction_NS_24const_host_device_scalarIT2_EEPKiS8_PKS5_SA_S6_PS5_21rocsparse_index_base_b.uses_vcc, 1
	.set _ZN9rocsparseL19gebsrmvn_4xn_kernelILj128ELj3ELj8E21rocsparse_complex_numIdEEEvi20rocsparse_direction_NS_24const_host_device_scalarIT2_EEPKiS8_PKS5_SA_S6_PS5_21rocsparse_index_base_b.uses_flat_scratch, 0
	.set _ZN9rocsparseL19gebsrmvn_4xn_kernelILj128ELj3ELj8E21rocsparse_complex_numIdEEEvi20rocsparse_direction_NS_24const_host_device_scalarIT2_EEPKiS8_PKS5_SA_S6_PS5_21rocsparse_index_base_b.has_dyn_sized_stack, 0
	.set _ZN9rocsparseL19gebsrmvn_4xn_kernelILj128ELj3ELj8E21rocsparse_complex_numIdEEEvi20rocsparse_direction_NS_24const_host_device_scalarIT2_EEPKiS8_PKS5_SA_S6_PS5_21rocsparse_index_base_b.has_recursion, 0
	.set _ZN9rocsparseL19gebsrmvn_4xn_kernelILj128ELj3ELj8E21rocsparse_complex_numIdEEEvi20rocsparse_direction_NS_24const_host_device_scalarIT2_EEPKiS8_PKS5_SA_S6_PS5_21rocsparse_index_base_b.has_indirect_call, 0
	.section	.AMDGPU.csdata,"",@progbits
; Kernel info:
; codeLenInByte = 2664
; TotalNumSgprs: 22
; NumVgprs: 98
; NumAgprs: 0
; TotalNumVgprs: 98
; ScratchSize: 0
; MemoryBound: 0
; FloatMode: 240
; IeeeMode: 1
; LDSByteSize: 0 bytes/workgroup (compile time only)
; SGPRBlocks: 2
; VGPRBlocks: 12
; NumSGPRsForWavesPerEU: 22
; NumVGPRsForWavesPerEU: 98
; AccumOffset: 100
; Occupancy: 4
; WaveLimiterHint : 1
; COMPUTE_PGM_RSRC2:SCRATCH_EN: 0
; COMPUTE_PGM_RSRC2:USER_SGPR: 2
; COMPUTE_PGM_RSRC2:TRAP_HANDLER: 0
; COMPUTE_PGM_RSRC2:TGID_X_EN: 1
; COMPUTE_PGM_RSRC2:TGID_Y_EN: 0
; COMPUTE_PGM_RSRC2:TGID_Z_EN: 0
; COMPUTE_PGM_RSRC2:TIDIG_COMP_CNT: 0
; COMPUTE_PGM_RSRC3_GFX90A:ACCUM_OFFSET: 24
; COMPUTE_PGM_RSRC3_GFX90A:TG_SPLIT: 0
	.section	.text._ZN9rocsparseL19gebsrmvn_4xn_kernelILj128ELj3ELj16E21rocsparse_complex_numIdEEEvi20rocsparse_direction_NS_24const_host_device_scalarIT2_EEPKiS8_PKS5_SA_S6_PS5_21rocsparse_index_base_b,"axG",@progbits,_ZN9rocsparseL19gebsrmvn_4xn_kernelILj128ELj3ELj16E21rocsparse_complex_numIdEEEvi20rocsparse_direction_NS_24const_host_device_scalarIT2_EEPKiS8_PKS5_SA_S6_PS5_21rocsparse_index_base_b,comdat
	.globl	_ZN9rocsparseL19gebsrmvn_4xn_kernelILj128ELj3ELj16E21rocsparse_complex_numIdEEEvi20rocsparse_direction_NS_24const_host_device_scalarIT2_EEPKiS8_PKS5_SA_S6_PS5_21rocsparse_index_base_b ; -- Begin function _ZN9rocsparseL19gebsrmvn_4xn_kernelILj128ELj3ELj16E21rocsparse_complex_numIdEEEvi20rocsparse_direction_NS_24const_host_device_scalarIT2_EEPKiS8_PKS5_SA_S6_PS5_21rocsparse_index_base_b
	.p2align	8
	.type	_ZN9rocsparseL19gebsrmvn_4xn_kernelILj128ELj3ELj16E21rocsparse_complex_numIdEEEvi20rocsparse_direction_NS_24const_host_device_scalarIT2_EEPKiS8_PKS5_SA_S6_PS5_21rocsparse_index_base_b,@function
_ZN9rocsparseL19gebsrmvn_4xn_kernelILj128ELj3ELj16E21rocsparse_complex_numIdEEEvi20rocsparse_direction_NS_24const_host_device_scalarIT2_EEPKiS8_PKS5_SA_S6_PS5_21rocsparse_index_base_b: ; @_ZN9rocsparseL19gebsrmvn_4xn_kernelILj128ELj3ELj16E21rocsparse_complex_numIdEEEvi20rocsparse_direction_NS_24const_host_device_scalarIT2_EEPKiS8_PKS5_SA_S6_PS5_21rocsparse_index_base_b
; %bb.0:
	s_load_dwordx2 s[4:5], s[0:1], 0x8
	s_load_dwordx2 s[6:7], s[0:1], 0x38
	;; [unrolled: 1-line block ×3, first 2 shown]
	s_add_u32 s3, s0, 8
	s_addc_u32 s8, s1, 0
	s_add_u32 s9, s0, 56
	s_addc_u32 s10, s1, 0
	s_waitcnt lgkmcnt(0)
	s_bitcmp1_b32 s13, 0
	s_cselect_b32 s5, s8, s5
	s_cselect_b32 s3, s3, s4
	v_mov_b32_e32 v2, s3
	v_mov_b32_e32 v3, s5
	flat_load_dwordx4 v[2:5], v[2:3]
	s_cselect_b32 s3, s10, s7
	s_cselect_b32 s4, s9, s6
	v_mov_b32_e32 v6, s4
	v_mov_b32_e32 v7, s3
	flat_load_dwordx4 v[6:9], v[6:7]
	s_waitcnt vmcnt(0) lgkmcnt(0)
	v_cmp_eq_f64_e32 vcc, 0, v[2:3]
	v_cmp_eq_f64_e64 s[4:5], 0, v[4:5]
	s_and_b64 s[8:9], vcc, s[4:5]
	s_mov_b64 s[4:5], -1
	s_and_saveexec_b64 s[6:7], s[8:9]
; %bb.1:
	v_cmp_neq_f64_e32 vcc, 1.0, v[6:7]
	v_cmp_neq_f64_e64 s[4:5], 0, v[8:9]
	s_or_b64 s[4:5], vcc, s[4:5]
	s_orn2_b64 s[4:5], s[4:5], exec
; %bb.2:
	s_or_b64 exec, exec, s[6:7]
	s_and_saveexec_b64 s[6:7], s[4:5]
	s_cbranch_execz .LBB123_21
; %bb.3:
	s_load_dwordx2 s[14:15], s[0:1], 0x0
	v_lshrrev_b32_e32 v1, 4, v0
	v_lshl_or_b32 v10, s2, 3, v1
	s_waitcnt lgkmcnt(0)
	v_cmp_gt_i32_e32 vcc, s14, v10
	s_and_b64 exec, exec, vcc
	s_cbranch_execz .LBB123_21
; %bb.4:
	s_load_dwordx8 s[4:11], s[0:1], 0x18
	v_ashrrev_i32_e32 v11, 31, v10
	s_cmp_lg_u32 s15, 0
	s_waitcnt lgkmcnt(0)
	v_lshl_add_u64 v[12:13], v[10:11], 2, s[4:5]
	global_load_dwordx2 v[12:13], v[12:13], off
	v_and_b32_e32 v11, 15, v0
	s_waitcnt vmcnt(0)
	v_subrev_u32_e32 v0, s12, v12
	v_subrev_u32_e32 v32, s12, v13
	v_add_u32_e32 v20, v0, v11
	v_cmp_lt_i32_e64 s[2:3], v20, v32
	s_cbranch_scc0 .LBB123_10
; %bb.5:
	v_mov_b64_e32 v[14:15], 0
	v_mov_b64_e32 v[26:27], 0
	;; [unrolled: 1-line block ×8, first 2 shown]
	s_and_saveexec_b64 s[4:5], s[2:3]
	s_cbranch_execz .LBB123_9
; %bb.6:
	v_mul_lo_u32 v28, v20, 12
	v_mov_b64_e32 v[14:15], 0
	s_mov_b64 s[14:15], 0
	v_mov_b32_e32 v29, 0
	v_mov_b32_e32 v30, v20
	v_mov_b64_e32 v[26:27], 0
	v_mov_b64_e32 v[16:17], 0
	;; [unrolled: 1-line block ×7, first 2 shown]
.LBB123_7:                              ; =>This Inner Loop Header: Depth=1
	v_ashrrev_i32_e32 v31, 31, v30
	v_lshl_add_u64 v[34:35], v[30:31], 2, s[6:7]
	global_load_dword v21, v[34:35], off
	v_add_u32_e32 v52, 4, v28
	v_mov_b32_e32 v53, v29
	v_lshl_add_u64 v[50:51], v[28:29], 4, s[8:9]
	v_mov_b32_e32 v83, v29
	v_add_u32_e32 v54, 8, v28
	v_mov_b32_e32 v55, v29
	v_lshl_add_u64 v[84:85], v[52:53], 4, s[8:9]
	global_load_dwordx4 v[34:37], v[50:51], off offset:48
	global_load_dwordx4 v[38:41], v[50:51], off offset:32
	;; [unrolled: 1-line block ×3, first 2 shown]
	global_load_dwordx4 v[46:49], v[50:51], off
	v_lshl_add_u64 v[90:91], v[54:55], 4, s[8:9]
	global_load_dwordx4 v[50:53], v[84:85], off offset:48
	global_load_dwordx4 v[54:57], v[84:85], off offset:32
	;; [unrolled: 1-line block ×3, first 2 shown]
	global_load_dwordx4 v[62:65], v[84:85], off
	global_load_dwordx4 v[66:69], v[90:91], off offset:48
	global_load_dwordx4 v[70:73], v[90:91], off offset:32
	;; [unrolled: 1-line block ×3, first 2 shown]
	global_load_dwordx4 v[78:81], v[90:91], off
	v_mov_b32_e32 v87, v29
	v_mov_b32_e32 v89, v29
	v_add_u32_e32 v30, 16, v30
	v_cmp_ge_i32_e32 vcc, v30, v32
	v_add_u32_e32 v28, 0xc0, v28
	s_or_b64 s[14:15], vcc, s[14:15]
	s_waitcnt vmcnt(12)
	v_subrev_u32_e32 v21, s12, v21
	v_lshl_add_u32 v82, v21, 1, v21
	v_lshl_add_u64 v[84:85], v[82:83], 4, s[10:11]
	v_add_u32_e32 v86, 1, v82
	v_add_u32_e32 v88, 2, v82
	global_load_dwordx4 v[82:85], v[84:85], off
	v_lshl_add_u64 v[94:95], v[86:87], 4, s[10:11]
	v_lshl_add_u64 v[96:97], v[88:89], 4, s[10:11]
	global_load_dwordx4 v[86:89], v[94:95], off
	global_load_dwordx4 v[90:93], v[96:97], off
	s_waitcnt vmcnt(2)
	v_fmac_f64_e32 v[26:27], v[46:47], v[82:83]
	v_fmac_f64_e32 v[14:15], v[48:49], v[82:83]
	v_fmac_f64_e32 v[24:25], v[42:43], v[82:83]
	v_fmac_f64_e32 v[18:19], v[44:45], v[82:83]
	v_fmac_f64_e32 v[22:23], v[38:39], v[82:83]
	v_fmac_f64_e32 v[12:13], v[40:41], v[82:83]
	v_fmac_f64_e32 v[16:17], v[34:35], v[82:83]
	v_fmac_f64_e32 v[0:1], v[36:37], v[82:83]
	v_fma_f64 v[26:27], -v[48:49], v[84:85], v[26:27]
	v_fmac_f64_e32 v[14:15], v[46:47], v[84:85]
	v_fma_f64 v[24:25], -v[44:45], v[84:85], v[24:25]
	v_fmac_f64_e32 v[18:19], v[42:43], v[84:85]
	v_fma_f64 v[22:23], -v[40:41], v[84:85], v[22:23]
	v_fmac_f64_e32 v[12:13], v[38:39], v[84:85]
	v_fma_f64 v[16:17], -v[36:37], v[84:85], v[16:17]
	v_fmac_f64_e32 v[0:1], v[34:35], v[84:85]
	s_waitcnt vmcnt(1)
	v_fmac_f64_e32 v[26:27], v[62:63], v[86:87]
	v_fmac_f64_e32 v[14:15], v[64:65], v[86:87]
	v_fmac_f64_e32 v[24:25], v[58:59], v[86:87]
	v_fmac_f64_e32 v[18:19], v[60:61], v[86:87]
	v_fmac_f64_e32 v[22:23], v[54:55], v[86:87]
	v_fmac_f64_e32 v[12:13], v[56:57], v[86:87]
	v_fmac_f64_e32 v[16:17], v[50:51], v[86:87]
	v_fmac_f64_e32 v[0:1], v[52:53], v[86:87]
	v_fma_f64 v[26:27], -v[64:65], v[88:89], v[26:27]
	v_fmac_f64_e32 v[14:15], v[62:63], v[88:89]
	v_fma_f64 v[24:25], -v[60:61], v[88:89], v[24:25]
	v_fmac_f64_e32 v[18:19], v[58:59], v[88:89]
	v_fma_f64 v[22:23], -v[56:57], v[88:89], v[22:23]
	v_fmac_f64_e32 v[12:13], v[54:55], v[88:89]
	v_fma_f64 v[16:17], -v[52:53], v[88:89], v[16:17]
	v_fmac_f64_e32 v[0:1], v[50:51], v[88:89]
	;; [unrolled: 17-line block ×3, first 2 shown]
	s_andn2_b64 exec, exec, s[14:15]
	s_cbranch_execnz .LBB123_7
; %bb.8:
	s_or_b64 exec, exec, s[14:15]
.LBB123_9:
	s_or_b64 exec, exec, s[4:5]
	s_cbranch_execz .LBB123_11
	s_branch .LBB123_16
.LBB123_10:
                                        ; implicit-def: $vgpr14_vgpr15
                                        ; implicit-def: $vgpr26_vgpr27
                                        ; implicit-def: $vgpr16_vgpr17
                                        ; implicit-def: $vgpr0_vgpr1
                                        ; implicit-def: $vgpr22_vgpr23
                                        ; implicit-def: $vgpr12_vgpr13
                                        ; implicit-def: $vgpr24_vgpr25
                                        ; implicit-def: $vgpr18_vgpr19
.LBB123_11:
	v_mov_b64_e32 v[14:15], 0
	v_mov_b64_e32 v[26:27], 0
	;; [unrolled: 1-line block ×8, first 2 shown]
	s_and_saveexec_b64 s[4:5], s[2:3]
	s_cbranch_execz .LBB123_15
; %bb.12:
	v_mad_u64_u32 v[28:29], s[2:3], v20, 12, 11
	v_mov_b64_e32 v[14:15], 0
	s_mov_b64 s[2:3], 0
	v_mov_b32_e32 v31, 0
	v_mov_b64_e32 v[26:27], 0
	v_mov_b64_e32 v[16:17], 0
	;; [unrolled: 1-line block ×7, first 2 shown]
.LBB123_13:                             ; =>This Inner Loop Header: Depth=1
	v_ashrrev_i32_e32 v21, 31, v20
	v_add_u32_e32 v30, -11, v28
	v_add_u32_e32 v34, -5, v28
	v_add_u32_e32 v36, -2, v28
	v_mov_b32_e32 v35, v31
	v_mov_b32_e32 v37, v31
	v_mov_b32_e32 v29, v31
	v_lshl_add_u64 v[62:63], v[20:21], 2, s[6:7]
	v_lshl_add_u64 v[64:65], v[30:31], 4, s[8:9]
	;; [unrolled: 1-line block ×5, first 2 shown]
	global_load_dword v21, v[62:63], off
	global_load_dwordx4 v[34:37], v[64:65], off offset:48
	global_load_dwordx4 v[38:41], v[64:65], off offset:32
	global_load_dwordx4 v[42:45], v[64:65], off offset:16
	global_load_dwordx4 v[46:49], v[64:65], off
	global_load_dwordx4 v[50:53], v[66:67], off
	;; [unrolled: 1-line block ×4, first 2 shown]
	v_mov_b32_e32 v79, v31
	v_add_u32_e32 v20, 16, v20
	v_cmp_ge_i32_e32 vcc, v20, v32
	s_or_b64 s[2:3], vcc, s[2:3]
	s_waitcnt vmcnt(7)
	v_subrev_u32_e32 v21, s12, v21
	v_lshl_add_u32 v78, v21, 1, v21
	v_lshl_add_u64 v[62:63], v[78:79], 4, s[10:11]
	global_load_dwordx4 v[62:65], v[62:63], off
	v_add_u32_e32 v30, 1, v78
	v_lshl_add_u64 v[66:67], v[30:31], 4, s[10:11]
	v_add_u32_e32 v30, -7, v28
	v_lshl_add_u64 v[70:71], v[30:31], 4, s[8:9]
	v_add_u32_e32 v30, -4, v28
	;; [unrolled: 2-line block ×3, first 2 shown]
	v_lshl_add_u64 v[80:81], v[30:31], 4, s[8:9]
	v_add_u32_e32 v30, 2, v78
	global_load_dwordx4 v[66:69], v[66:67], off
	v_lshl_add_u64 v[82:83], v[30:31], 4, s[10:11]
	v_add_u32_e32 v30, -6, v28
	global_load_dwordx4 v[70:73], v[70:71], off
	s_waitcnt vmcnt(2)
	v_fmac_f64_e32 v[14:15], v[48:49], v[62:63]
	global_load_dwordx4 v[74:77], v[74:75], off
	v_fmac_f64_e32 v[26:27], v[46:47], v[62:63]
	global_load_dwordx4 v[78:81], v[80:81], off
	v_fmac_f64_e32 v[14:15], v[46:47], v[64:65]
	v_lshl_add_u64 v[46:47], v[30:31], 4, s[8:9]
	v_add_u32_e32 v30, -3, v28
	v_fmac_f64_e32 v[18:19], v[36:37], v[62:63]
	v_fmac_f64_e32 v[24:25], v[34:35], v[62:63]
	;; [unrolled: 1-line block ×3, first 2 shown]
	v_lshl_add_u64 v[34:35], v[30:31], 4, s[8:9]
	global_load_dwordx4 v[82:85], v[82:83], off
	v_fma_f64 v[26:27], -v[48:49], v[64:65], v[26:27]
	global_load_dwordx4 v[46:49], v[46:47], off
	v_fma_f64 v[24:25], -v[36:37], v[64:65], v[24:25]
	global_load_dwordx4 v[34:37], v[34:35], off
	v_fmac_f64_e32 v[22:23], v[50:51], v[62:63]
	v_fmac_f64_e32 v[12:13], v[52:53], v[62:63]
	v_fmac_f64_e32 v[16:17], v[54:55], v[62:63]
	v_fmac_f64_e32 v[0:1], v[56:57], v[62:63]
	v_fma_f64 v[22:23], -v[52:53], v[64:65], v[22:23]
	v_fmac_f64_e32 v[12:13], v[50:51], v[64:65]
	v_fma_f64 v[16:17], -v[56:57], v[64:65], v[16:17]
	v_fmac_f64_e32 v[0:1], v[54:55], v[64:65]
	s_waitcnt vmcnt(6)
	v_fmac_f64_e32 v[26:27], v[42:43], v[66:67]
	v_fmac_f64_e32 v[14:15], v[44:45], v[66:67]
	s_waitcnt vmcnt(5)
	v_fmac_f64_e32 v[24:25], v[70:71], v[66:67]
	v_fmac_f64_e32 v[18:19], v[72:73], v[66:67]
	v_fma_f64 v[26:27], -v[44:45], v[68:69], v[26:27]
	v_fmac_f64_e32 v[14:15], v[42:43], v[68:69]
	v_fma_f64 v[24:25], -v[72:73], v[68:69], v[24:25]
	v_fmac_f64_e32 v[18:19], v[70:71], v[68:69]
	v_add_u32_e32 v28, 0xc0, v28
	s_waitcnt vmcnt(4)
	v_fmac_f64_e32 v[22:23], v[74:75], v[66:67]
	v_fmac_f64_e32 v[12:13], v[76:77], v[66:67]
	s_waitcnt vmcnt(3)
	v_fmac_f64_e32 v[16:17], v[78:79], v[66:67]
	v_fmac_f64_e32 v[0:1], v[80:81], v[66:67]
	v_fma_f64 v[22:23], -v[76:77], v[68:69], v[22:23]
	v_fmac_f64_e32 v[12:13], v[74:75], v[68:69]
	v_fma_f64 v[16:17], -v[80:81], v[68:69], v[16:17]
	v_fmac_f64_e32 v[0:1], v[78:79], v[68:69]
	s_waitcnt vmcnt(2)
	v_fmac_f64_e32 v[26:27], v[38:39], v[82:83]
	v_fmac_f64_e32 v[14:15], v[40:41], v[82:83]
	s_waitcnt vmcnt(1)
	v_fmac_f64_e32 v[24:25], v[46:47], v[82:83]
	v_fmac_f64_e32 v[18:19], v[48:49], v[82:83]
	v_fmac_f64_e32 v[16:17], v[58:59], v[82:83]
	v_fmac_f64_e32 v[0:1], v[60:61], v[82:83]
	s_waitcnt vmcnt(0)
	v_fmac_f64_e32 v[22:23], v[34:35], v[82:83]
	v_fmac_f64_e32 v[12:13], v[36:37], v[82:83]
	v_fma_f64 v[26:27], -v[40:41], v[84:85], v[26:27]
	v_fmac_f64_e32 v[14:15], v[38:39], v[84:85]
	v_fma_f64 v[24:25], -v[48:49], v[84:85], v[24:25]
	;; [unrolled: 2-line block ×4, first 2 shown]
	v_fmac_f64_e32 v[12:13], v[34:35], v[84:85]
	s_andn2_b64 exec, exec, s[2:3]
	s_cbranch_execnz .LBB123_13
; %bb.14:
	s_or_b64 exec, exec, s[2:3]
.LBB123_15:
	s_or_b64 exec, exec, s[4:5]
.LBB123_16:
	v_mov_b32_dpp v30, v24 row_shr:1 row_mask:0xf bank_mask:0xf
	v_mov_b32_dpp v31, v25 row_shr:1 row_mask:0xf bank_mask:0xf
	v_add_f64 v[24:25], v[24:25], v[30:31]
	v_mov_b32_dpp v20, v26 row_shr:1 row_mask:0xf bank_mask:0xf
	v_mov_b32_dpp v21, v27 row_shr:1 row_mask:0xf bank_mask:0xf
	v_mov_b32_dpp v30, v24 row_shr:2 row_mask:0xf bank_mask:0xf
	v_mov_b32_dpp v31, v25 row_shr:2 row_mask:0xf bank_mask:0xf
	v_add_f64 v[24:25], v[24:25], v[30:31]
	v_mov_b32_dpp v28, v14 row_shr:1 row_mask:0xf bank_mask:0xf
	v_mov_b32_dpp v29, v15 row_shr:1 row_mask:0xf bank_mask:0xf
	v_mov_b32_dpp v30, v24 row_shr:4 row_mask:0xf bank_mask:0xe
	v_mov_b32_dpp v31, v25 row_shr:4 row_mask:0xf bank_mask:0xe
	v_add_f64 v[30:31], v[24:25], v[30:31]
	v_mov_b32_dpp v24, v18 row_shr:1 row_mask:0xf bank_mask:0xf
	v_mov_b32_dpp v25, v19 row_shr:1 row_mask:0xf bank_mask:0xf
	v_add_f64 v[18:19], v[18:19], v[24:25]
	v_add_f64 v[20:21], v[26:27], v[20:21]
	;; [unrolled: 1-line block ×3, first 2 shown]
	v_mov_b32_dpp v24, v18 row_shr:2 row_mask:0xf bank_mask:0xf
	v_mov_b32_dpp v25, v19 row_shr:2 row_mask:0xf bank_mask:0xf
	v_add_f64 v[18:19], v[18:19], v[24:25]
	v_mov_b32_dpp v26, v20 row_shr:2 row_mask:0xf bank_mask:0xf
	v_mov_b32_dpp v27, v21 row_shr:2 row_mask:0xf bank_mask:0xf
	;; [unrolled: 1-line block ×4, first 2 shown]
	v_add_f64 v[34:35], v[18:19], v[24:25]
	v_mov_b32_dpp v18, v22 row_shr:1 row_mask:0xf bank_mask:0xf
	v_mov_b32_dpp v19, v23 row_shr:1 row_mask:0xf bank_mask:0xf
	v_add_f64 v[18:19], v[22:23], v[18:19]
	v_mov_b32_dpp v28, v14 row_shr:2 row_mask:0xf bank_mask:0xf
	v_mov_b32_dpp v29, v15 row_shr:2 row_mask:0xf bank_mask:0xf
	;; [unrolled: 1-line block ×4, first 2 shown]
	v_add_f64 v[18:19], v[18:19], v[22:23]
	v_add_f64 v[20:21], v[20:21], v[26:27]
	;; [unrolled: 1-line block ×3, first 2 shown]
	v_mov_b32_dpp v22, v18 row_shr:4 row_mask:0xf bank_mask:0xe
	v_mov_b32_dpp v23, v19 row_shr:4 row_mask:0xf bank_mask:0xe
	v_add_f64 v[38:39], v[18:19], v[22:23]
	v_mov_b32_dpp v18, v12 row_shr:1 row_mask:0xf bank_mask:0xf
	v_mov_b32_dpp v19, v13 row_shr:1 row_mask:0xf bank_mask:0xf
	v_add_f64 v[12:13], v[12:13], v[18:19]
	v_mov_b32_dpp v26, v20 row_shr:4 row_mask:0xf bank_mask:0xe
	v_mov_b32_dpp v27, v21 row_shr:4 row_mask:0xf bank_mask:0xe
	v_mov_b32_dpp v18, v12 row_shr:2 row_mask:0xf bank_mask:0xf
	v_mov_b32_dpp v19, v13 row_shr:2 row_mask:0xf bank_mask:0xf
	v_add_f64 v[12:13], v[12:13], v[18:19]
	v_mov_b32_dpp v28, v14 row_shr:4 row_mask:0xf bank_mask:0xe
	v_mov_b32_dpp v29, v15 row_shr:4 row_mask:0xf bank_mask:0xe
	;; [unrolled: 5-line block ×3, first 2 shown]
	v_add_f64 v[12:13], v[16:17], v[12:13]
	v_add_f64 v[20:21], v[20:21], v[26:27]
	v_add_f64 v[14:15], v[14:15], v[28:29]
	v_mov_b32_dpp v16, v12 row_shr:2 row_mask:0xf bank_mask:0xf
	v_mov_b32_dpp v17, v13 row_shr:2 row_mask:0xf bank_mask:0xf
	v_add_f64 v[12:13], v[12:13], v[16:17]
	v_mov_b32_dpp v26, v20 row_shr:8 row_mask:0xf bank_mask:0xc
	v_mov_b32_dpp v27, v21 row_shr:8 row_mask:0xf bank_mask:0xc
	;; [unrolled: 1-line block ×4, first 2 shown]
	v_add_f64 v[16:17], v[12:13], v[16:17]
	v_mov_b32_dpp v12, v0 row_shr:1 row_mask:0xf bank_mask:0xf
	v_mov_b32_dpp v13, v1 row_shr:1 row_mask:0xf bank_mask:0xf
	v_add_f64 v[0:1], v[0:1], v[12:13]
	v_mov_b32_dpp v28, v14 row_shr:8 row_mask:0xf bank_mask:0xc
	v_mov_b32_dpp v29, v15 row_shr:8 row_mask:0xf bank_mask:0xc
	v_mov_b32_dpp v12, v0 row_shr:2 row_mask:0xf bank_mask:0xf
	v_mov_b32_dpp v13, v1 row_shr:2 row_mask:0xf bank_mask:0xf
	v_add_f64 v[0:1], v[0:1], v[12:13]
	v_mov_b32_dpp v32, v30 row_shr:8 row_mask:0xf bank_mask:0xc
	v_mov_b32_dpp v33, v31 row_shr:8 row_mask:0xf bank_mask:0xc
	;; [unrolled: 5-line block ×3, first 2 shown]
	v_mov_b32_dpp v40, v38 row_shr:8 row_mask:0xf bank_mask:0xc
	v_mov_b32_dpp v41, v39 row_shr:8 row_mask:0xf bank_mask:0xc
	;; [unrolled: 1-line block ×8, first 2 shown]
	v_cmp_eq_u32_e32 vcc, 15, v11
	s_and_b64 exec, exec, vcc
	s_cbranch_execz .LBB123_21
; %bb.17:
	s_load_dwordx2 s[2:3], s[0:1], 0x48
	v_cmp_eq_f64_e32 vcc, 0, v[6:7]
	v_cmp_eq_f64_e64 s[0:1], 0, v[8:9]
	v_add_f64 v[18:19], v[20:21], v[26:27]
	v_add_f64 v[24:25], v[14:15], v[28:29]
	v_add_f64 v[14:15], v[30:31], v[32:33]
	v_add_f64 v[22:23], v[34:35], v[36:37]
	v_add_f64 v[12:13], v[38:39], v[40:41]
	v_add_f64 v[20:21], v[42:43], v[44:45]
	v_add_f64 v[0:1], v[16:17], v[46:47]
	v_add_f64 v[16:17], v[48:49], v[50:51]
	s_and_b64 s[0:1], vcc, s[0:1]
	s_and_saveexec_b64 s[4:5], s[0:1]
	s_xor_b64 s[0:1], exec, s[4:5]
	s_cbranch_execz .LBB123_19
; %bb.18:
	v_lshlrev_b32_e32 v10, 2, v10
	v_mul_f64 v[6:7], v[24:25], -v[4:5]
	v_mul_f64 v[8:9], v[2:3], v[24:25]
	v_ashrrev_i32_e32 v11, 31, v10
	v_fmac_f64_e32 v[6:7], v[2:3], v[18:19]
	v_fmac_f64_e32 v[8:9], v[4:5], v[18:19]
	s_waitcnt lgkmcnt(0)
	v_lshl_add_u64 v[10:11], v[10:11], 4, s[2:3]
	global_store_dwordx4 v[10:11], v[6:9], off
                                        ; implicit-def: $vgpr18_vgpr19
                                        ; implicit-def: $vgpr24_vgpr25
	s_nop 1
	v_mul_f64 v[6:7], v[22:23], -v[4:5]
	v_mul_f64 v[8:9], v[2:3], v[22:23]
	v_fmac_f64_e32 v[6:7], v[2:3], v[14:15]
	v_fmac_f64_e32 v[8:9], v[4:5], v[14:15]
	global_store_dwordx4 v[10:11], v[6:9], off offset:16
                                        ; implicit-def: $vgpr14_vgpr15
                                        ; implicit-def: $vgpr22_vgpr23
	s_nop 1
	v_mul_f64 v[6:7], v[20:21], -v[4:5]
	v_mul_f64 v[8:9], v[2:3], v[20:21]
	v_fmac_f64_e32 v[6:7], v[2:3], v[12:13]
	v_fmac_f64_e32 v[8:9], v[4:5], v[12:13]
	global_store_dwordx4 v[10:11], v[6:9], off offset:32
                                        ; implicit-def: $vgpr12_vgpr13
                                        ; implicit-def: $vgpr20_vgpr21
	s_nop 1
	v_mul_f64 v[6:7], v[16:17], -v[4:5]
	v_mul_f64 v[8:9], v[2:3], v[16:17]
	v_fmac_f64_e32 v[6:7], v[2:3], v[0:1]
	v_fmac_f64_e32 v[8:9], v[4:5], v[0:1]
	global_store_dwordx4 v[10:11], v[6:9], off offset:48
                                        ; implicit-def: $vgpr10
                                        ; implicit-def: $vgpr0_vgpr1
                                        ; implicit-def: $vgpr16_vgpr17
                                        ; implicit-def: $vgpr8_vgpr9
                                        ; implicit-def: $vgpr4_vgpr5
.LBB123_19:
	s_andn2_saveexec_b64 s[0:1], s[0:1]
	s_cbranch_execz .LBB123_21
; %bb.20:
	v_lshlrev_b32_e32 v10, 2, v10
	v_ashrrev_i32_e32 v11, 31, v10
	s_waitcnt lgkmcnt(0)
	v_lshl_add_u64 v[46:47], v[10:11], 4, s[2:3]
	global_load_dwordx4 v[26:29], v[46:47], off
	global_load_dwordx4 v[30:33], v[46:47], off offset:16
	global_load_dwordx4 v[34:37], v[46:47], off offset:32
	;; [unrolled: 1-line block ×3, first 2 shown]
	v_mul_f64 v[42:43], v[24:25], -v[4:5]
	v_mul_f64 v[24:25], v[2:3], v[24:25]
	v_mul_f64 v[48:49], v[22:23], -v[4:5]
	v_mul_f64 v[44:45], v[2:3], v[22:23]
	;; [unrolled: 2-line block ×4, first 2 shown]
	v_fmac_f64_e32 v[42:43], v[2:3], v[18:19]
	v_fmac_f64_e32 v[24:25], v[4:5], v[18:19]
	;; [unrolled: 1-line block ×8, first 2 shown]
	s_waitcnt vmcnt(3)
	v_fmac_f64_e32 v[42:43], v[6:7], v[26:27]
	v_fmac_f64_e32 v[24:25], v[8:9], v[26:27]
	s_waitcnt vmcnt(2)
	v_fmac_f64_e32 v[48:49], v[6:7], v[30:31]
	v_fmac_f64_e32 v[44:45], v[8:9], v[30:31]
	;; [unrolled: 3-line block ×4, first 2 shown]
	v_fma_f64 v[22:23], -v[8:9], v[28:29], v[42:43]
	v_fmac_f64_e32 v[24:25], v[6:7], v[28:29]
	v_fma_f64 v[42:43], -v[8:9], v[32:33], v[48:49]
	v_fmac_f64_e32 v[44:45], v[6:7], v[32:33]
	;; [unrolled: 2-line block ×4, first 2 shown]
	global_store_dwordx4 v[46:47], v[22:25], off
	global_store_dwordx4 v[46:47], v[42:45], off offset:16
	global_store_dwordx4 v[46:47], v[18:21], off offset:32
	;; [unrolled: 1-line block ×3, first 2 shown]
.LBB123_21:
	s_endpgm
	.section	.rodata,"a",@progbits
	.p2align	6, 0x0
	.amdhsa_kernel _ZN9rocsparseL19gebsrmvn_4xn_kernelILj128ELj3ELj16E21rocsparse_complex_numIdEEEvi20rocsparse_direction_NS_24const_host_device_scalarIT2_EEPKiS8_PKS5_SA_S6_PS5_21rocsparse_index_base_b
		.amdhsa_group_segment_fixed_size 0
		.amdhsa_private_segment_fixed_size 0
		.amdhsa_kernarg_size 88
		.amdhsa_user_sgpr_count 2
		.amdhsa_user_sgpr_dispatch_ptr 0
		.amdhsa_user_sgpr_queue_ptr 0
		.amdhsa_user_sgpr_kernarg_segment_ptr 1
		.amdhsa_user_sgpr_dispatch_id 0
		.amdhsa_user_sgpr_kernarg_preload_length 0
		.amdhsa_user_sgpr_kernarg_preload_offset 0
		.amdhsa_user_sgpr_private_segment_size 0
		.amdhsa_uses_dynamic_stack 0
		.amdhsa_enable_private_segment 0
		.amdhsa_system_sgpr_workgroup_id_x 1
		.amdhsa_system_sgpr_workgroup_id_y 0
		.amdhsa_system_sgpr_workgroup_id_z 0
		.amdhsa_system_sgpr_workgroup_info 0
		.amdhsa_system_vgpr_workitem_id 0
		.amdhsa_next_free_vgpr 98
		.amdhsa_next_free_sgpr 16
		.amdhsa_accum_offset 100
		.amdhsa_reserve_vcc 1
		.amdhsa_float_round_mode_32 0
		.amdhsa_float_round_mode_16_64 0
		.amdhsa_float_denorm_mode_32 3
		.amdhsa_float_denorm_mode_16_64 3
		.amdhsa_dx10_clamp 1
		.amdhsa_ieee_mode 1
		.amdhsa_fp16_overflow 0
		.amdhsa_tg_split 0
		.amdhsa_exception_fp_ieee_invalid_op 0
		.amdhsa_exception_fp_denorm_src 0
		.amdhsa_exception_fp_ieee_div_zero 0
		.amdhsa_exception_fp_ieee_overflow 0
		.amdhsa_exception_fp_ieee_underflow 0
		.amdhsa_exception_fp_ieee_inexact 0
		.amdhsa_exception_int_div_zero 0
	.end_amdhsa_kernel
	.section	.text._ZN9rocsparseL19gebsrmvn_4xn_kernelILj128ELj3ELj16E21rocsparse_complex_numIdEEEvi20rocsparse_direction_NS_24const_host_device_scalarIT2_EEPKiS8_PKS5_SA_S6_PS5_21rocsparse_index_base_b,"axG",@progbits,_ZN9rocsparseL19gebsrmvn_4xn_kernelILj128ELj3ELj16E21rocsparse_complex_numIdEEEvi20rocsparse_direction_NS_24const_host_device_scalarIT2_EEPKiS8_PKS5_SA_S6_PS5_21rocsparse_index_base_b,comdat
.Lfunc_end123:
	.size	_ZN9rocsparseL19gebsrmvn_4xn_kernelILj128ELj3ELj16E21rocsparse_complex_numIdEEEvi20rocsparse_direction_NS_24const_host_device_scalarIT2_EEPKiS8_PKS5_SA_S6_PS5_21rocsparse_index_base_b, .Lfunc_end123-_ZN9rocsparseL19gebsrmvn_4xn_kernelILj128ELj3ELj16E21rocsparse_complex_numIdEEEvi20rocsparse_direction_NS_24const_host_device_scalarIT2_EEPKiS8_PKS5_SA_S6_PS5_21rocsparse_index_base_b
                                        ; -- End function
	.set _ZN9rocsparseL19gebsrmvn_4xn_kernelILj128ELj3ELj16E21rocsparse_complex_numIdEEEvi20rocsparse_direction_NS_24const_host_device_scalarIT2_EEPKiS8_PKS5_SA_S6_PS5_21rocsparse_index_base_b.num_vgpr, 98
	.set _ZN9rocsparseL19gebsrmvn_4xn_kernelILj128ELj3ELj16E21rocsparse_complex_numIdEEEvi20rocsparse_direction_NS_24const_host_device_scalarIT2_EEPKiS8_PKS5_SA_S6_PS5_21rocsparse_index_base_b.num_agpr, 0
	.set _ZN9rocsparseL19gebsrmvn_4xn_kernelILj128ELj3ELj16E21rocsparse_complex_numIdEEEvi20rocsparse_direction_NS_24const_host_device_scalarIT2_EEPKiS8_PKS5_SA_S6_PS5_21rocsparse_index_base_b.numbered_sgpr, 16
	.set _ZN9rocsparseL19gebsrmvn_4xn_kernelILj128ELj3ELj16E21rocsparse_complex_numIdEEEvi20rocsparse_direction_NS_24const_host_device_scalarIT2_EEPKiS8_PKS5_SA_S6_PS5_21rocsparse_index_base_b.num_named_barrier, 0
	.set _ZN9rocsparseL19gebsrmvn_4xn_kernelILj128ELj3ELj16E21rocsparse_complex_numIdEEEvi20rocsparse_direction_NS_24const_host_device_scalarIT2_EEPKiS8_PKS5_SA_S6_PS5_21rocsparse_index_base_b.private_seg_size, 0
	.set _ZN9rocsparseL19gebsrmvn_4xn_kernelILj128ELj3ELj16E21rocsparse_complex_numIdEEEvi20rocsparse_direction_NS_24const_host_device_scalarIT2_EEPKiS8_PKS5_SA_S6_PS5_21rocsparse_index_base_b.uses_vcc, 1
	.set _ZN9rocsparseL19gebsrmvn_4xn_kernelILj128ELj3ELj16E21rocsparse_complex_numIdEEEvi20rocsparse_direction_NS_24const_host_device_scalarIT2_EEPKiS8_PKS5_SA_S6_PS5_21rocsparse_index_base_b.uses_flat_scratch, 0
	.set _ZN9rocsparseL19gebsrmvn_4xn_kernelILj128ELj3ELj16E21rocsparse_complex_numIdEEEvi20rocsparse_direction_NS_24const_host_device_scalarIT2_EEPKiS8_PKS5_SA_S6_PS5_21rocsparse_index_base_b.has_dyn_sized_stack, 0
	.set _ZN9rocsparseL19gebsrmvn_4xn_kernelILj128ELj3ELj16E21rocsparse_complex_numIdEEEvi20rocsparse_direction_NS_24const_host_device_scalarIT2_EEPKiS8_PKS5_SA_S6_PS5_21rocsparse_index_base_b.has_recursion, 0
	.set _ZN9rocsparseL19gebsrmvn_4xn_kernelILj128ELj3ELj16E21rocsparse_complex_numIdEEEvi20rocsparse_direction_NS_24const_host_device_scalarIT2_EEPKiS8_PKS5_SA_S6_PS5_21rocsparse_index_base_b.has_indirect_call, 0
	.section	.AMDGPU.csdata,"",@progbits
; Kernel info:
; codeLenInByte = 2856
; TotalNumSgprs: 22
; NumVgprs: 98
; NumAgprs: 0
; TotalNumVgprs: 98
; ScratchSize: 0
; MemoryBound: 0
; FloatMode: 240
; IeeeMode: 1
; LDSByteSize: 0 bytes/workgroup (compile time only)
; SGPRBlocks: 2
; VGPRBlocks: 12
; NumSGPRsForWavesPerEU: 22
; NumVGPRsForWavesPerEU: 98
; AccumOffset: 100
; Occupancy: 4
; WaveLimiterHint : 1
; COMPUTE_PGM_RSRC2:SCRATCH_EN: 0
; COMPUTE_PGM_RSRC2:USER_SGPR: 2
; COMPUTE_PGM_RSRC2:TRAP_HANDLER: 0
; COMPUTE_PGM_RSRC2:TGID_X_EN: 1
; COMPUTE_PGM_RSRC2:TGID_Y_EN: 0
; COMPUTE_PGM_RSRC2:TGID_Z_EN: 0
; COMPUTE_PGM_RSRC2:TIDIG_COMP_CNT: 0
; COMPUTE_PGM_RSRC3_GFX90A:ACCUM_OFFSET: 24
; COMPUTE_PGM_RSRC3_GFX90A:TG_SPLIT: 0
	.section	.text._ZN9rocsparseL19gebsrmvn_4xn_kernelILj128ELj3ELj32E21rocsparse_complex_numIdEEEvi20rocsparse_direction_NS_24const_host_device_scalarIT2_EEPKiS8_PKS5_SA_S6_PS5_21rocsparse_index_base_b,"axG",@progbits,_ZN9rocsparseL19gebsrmvn_4xn_kernelILj128ELj3ELj32E21rocsparse_complex_numIdEEEvi20rocsparse_direction_NS_24const_host_device_scalarIT2_EEPKiS8_PKS5_SA_S6_PS5_21rocsparse_index_base_b,comdat
	.globl	_ZN9rocsparseL19gebsrmvn_4xn_kernelILj128ELj3ELj32E21rocsparse_complex_numIdEEEvi20rocsparse_direction_NS_24const_host_device_scalarIT2_EEPKiS8_PKS5_SA_S6_PS5_21rocsparse_index_base_b ; -- Begin function _ZN9rocsparseL19gebsrmvn_4xn_kernelILj128ELj3ELj32E21rocsparse_complex_numIdEEEvi20rocsparse_direction_NS_24const_host_device_scalarIT2_EEPKiS8_PKS5_SA_S6_PS5_21rocsparse_index_base_b
	.p2align	8
	.type	_ZN9rocsparseL19gebsrmvn_4xn_kernelILj128ELj3ELj32E21rocsparse_complex_numIdEEEvi20rocsparse_direction_NS_24const_host_device_scalarIT2_EEPKiS8_PKS5_SA_S6_PS5_21rocsparse_index_base_b,@function
_ZN9rocsparseL19gebsrmvn_4xn_kernelILj128ELj3ELj32E21rocsparse_complex_numIdEEEvi20rocsparse_direction_NS_24const_host_device_scalarIT2_EEPKiS8_PKS5_SA_S6_PS5_21rocsparse_index_base_b: ; @_ZN9rocsparseL19gebsrmvn_4xn_kernelILj128ELj3ELj32E21rocsparse_complex_numIdEEEvi20rocsparse_direction_NS_24const_host_device_scalarIT2_EEPKiS8_PKS5_SA_S6_PS5_21rocsparse_index_base_b
; %bb.0:
	s_load_dwordx2 s[4:5], s[0:1], 0x8
	s_load_dwordx2 s[6:7], s[0:1], 0x38
	;; [unrolled: 1-line block ×3, first 2 shown]
	s_add_u32 s3, s0, 8
	s_addc_u32 s8, s1, 0
	s_add_u32 s9, s0, 56
	s_addc_u32 s10, s1, 0
	s_waitcnt lgkmcnt(0)
	s_bitcmp1_b32 s13, 0
	s_cselect_b32 s5, s8, s5
	s_cselect_b32 s3, s3, s4
	v_mov_b32_e32 v2, s3
	v_mov_b32_e32 v3, s5
	flat_load_dwordx4 v[2:5], v[2:3]
	s_cselect_b32 s3, s10, s7
	s_cselect_b32 s4, s9, s6
	v_mov_b32_e32 v6, s4
	v_mov_b32_e32 v7, s3
	flat_load_dwordx4 v[6:9], v[6:7]
	s_waitcnt vmcnt(0) lgkmcnt(0)
	v_cmp_eq_f64_e32 vcc, 0, v[2:3]
	v_cmp_eq_f64_e64 s[4:5], 0, v[4:5]
	s_and_b64 s[8:9], vcc, s[4:5]
	s_mov_b64 s[4:5], -1
	s_and_saveexec_b64 s[6:7], s[8:9]
; %bb.1:
	v_cmp_neq_f64_e32 vcc, 1.0, v[6:7]
	v_cmp_neq_f64_e64 s[4:5], 0, v[8:9]
	s_or_b64 s[4:5], vcc, s[4:5]
	s_orn2_b64 s[4:5], s[4:5], exec
; %bb.2:
	s_or_b64 exec, exec, s[6:7]
	s_and_saveexec_b64 s[6:7], s[4:5]
	s_cbranch_execz .LBB124_21
; %bb.3:
	s_load_dwordx2 s[14:15], s[0:1], 0x0
	v_lshrrev_b32_e32 v1, 5, v0
	v_lshl_or_b32 v10, s2, 2, v1
	s_waitcnt lgkmcnt(0)
	v_cmp_gt_i32_e32 vcc, s14, v10
	s_and_b64 exec, exec, vcc
	s_cbranch_execz .LBB124_21
; %bb.4:
	s_load_dwordx8 s[4:11], s[0:1], 0x18
	v_ashrrev_i32_e32 v11, 31, v10
	s_cmp_lg_u32 s15, 0
	s_waitcnt lgkmcnt(0)
	v_lshl_add_u64 v[12:13], v[10:11], 2, s[4:5]
	global_load_dwordx2 v[12:13], v[12:13], off
	v_and_b32_e32 v11, 31, v0
	s_waitcnt vmcnt(0)
	v_subrev_u32_e32 v0, s12, v12
	v_subrev_u32_e32 v32, s12, v13
	v_add_u32_e32 v22, v0, v11
	v_cmp_lt_i32_e64 s[2:3], v22, v32
	s_cbranch_scc0 .LBB124_10
; %bb.5:
	v_mov_b64_e32 v[16:17], 0
	v_mov_b64_e32 v[26:27], 0
	;; [unrolled: 1-line block ×8, first 2 shown]
	s_and_saveexec_b64 s[4:5], s[2:3]
	s_cbranch_execz .LBB124_9
; %bb.6:
	v_mul_lo_u32 v28, v22, 12
	v_mov_b64_e32 v[16:17], 0
	s_mov_b64 s[14:15], 0
	v_mov_b32_e32 v29, 0
	v_mov_b32_e32 v30, v22
	v_mov_b64_e32 v[26:27], 0
	v_mov_b64_e32 v[14:15], 0
	;; [unrolled: 1-line block ×7, first 2 shown]
.LBB124_7:                              ; =>This Inner Loop Header: Depth=1
	v_ashrrev_i32_e32 v31, 31, v30
	v_lshl_add_u64 v[34:35], v[30:31], 2, s[6:7]
	global_load_dword v23, v[34:35], off
	v_add_u32_e32 v52, 4, v28
	v_mov_b32_e32 v53, v29
	v_lshl_add_u64 v[50:51], v[28:29], 4, s[8:9]
	v_mov_b32_e32 v83, v29
	v_add_u32_e32 v54, 8, v28
	v_mov_b32_e32 v55, v29
	v_lshl_add_u64 v[84:85], v[52:53], 4, s[8:9]
	global_load_dwordx4 v[34:37], v[50:51], off offset:48
	global_load_dwordx4 v[38:41], v[50:51], off offset:32
	;; [unrolled: 1-line block ×3, first 2 shown]
	global_load_dwordx4 v[46:49], v[50:51], off
	v_lshl_add_u64 v[90:91], v[54:55], 4, s[8:9]
	global_load_dwordx4 v[50:53], v[84:85], off offset:48
	global_load_dwordx4 v[54:57], v[84:85], off offset:32
	global_load_dwordx4 v[58:61], v[84:85], off offset:16
	global_load_dwordx4 v[62:65], v[84:85], off
	global_load_dwordx4 v[66:69], v[90:91], off offset:48
	global_load_dwordx4 v[70:73], v[90:91], off offset:32
	;; [unrolled: 1-line block ×3, first 2 shown]
	global_load_dwordx4 v[78:81], v[90:91], off
	v_mov_b32_e32 v87, v29
	v_mov_b32_e32 v89, v29
	v_add_u32_e32 v30, 32, v30
	v_cmp_ge_i32_e32 vcc, v30, v32
	v_add_u32_e32 v28, 0x180, v28
	s_or_b64 s[14:15], vcc, s[14:15]
	s_waitcnt vmcnt(12)
	v_subrev_u32_e32 v23, s12, v23
	v_lshl_add_u32 v82, v23, 1, v23
	v_lshl_add_u64 v[84:85], v[82:83], 4, s[10:11]
	v_add_u32_e32 v86, 1, v82
	v_add_u32_e32 v88, 2, v82
	global_load_dwordx4 v[82:85], v[84:85], off
	v_lshl_add_u64 v[94:95], v[86:87], 4, s[10:11]
	v_lshl_add_u64 v[96:97], v[88:89], 4, s[10:11]
	global_load_dwordx4 v[86:89], v[94:95], off
	global_load_dwordx4 v[90:93], v[96:97], off
	s_waitcnt vmcnt(2)
	v_fmac_f64_e32 v[26:27], v[46:47], v[82:83]
	v_fmac_f64_e32 v[16:17], v[48:49], v[82:83]
	v_fmac_f64_e32 v[24:25], v[42:43], v[82:83]
	v_fmac_f64_e32 v[18:19], v[44:45], v[82:83]
	v_fmac_f64_e32 v[20:21], v[38:39], v[82:83]
	v_fmac_f64_e32 v[12:13], v[40:41], v[82:83]
	v_fmac_f64_e32 v[14:15], v[34:35], v[82:83]
	v_fmac_f64_e32 v[0:1], v[36:37], v[82:83]
	v_fma_f64 v[26:27], -v[48:49], v[84:85], v[26:27]
	v_fmac_f64_e32 v[16:17], v[46:47], v[84:85]
	v_fma_f64 v[24:25], -v[44:45], v[84:85], v[24:25]
	v_fmac_f64_e32 v[18:19], v[42:43], v[84:85]
	v_fma_f64 v[20:21], -v[40:41], v[84:85], v[20:21]
	v_fmac_f64_e32 v[12:13], v[38:39], v[84:85]
	v_fma_f64 v[14:15], -v[36:37], v[84:85], v[14:15]
	v_fmac_f64_e32 v[0:1], v[34:35], v[84:85]
	s_waitcnt vmcnt(1)
	v_fmac_f64_e32 v[26:27], v[62:63], v[86:87]
	v_fmac_f64_e32 v[16:17], v[64:65], v[86:87]
	v_fmac_f64_e32 v[24:25], v[58:59], v[86:87]
	v_fmac_f64_e32 v[18:19], v[60:61], v[86:87]
	v_fmac_f64_e32 v[20:21], v[54:55], v[86:87]
	v_fmac_f64_e32 v[12:13], v[56:57], v[86:87]
	v_fmac_f64_e32 v[14:15], v[50:51], v[86:87]
	v_fmac_f64_e32 v[0:1], v[52:53], v[86:87]
	v_fma_f64 v[26:27], -v[64:65], v[88:89], v[26:27]
	v_fmac_f64_e32 v[16:17], v[62:63], v[88:89]
	v_fma_f64 v[24:25], -v[60:61], v[88:89], v[24:25]
	v_fmac_f64_e32 v[18:19], v[58:59], v[88:89]
	v_fma_f64 v[20:21], -v[56:57], v[88:89], v[20:21]
	v_fmac_f64_e32 v[12:13], v[54:55], v[88:89]
	v_fma_f64 v[14:15], -v[52:53], v[88:89], v[14:15]
	v_fmac_f64_e32 v[0:1], v[50:51], v[88:89]
	;; [unrolled: 17-line block ×3, first 2 shown]
	s_andn2_b64 exec, exec, s[14:15]
	s_cbranch_execnz .LBB124_7
; %bb.8:
	s_or_b64 exec, exec, s[14:15]
.LBB124_9:
	s_or_b64 exec, exec, s[4:5]
	s_cbranch_execz .LBB124_11
	s_branch .LBB124_16
.LBB124_10:
                                        ; implicit-def: $vgpr16_vgpr17
                                        ; implicit-def: $vgpr26_vgpr27
                                        ; implicit-def: $vgpr14_vgpr15
                                        ; implicit-def: $vgpr0_vgpr1
                                        ; implicit-def: $vgpr20_vgpr21
                                        ; implicit-def: $vgpr12_vgpr13
                                        ; implicit-def: $vgpr24_vgpr25
                                        ; implicit-def: $vgpr18_vgpr19
.LBB124_11:
	v_mov_b64_e32 v[16:17], 0
	v_mov_b64_e32 v[26:27], 0
	;; [unrolled: 1-line block ×8, first 2 shown]
	s_and_saveexec_b64 s[4:5], s[2:3]
	s_cbranch_execz .LBB124_15
; %bb.12:
	v_mad_u64_u32 v[28:29], s[2:3], v22, 12, 11
	v_mov_b64_e32 v[16:17], 0
	s_mov_b64 s[2:3], 0
	v_mov_b32_e32 v31, 0
	v_mov_b64_e32 v[26:27], 0
	v_mov_b64_e32 v[14:15], 0
	;; [unrolled: 1-line block ×7, first 2 shown]
.LBB124_13:                             ; =>This Inner Loop Header: Depth=1
	v_ashrrev_i32_e32 v23, 31, v22
	v_add_u32_e32 v30, -11, v28
	v_add_u32_e32 v34, -5, v28
	;; [unrolled: 1-line block ×3, first 2 shown]
	v_mov_b32_e32 v35, v31
	v_mov_b32_e32 v37, v31
	;; [unrolled: 1-line block ×3, first 2 shown]
	v_lshl_add_u64 v[62:63], v[22:23], 2, s[6:7]
	v_lshl_add_u64 v[64:65], v[30:31], 4, s[8:9]
	;; [unrolled: 1-line block ×5, first 2 shown]
	global_load_dword v23, v[62:63], off
	global_load_dwordx4 v[34:37], v[64:65], off offset:48
	global_load_dwordx4 v[38:41], v[64:65], off offset:32
	;; [unrolled: 1-line block ×3, first 2 shown]
	global_load_dwordx4 v[46:49], v[64:65], off
	global_load_dwordx4 v[50:53], v[66:67], off
	;; [unrolled: 1-line block ×4, first 2 shown]
	v_mov_b32_e32 v79, v31
	v_add_u32_e32 v22, 32, v22
	v_cmp_ge_i32_e32 vcc, v22, v32
	s_or_b64 s[2:3], vcc, s[2:3]
	s_waitcnt vmcnt(7)
	v_subrev_u32_e32 v23, s12, v23
	v_lshl_add_u32 v78, v23, 1, v23
	v_lshl_add_u64 v[62:63], v[78:79], 4, s[10:11]
	global_load_dwordx4 v[62:65], v[62:63], off
	v_add_u32_e32 v30, 1, v78
	v_lshl_add_u64 v[66:67], v[30:31], 4, s[10:11]
	v_add_u32_e32 v30, -7, v28
	v_lshl_add_u64 v[70:71], v[30:31], 4, s[8:9]
	v_add_u32_e32 v30, -4, v28
	v_lshl_add_u64 v[74:75], v[30:31], 4, s[8:9]
	v_add_u32_e32 v30, -1, v28
	v_lshl_add_u64 v[80:81], v[30:31], 4, s[8:9]
	v_add_u32_e32 v30, 2, v78
	global_load_dwordx4 v[66:69], v[66:67], off
	v_lshl_add_u64 v[82:83], v[30:31], 4, s[10:11]
	v_add_u32_e32 v30, -6, v28
	global_load_dwordx4 v[70:73], v[70:71], off
	s_waitcnt vmcnt(2)
	v_fmac_f64_e32 v[16:17], v[48:49], v[62:63]
	global_load_dwordx4 v[74:77], v[74:75], off
	v_fmac_f64_e32 v[26:27], v[46:47], v[62:63]
	global_load_dwordx4 v[78:81], v[80:81], off
	v_fmac_f64_e32 v[16:17], v[46:47], v[64:65]
	v_lshl_add_u64 v[46:47], v[30:31], 4, s[8:9]
	v_add_u32_e32 v30, -3, v28
	v_fmac_f64_e32 v[18:19], v[36:37], v[62:63]
	v_fmac_f64_e32 v[24:25], v[34:35], v[62:63]
	;; [unrolled: 1-line block ×3, first 2 shown]
	v_lshl_add_u64 v[34:35], v[30:31], 4, s[8:9]
	global_load_dwordx4 v[82:85], v[82:83], off
	v_fma_f64 v[26:27], -v[48:49], v[64:65], v[26:27]
	global_load_dwordx4 v[46:49], v[46:47], off
	v_fma_f64 v[24:25], -v[36:37], v[64:65], v[24:25]
	global_load_dwordx4 v[34:37], v[34:35], off
	v_fmac_f64_e32 v[20:21], v[50:51], v[62:63]
	v_fmac_f64_e32 v[12:13], v[52:53], v[62:63]
	;; [unrolled: 1-line block ×4, first 2 shown]
	v_fma_f64 v[20:21], -v[52:53], v[64:65], v[20:21]
	v_fmac_f64_e32 v[12:13], v[50:51], v[64:65]
	v_fma_f64 v[14:15], -v[56:57], v[64:65], v[14:15]
	v_fmac_f64_e32 v[0:1], v[54:55], v[64:65]
	s_waitcnt vmcnt(6)
	v_fmac_f64_e32 v[26:27], v[42:43], v[66:67]
	v_fmac_f64_e32 v[16:17], v[44:45], v[66:67]
	s_waitcnt vmcnt(5)
	v_fmac_f64_e32 v[24:25], v[70:71], v[66:67]
	v_fmac_f64_e32 v[18:19], v[72:73], v[66:67]
	v_fma_f64 v[26:27], -v[44:45], v[68:69], v[26:27]
	v_fmac_f64_e32 v[16:17], v[42:43], v[68:69]
	v_fma_f64 v[24:25], -v[72:73], v[68:69], v[24:25]
	v_fmac_f64_e32 v[18:19], v[70:71], v[68:69]
	v_add_u32_e32 v28, 0x180, v28
	s_waitcnt vmcnt(4)
	v_fmac_f64_e32 v[20:21], v[74:75], v[66:67]
	v_fmac_f64_e32 v[12:13], v[76:77], v[66:67]
	s_waitcnt vmcnt(3)
	v_fmac_f64_e32 v[14:15], v[78:79], v[66:67]
	v_fmac_f64_e32 v[0:1], v[80:81], v[66:67]
	v_fma_f64 v[20:21], -v[76:77], v[68:69], v[20:21]
	v_fmac_f64_e32 v[12:13], v[74:75], v[68:69]
	v_fma_f64 v[14:15], -v[80:81], v[68:69], v[14:15]
	v_fmac_f64_e32 v[0:1], v[78:79], v[68:69]
	s_waitcnt vmcnt(2)
	v_fmac_f64_e32 v[26:27], v[38:39], v[82:83]
	v_fmac_f64_e32 v[16:17], v[40:41], v[82:83]
	s_waitcnt vmcnt(1)
	v_fmac_f64_e32 v[24:25], v[46:47], v[82:83]
	v_fmac_f64_e32 v[18:19], v[48:49], v[82:83]
	v_fmac_f64_e32 v[14:15], v[58:59], v[82:83]
	v_fmac_f64_e32 v[0:1], v[60:61], v[82:83]
	s_waitcnt vmcnt(0)
	v_fmac_f64_e32 v[20:21], v[34:35], v[82:83]
	v_fmac_f64_e32 v[12:13], v[36:37], v[82:83]
	v_fma_f64 v[26:27], -v[40:41], v[84:85], v[26:27]
	v_fmac_f64_e32 v[16:17], v[38:39], v[84:85]
	v_fma_f64 v[24:25], -v[48:49], v[84:85], v[24:25]
	v_fmac_f64_e32 v[18:19], v[46:47], v[84:85]
	v_fma_f64 v[14:15], -v[60:61], v[84:85], v[14:15]
	v_fmac_f64_e32 v[0:1], v[58:59], v[84:85]
	v_fma_f64 v[20:21], -v[36:37], v[84:85], v[20:21]
	v_fmac_f64_e32 v[12:13], v[34:35], v[84:85]
	s_andn2_b64 exec, exec, s[2:3]
	s_cbranch_execnz .LBB124_13
; %bb.14:
	s_or_b64 exec, exec, s[2:3]
.LBB124_15:
	s_or_b64 exec, exec, s[4:5]
.LBB124_16:
	v_mov_b32_dpp v32, v18 row_shr:1 row_mask:0xf bank_mask:0xf
	v_mov_b32_dpp v33, v19 row_shr:1 row_mask:0xf bank_mask:0xf
	v_add_f64 v[18:19], v[18:19], v[32:33]
	v_mov_b32_dpp v22, v26 row_shr:1 row_mask:0xf bank_mask:0xf
	v_mov_b32_dpp v23, v27 row_shr:1 row_mask:0xf bank_mask:0xf
	v_mov_b32_dpp v32, v18 row_shr:2 row_mask:0xf bank_mask:0xf
	v_mov_b32_dpp v33, v19 row_shr:2 row_mask:0xf bank_mask:0xf
	v_add_f64 v[18:19], v[18:19], v[32:33]
	v_mov_b32_dpp v28, v16 row_shr:1 row_mask:0xf bank_mask:0xf
	v_mov_b32_dpp v29, v17 row_shr:1 row_mask:0xf bank_mask:0xf
	;; [unrolled: 5-line block ×4, first 2 shown]
	v_add_f64 v[18:19], v[20:21], v[18:19]
	v_add_f64 v[22:23], v[26:27], v[22:23]
	;; [unrolled: 1-line block ×3, first 2 shown]
	v_mov_b32_dpp v20, v18 row_shr:2 row_mask:0xf bank_mask:0xf
	v_mov_b32_dpp v21, v19 row_shr:2 row_mask:0xf bank_mask:0xf
	v_add_f64 v[18:19], v[18:19], v[20:21]
	v_add_f64 v[24:25], v[24:25], v[30:31]
	v_mov_b32_dpp v26, v22 row_shr:2 row_mask:0xf bank_mask:0xf
	v_mov_b32_dpp v20, v18 row_shr:4 row_mask:0xf bank_mask:0xe
	;; [unrolled: 1-line block ×3, first 2 shown]
	v_add_f64 v[18:19], v[18:19], v[20:21]
	v_mov_b32_dpp v27, v23 row_shr:2 row_mask:0xf bank_mask:0xf
	v_mov_b32_dpp v28, v16 row_shr:2 row_mask:0xf bank_mask:0xf
	;; [unrolled: 1-line block ×4, first 2 shown]
	v_add_f64 v[20:21], v[18:19], v[20:21]
	v_mov_b32_dpp v18, v12 row_shr:1 row_mask:0xf bank_mask:0xf
	v_mov_b32_dpp v19, v13 row_shr:1 row_mask:0xf bank_mask:0xf
	v_add_f64 v[12:13], v[12:13], v[18:19]
	v_mov_b32_dpp v29, v17 row_shr:2 row_mask:0xf bank_mask:0xf
	v_mov_b32_dpp v30, v24 row_shr:2 row_mask:0xf bank_mask:0xf
	;; [unrolled: 1-line block ×4, first 2 shown]
	v_add_f64 v[12:13], v[12:13], v[18:19]
	v_mov_b32_dpp v31, v25 row_shr:2 row_mask:0xf bank_mask:0xf
	v_add_f64 v[22:23], v[22:23], v[26:27]
	v_mov_b32_dpp v18, v12 row_shr:4 row_mask:0xf bank_mask:0xe
	v_mov_b32_dpp v19, v13 row_shr:4 row_mask:0xf bank_mask:0xe
	v_add_f64 v[12:13], v[12:13], v[18:19]
	v_add_f64 v[16:17], v[16:17], v[28:29]
	;; [unrolled: 1-line block ×3, first 2 shown]
	v_mov_b32_dpp v18, v12 row_shr:8 row_mask:0xf bank_mask:0xc
	v_mov_b32_dpp v19, v13 row_shr:8 row_mask:0xf bank_mask:0xc
	v_add_f64 v[38:39], v[12:13], v[18:19]
	v_mov_b32_dpp v12, v14 row_shr:1 row_mask:0xf bank_mask:0xf
	v_mov_b32_dpp v13, v15 row_shr:1 row_mask:0xf bank_mask:0xf
	v_add_f64 v[12:13], v[14:15], v[12:13]
	v_mov_b32_dpp v26, v22 row_shr:4 row_mask:0xf bank_mask:0xe
	v_mov_b32_dpp v27, v23 row_shr:4 row_mask:0xf bank_mask:0xe
	v_mov_b32_dpp v14, v12 row_shr:2 row_mask:0xf bank_mask:0xf
	v_mov_b32_dpp v15, v13 row_shr:2 row_mask:0xf bank_mask:0xf
	v_add_f64 v[12:13], v[12:13], v[14:15]
	v_mov_b32_dpp v28, v16 row_shr:4 row_mask:0xf bank_mask:0xe
	v_mov_b32_dpp v29, v17 row_shr:4 row_mask:0xf bank_mask:0xe
	;; [unrolled: 5-line block ×4, first 2 shown]
	v_add_f64 v[0:1], v[0:1], v[12:13]
	v_add_f64 v[22:23], v[22:23], v[26:27]
	;; [unrolled: 1-line block ×3, first 2 shown]
	v_mov_b32_dpp v12, v0 row_shr:2 row_mask:0xf bank_mask:0xf
	v_mov_b32_dpp v13, v1 row_shr:2 row_mask:0xf bank_mask:0xf
	v_add_f64 v[0:1], v[0:1], v[12:13]
	v_add_f64 v[24:25], v[24:25], v[30:31]
	v_mov_b32_dpp v26, v22 row_shr:8 row_mask:0xf bank_mask:0xc
	v_mov_b32_dpp v12, v0 row_shr:4 row_mask:0xf bank_mask:0xe
	;; [unrolled: 1-line block ×3, first 2 shown]
	v_add_f64 v[0:1], v[0:1], v[12:13]
	v_mov_b32_dpp v27, v23 row_shr:8 row_mask:0xf bank_mask:0xc
	v_mov_b32_dpp v28, v16 row_shr:8 row_mask:0xf bank_mask:0xc
	;; [unrolled: 1-line block ×7, first 2 shown]
	v_add_f64 v[22:23], v[22:23], v[26:27]
	v_add_f64 v[16:17], v[16:17], v[28:29]
	v_add_f64 v[24:25], v[24:25], v[30:31]
	v_add_f64 v[46:47], v[0:1], v[12:13]
	v_mov_b32_dpp v26, v22 row_bcast:15 row_mask:0xa bank_mask:0xf
	v_mov_b32_dpp v27, v23 row_bcast:15 row_mask:0xa bank_mask:0xf
	;; [unrolled: 1-line block ×16, first 2 shown]
	v_cmp_eq_u32_e32 vcc, 31, v11
	s_and_b64 exec, exec, vcc
	s_cbranch_execz .LBB124_21
; %bb.17:
	s_load_dwordx2 s[2:3], s[0:1], 0x48
	v_cmp_eq_f64_e32 vcc, 0, v[6:7]
	v_cmp_eq_f64_e64 s[0:1], 0, v[8:9]
	v_add_f64 v[18:19], v[22:23], v[26:27]
	v_add_f64 v[26:27], v[16:17], v[28:29]
	;; [unrolled: 1-line block ×8, first 2 shown]
	s_and_b64 s[0:1], vcc, s[0:1]
	s_and_saveexec_b64 s[4:5], s[0:1]
	s_xor_b64 s[0:1], exec, s[4:5]
	s_cbranch_execz .LBB124_19
; %bb.18:
	v_lshlrev_b32_e32 v10, 2, v10
	v_mul_f64 v[6:7], v[26:27], -v[4:5]
	v_mul_f64 v[8:9], v[2:3], v[26:27]
	v_ashrrev_i32_e32 v11, 31, v10
	v_fmac_f64_e32 v[6:7], v[2:3], v[18:19]
	v_fmac_f64_e32 v[8:9], v[4:5], v[18:19]
	s_waitcnt lgkmcnt(0)
	v_lshl_add_u64 v[10:11], v[10:11], 4, s[2:3]
	global_store_dwordx4 v[10:11], v[6:9], off
                                        ; implicit-def: $vgpr18_vgpr19
                                        ; implicit-def: $vgpr26_vgpr27
	s_nop 1
	v_mul_f64 v[6:7], v[22:23], -v[4:5]
	v_mul_f64 v[8:9], v[2:3], v[22:23]
	v_fmac_f64_e32 v[6:7], v[2:3], v[14:15]
	v_fmac_f64_e32 v[8:9], v[4:5], v[14:15]
	global_store_dwordx4 v[10:11], v[6:9], off offset:16
                                        ; implicit-def: $vgpr14_vgpr15
                                        ; implicit-def: $vgpr22_vgpr23
	s_nop 1
	v_mul_f64 v[6:7], v[20:21], -v[4:5]
	v_mul_f64 v[8:9], v[2:3], v[20:21]
	v_fmac_f64_e32 v[6:7], v[2:3], v[12:13]
	v_fmac_f64_e32 v[8:9], v[4:5], v[12:13]
	global_store_dwordx4 v[10:11], v[6:9], off offset:32
                                        ; implicit-def: $vgpr12_vgpr13
                                        ; implicit-def: $vgpr20_vgpr21
	s_nop 1
	v_mul_f64 v[6:7], v[16:17], -v[4:5]
	v_mul_f64 v[8:9], v[2:3], v[16:17]
	v_fmac_f64_e32 v[6:7], v[2:3], v[0:1]
	v_fmac_f64_e32 v[8:9], v[4:5], v[0:1]
	global_store_dwordx4 v[10:11], v[6:9], off offset:48
                                        ; implicit-def: $vgpr10
                                        ; implicit-def: $vgpr0_vgpr1
                                        ; implicit-def: $vgpr16_vgpr17
                                        ; implicit-def: $vgpr8_vgpr9
                                        ; implicit-def: $vgpr4_vgpr5
.LBB124_19:
	s_andn2_saveexec_b64 s[0:1], s[0:1]
	s_cbranch_execz .LBB124_21
; %bb.20:
	v_lshlrev_b32_e32 v10, 2, v10
	v_ashrrev_i32_e32 v11, 31, v10
	s_waitcnt lgkmcnt(0)
	v_lshl_add_u64 v[48:49], v[10:11], 4, s[2:3]
	global_load_dwordx4 v[28:31], v[48:49], off
	global_load_dwordx4 v[32:35], v[48:49], off offset:16
	global_load_dwordx4 v[36:39], v[48:49], off offset:32
	;; [unrolled: 1-line block ×3, first 2 shown]
	v_mul_f64 v[44:45], v[26:27], -v[4:5]
	v_mul_f64 v[24:25], v[2:3], v[26:27]
	v_mul_f64 v[26:27], v[22:23], -v[4:5]
	v_mul_f64 v[46:47], v[2:3], v[22:23]
	;; [unrolled: 2-line block ×4, first 2 shown]
	v_fmac_f64_e32 v[44:45], v[2:3], v[18:19]
	v_fmac_f64_e32 v[24:25], v[4:5], v[18:19]
	;; [unrolled: 1-line block ×8, first 2 shown]
	s_waitcnt vmcnt(3)
	v_fmac_f64_e32 v[44:45], v[6:7], v[28:29]
	v_fmac_f64_e32 v[24:25], v[8:9], v[28:29]
	s_waitcnt vmcnt(2)
	v_fmac_f64_e32 v[26:27], v[6:7], v[32:33]
	v_fmac_f64_e32 v[46:47], v[8:9], v[32:33]
	;; [unrolled: 3-line block ×4, first 2 shown]
	v_fma_f64 v[22:23], -v[8:9], v[30:31], v[44:45]
	v_fmac_f64_e32 v[24:25], v[6:7], v[30:31]
	v_fma_f64 v[44:45], -v[8:9], v[34:35], v[26:27]
	v_fmac_f64_e32 v[46:47], v[6:7], v[34:35]
	v_fma_f64 v[18:19], -v[8:9], v[38:39], v[50:51]
	v_fmac_f64_e32 v[20:21], v[6:7], v[38:39]
	v_fma_f64 v[8:9], -v[8:9], v[42:43], v[52:53]
	v_fmac_f64_e32 v[10:11], v[6:7], v[42:43]
	global_store_dwordx4 v[48:49], v[22:25], off
	global_store_dwordx4 v[48:49], v[44:47], off offset:16
	global_store_dwordx4 v[48:49], v[18:21], off offset:32
	;; [unrolled: 1-line block ×3, first 2 shown]
.LBB124_21:
	s_endpgm
	.section	.rodata,"a",@progbits
	.p2align	6, 0x0
	.amdhsa_kernel _ZN9rocsparseL19gebsrmvn_4xn_kernelILj128ELj3ELj32E21rocsparse_complex_numIdEEEvi20rocsparse_direction_NS_24const_host_device_scalarIT2_EEPKiS8_PKS5_SA_S6_PS5_21rocsparse_index_base_b
		.amdhsa_group_segment_fixed_size 0
		.amdhsa_private_segment_fixed_size 0
		.amdhsa_kernarg_size 88
		.amdhsa_user_sgpr_count 2
		.amdhsa_user_sgpr_dispatch_ptr 0
		.amdhsa_user_sgpr_queue_ptr 0
		.amdhsa_user_sgpr_kernarg_segment_ptr 1
		.amdhsa_user_sgpr_dispatch_id 0
		.amdhsa_user_sgpr_kernarg_preload_length 0
		.amdhsa_user_sgpr_kernarg_preload_offset 0
		.amdhsa_user_sgpr_private_segment_size 0
		.amdhsa_uses_dynamic_stack 0
		.amdhsa_enable_private_segment 0
		.amdhsa_system_sgpr_workgroup_id_x 1
		.amdhsa_system_sgpr_workgroup_id_y 0
		.amdhsa_system_sgpr_workgroup_id_z 0
		.amdhsa_system_sgpr_workgroup_info 0
		.amdhsa_system_vgpr_workitem_id 0
		.amdhsa_next_free_vgpr 98
		.amdhsa_next_free_sgpr 16
		.amdhsa_accum_offset 100
		.amdhsa_reserve_vcc 1
		.amdhsa_float_round_mode_32 0
		.amdhsa_float_round_mode_16_64 0
		.amdhsa_float_denorm_mode_32 3
		.amdhsa_float_denorm_mode_16_64 3
		.amdhsa_dx10_clamp 1
		.amdhsa_ieee_mode 1
		.amdhsa_fp16_overflow 0
		.amdhsa_tg_split 0
		.amdhsa_exception_fp_ieee_invalid_op 0
		.amdhsa_exception_fp_denorm_src 0
		.amdhsa_exception_fp_ieee_div_zero 0
		.amdhsa_exception_fp_ieee_overflow 0
		.amdhsa_exception_fp_ieee_underflow 0
		.amdhsa_exception_fp_ieee_inexact 0
		.amdhsa_exception_int_div_zero 0
	.end_amdhsa_kernel
	.section	.text._ZN9rocsparseL19gebsrmvn_4xn_kernelILj128ELj3ELj32E21rocsparse_complex_numIdEEEvi20rocsparse_direction_NS_24const_host_device_scalarIT2_EEPKiS8_PKS5_SA_S6_PS5_21rocsparse_index_base_b,"axG",@progbits,_ZN9rocsparseL19gebsrmvn_4xn_kernelILj128ELj3ELj32E21rocsparse_complex_numIdEEEvi20rocsparse_direction_NS_24const_host_device_scalarIT2_EEPKiS8_PKS5_SA_S6_PS5_21rocsparse_index_base_b,comdat
.Lfunc_end124:
	.size	_ZN9rocsparseL19gebsrmvn_4xn_kernelILj128ELj3ELj32E21rocsparse_complex_numIdEEEvi20rocsparse_direction_NS_24const_host_device_scalarIT2_EEPKiS8_PKS5_SA_S6_PS5_21rocsparse_index_base_b, .Lfunc_end124-_ZN9rocsparseL19gebsrmvn_4xn_kernelILj128ELj3ELj32E21rocsparse_complex_numIdEEEvi20rocsparse_direction_NS_24const_host_device_scalarIT2_EEPKiS8_PKS5_SA_S6_PS5_21rocsparse_index_base_b
                                        ; -- End function
	.set _ZN9rocsparseL19gebsrmvn_4xn_kernelILj128ELj3ELj32E21rocsparse_complex_numIdEEEvi20rocsparse_direction_NS_24const_host_device_scalarIT2_EEPKiS8_PKS5_SA_S6_PS5_21rocsparse_index_base_b.num_vgpr, 98
	.set _ZN9rocsparseL19gebsrmvn_4xn_kernelILj128ELj3ELj32E21rocsparse_complex_numIdEEEvi20rocsparse_direction_NS_24const_host_device_scalarIT2_EEPKiS8_PKS5_SA_S6_PS5_21rocsparse_index_base_b.num_agpr, 0
	.set _ZN9rocsparseL19gebsrmvn_4xn_kernelILj128ELj3ELj32E21rocsparse_complex_numIdEEEvi20rocsparse_direction_NS_24const_host_device_scalarIT2_EEPKiS8_PKS5_SA_S6_PS5_21rocsparse_index_base_b.numbered_sgpr, 16
	.set _ZN9rocsparseL19gebsrmvn_4xn_kernelILj128ELj3ELj32E21rocsparse_complex_numIdEEEvi20rocsparse_direction_NS_24const_host_device_scalarIT2_EEPKiS8_PKS5_SA_S6_PS5_21rocsparse_index_base_b.num_named_barrier, 0
	.set _ZN9rocsparseL19gebsrmvn_4xn_kernelILj128ELj3ELj32E21rocsparse_complex_numIdEEEvi20rocsparse_direction_NS_24const_host_device_scalarIT2_EEPKiS8_PKS5_SA_S6_PS5_21rocsparse_index_base_b.private_seg_size, 0
	.set _ZN9rocsparseL19gebsrmvn_4xn_kernelILj128ELj3ELj32E21rocsparse_complex_numIdEEEvi20rocsparse_direction_NS_24const_host_device_scalarIT2_EEPKiS8_PKS5_SA_S6_PS5_21rocsparse_index_base_b.uses_vcc, 1
	.set _ZN9rocsparseL19gebsrmvn_4xn_kernelILj128ELj3ELj32E21rocsparse_complex_numIdEEEvi20rocsparse_direction_NS_24const_host_device_scalarIT2_EEPKiS8_PKS5_SA_S6_PS5_21rocsparse_index_base_b.uses_flat_scratch, 0
	.set _ZN9rocsparseL19gebsrmvn_4xn_kernelILj128ELj3ELj32E21rocsparse_complex_numIdEEEvi20rocsparse_direction_NS_24const_host_device_scalarIT2_EEPKiS8_PKS5_SA_S6_PS5_21rocsparse_index_base_b.has_dyn_sized_stack, 0
	.set _ZN9rocsparseL19gebsrmvn_4xn_kernelILj128ELj3ELj32E21rocsparse_complex_numIdEEEvi20rocsparse_direction_NS_24const_host_device_scalarIT2_EEPKiS8_PKS5_SA_S6_PS5_21rocsparse_index_base_b.has_recursion, 0
	.set _ZN9rocsparseL19gebsrmvn_4xn_kernelILj128ELj3ELj32E21rocsparse_complex_numIdEEEvi20rocsparse_direction_NS_24const_host_device_scalarIT2_EEPKiS8_PKS5_SA_S6_PS5_21rocsparse_index_base_b.has_indirect_call, 0
	.section	.AMDGPU.csdata,"",@progbits
; Kernel info:
; codeLenInByte = 3048
; TotalNumSgprs: 22
; NumVgprs: 98
; NumAgprs: 0
; TotalNumVgprs: 98
; ScratchSize: 0
; MemoryBound: 0
; FloatMode: 240
; IeeeMode: 1
; LDSByteSize: 0 bytes/workgroup (compile time only)
; SGPRBlocks: 2
; VGPRBlocks: 12
; NumSGPRsForWavesPerEU: 22
; NumVGPRsForWavesPerEU: 98
; AccumOffset: 100
; Occupancy: 4
; WaveLimiterHint : 1
; COMPUTE_PGM_RSRC2:SCRATCH_EN: 0
; COMPUTE_PGM_RSRC2:USER_SGPR: 2
; COMPUTE_PGM_RSRC2:TRAP_HANDLER: 0
; COMPUTE_PGM_RSRC2:TGID_X_EN: 1
; COMPUTE_PGM_RSRC2:TGID_Y_EN: 0
; COMPUTE_PGM_RSRC2:TGID_Z_EN: 0
; COMPUTE_PGM_RSRC2:TIDIG_COMP_CNT: 0
; COMPUTE_PGM_RSRC3_GFX90A:ACCUM_OFFSET: 24
; COMPUTE_PGM_RSRC3_GFX90A:TG_SPLIT: 0
	.section	.text._ZN9rocsparseL19gebsrmvn_4xn_kernelILj128ELj3ELj64E21rocsparse_complex_numIdEEEvi20rocsparse_direction_NS_24const_host_device_scalarIT2_EEPKiS8_PKS5_SA_S6_PS5_21rocsparse_index_base_b,"axG",@progbits,_ZN9rocsparseL19gebsrmvn_4xn_kernelILj128ELj3ELj64E21rocsparse_complex_numIdEEEvi20rocsparse_direction_NS_24const_host_device_scalarIT2_EEPKiS8_PKS5_SA_S6_PS5_21rocsparse_index_base_b,comdat
	.globl	_ZN9rocsparseL19gebsrmvn_4xn_kernelILj128ELj3ELj64E21rocsparse_complex_numIdEEEvi20rocsparse_direction_NS_24const_host_device_scalarIT2_EEPKiS8_PKS5_SA_S6_PS5_21rocsparse_index_base_b ; -- Begin function _ZN9rocsparseL19gebsrmvn_4xn_kernelILj128ELj3ELj64E21rocsparse_complex_numIdEEEvi20rocsparse_direction_NS_24const_host_device_scalarIT2_EEPKiS8_PKS5_SA_S6_PS5_21rocsparse_index_base_b
	.p2align	8
	.type	_ZN9rocsparseL19gebsrmvn_4xn_kernelILj128ELj3ELj64E21rocsparse_complex_numIdEEEvi20rocsparse_direction_NS_24const_host_device_scalarIT2_EEPKiS8_PKS5_SA_S6_PS5_21rocsparse_index_base_b,@function
_ZN9rocsparseL19gebsrmvn_4xn_kernelILj128ELj3ELj64E21rocsparse_complex_numIdEEEvi20rocsparse_direction_NS_24const_host_device_scalarIT2_EEPKiS8_PKS5_SA_S6_PS5_21rocsparse_index_base_b: ; @_ZN9rocsparseL19gebsrmvn_4xn_kernelILj128ELj3ELj64E21rocsparse_complex_numIdEEEvi20rocsparse_direction_NS_24const_host_device_scalarIT2_EEPKiS8_PKS5_SA_S6_PS5_21rocsparse_index_base_b
; %bb.0:
	s_load_dwordx2 s[4:5], s[0:1], 0x8
	s_load_dwordx2 s[6:7], s[0:1], 0x38
	;; [unrolled: 1-line block ×3, first 2 shown]
	s_add_u32 s3, s0, 8
	s_addc_u32 s8, s1, 0
	s_add_u32 s9, s0, 56
	s_addc_u32 s10, s1, 0
	s_waitcnt lgkmcnt(0)
	s_bitcmp1_b32 s13, 0
	s_cselect_b32 s5, s8, s5
	s_cselect_b32 s3, s3, s4
	v_mov_b32_e32 v2, s3
	v_mov_b32_e32 v3, s5
	flat_load_dwordx4 v[2:5], v[2:3]
	s_cselect_b32 s3, s10, s7
	s_cselect_b32 s4, s9, s6
	v_mov_b32_e32 v6, s4
	v_mov_b32_e32 v7, s3
	flat_load_dwordx4 v[6:9], v[6:7]
	s_waitcnt vmcnt(0) lgkmcnt(0)
	v_cmp_eq_f64_e32 vcc, 0, v[2:3]
	v_cmp_eq_f64_e64 s[4:5], 0, v[4:5]
	s_and_b64 s[8:9], vcc, s[4:5]
	s_mov_b64 s[4:5], -1
	s_and_saveexec_b64 s[6:7], s[8:9]
; %bb.1:
	v_cmp_neq_f64_e32 vcc, 1.0, v[6:7]
	v_cmp_neq_f64_e64 s[4:5], 0, v[8:9]
	s_or_b64 s[4:5], vcc, s[4:5]
	s_orn2_b64 s[4:5], s[4:5], exec
; %bb.2:
	s_or_b64 exec, exec, s[6:7]
	s_and_saveexec_b64 s[6:7], s[4:5]
	s_cbranch_execz .LBB125_21
; %bb.3:
	s_load_dwordx2 s[14:15], s[0:1], 0x0
	v_lshrrev_b32_e32 v1, 6, v0
	v_lshl_or_b32 v10, s2, 1, v1
	s_waitcnt lgkmcnt(0)
	v_cmp_gt_i32_e32 vcc, s14, v10
	s_and_b64 exec, exec, vcc
	s_cbranch_execz .LBB125_21
; %bb.4:
	s_load_dwordx8 s[4:11], s[0:1], 0x18
	v_ashrrev_i32_e32 v11, 31, v10
	s_cmp_lg_u32 s15, 0
	s_waitcnt lgkmcnt(0)
	v_lshl_add_u64 v[12:13], v[10:11], 2, s[4:5]
	global_load_dwordx2 v[12:13], v[12:13], off
	v_and_b32_e32 v11, 63, v0
	s_waitcnt vmcnt(0)
	v_subrev_u32_e32 v0, s12, v12
	v_subrev_u32_e32 v32, s12, v13
	v_add_u32_e32 v22, v0, v11
	v_cmp_lt_i32_e64 s[2:3], v22, v32
	s_cbranch_scc0 .LBB125_10
; %bb.5:
	v_mov_b64_e32 v[18:19], 0
	v_mov_b64_e32 v[26:27], 0
	;; [unrolled: 1-line block ×8, first 2 shown]
	s_and_saveexec_b64 s[4:5], s[2:3]
	s_cbranch_execz .LBB125_9
; %bb.6:
	v_mul_lo_u32 v28, v22, 12
	v_mov_b64_e32 v[18:19], 0
	s_mov_b64 s[14:15], 0
	v_mov_b32_e32 v29, 0
	v_mov_b32_e32 v30, v22
	v_mov_b64_e32 v[26:27], 0
	v_mov_b64_e32 v[14:15], 0
	;; [unrolled: 1-line block ×7, first 2 shown]
.LBB125_7:                              ; =>This Inner Loop Header: Depth=1
	v_ashrrev_i32_e32 v31, 31, v30
	v_lshl_add_u64 v[34:35], v[30:31], 2, s[6:7]
	global_load_dword v23, v[34:35], off
	v_add_u32_e32 v52, 4, v28
	v_mov_b32_e32 v53, v29
	v_lshl_add_u64 v[50:51], v[28:29], 4, s[8:9]
	v_mov_b32_e32 v83, v29
	v_add_u32_e32 v54, 8, v28
	v_mov_b32_e32 v55, v29
	v_lshl_add_u64 v[84:85], v[52:53], 4, s[8:9]
	global_load_dwordx4 v[34:37], v[50:51], off offset:48
	global_load_dwordx4 v[38:41], v[50:51], off offset:32
	;; [unrolled: 1-line block ×3, first 2 shown]
	global_load_dwordx4 v[46:49], v[50:51], off
	v_lshl_add_u64 v[90:91], v[54:55], 4, s[8:9]
	global_load_dwordx4 v[50:53], v[84:85], off offset:48
	global_load_dwordx4 v[54:57], v[84:85], off offset:32
	;; [unrolled: 1-line block ×3, first 2 shown]
	global_load_dwordx4 v[62:65], v[84:85], off
	global_load_dwordx4 v[66:69], v[90:91], off offset:48
	global_load_dwordx4 v[70:73], v[90:91], off offset:32
	;; [unrolled: 1-line block ×3, first 2 shown]
	global_load_dwordx4 v[78:81], v[90:91], off
	v_mov_b32_e32 v87, v29
	v_mov_b32_e32 v89, v29
	v_add_u32_e32 v30, 64, v30
	v_cmp_ge_i32_e32 vcc, v30, v32
	v_add_u32_e32 v28, 0x300, v28
	s_or_b64 s[14:15], vcc, s[14:15]
	s_waitcnt vmcnt(12)
	v_subrev_u32_e32 v23, s12, v23
	v_lshl_add_u32 v82, v23, 1, v23
	v_lshl_add_u64 v[84:85], v[82:83], 4, s[10:11]
	v_add_u32_e32 v86, 1, v82
	v_add_u32_e32 v88, 2, v82
	global_load_dwordx4 v[82:85], v[84:85], off
	v_lshl_add_u64 v[94:95], v[86:87], 4, s[10:11]
	v_lshl_add_u64 v[96:97], v[88:89], 4, s[10:11]
	global_load_dwordx4 v[86:89], v[94:95], off
	global_load_dwordx4 v[90:93], v[96:97], off
	s_waitcnt vmcnt(2)
	v_fmac_f64_e32 v[26:27], v[46:47], v[82:83]
	v_fmac_f64_e32 v[18:19], v[48:49], v[82:83]
	v_fmac_f64_e32 v[24:25], v[42:43], v[82:83]
	v_fmac_f64_e32 v[16:17], v[44:45], v[82:83]
	v_fmac_f64_e32 v[20:21], v[38:39], v[82:83]
	v_fmac_f64_e32 v[12:13], v[40:41], v[82:83]
	v_fmac_f64_e32 v[14:15], v[34:35], v[82:83]
	v_fmac_f64_e32 v[0:1], v[36:37], v[82:83]
	v_fma_f64 v[26:27], -v[48:49], v[84:85], v[26:27]
	v_fmac_f64_e32 v[18:19], v[46:47], v[84:85]
	v_fma_f64 v[24:25], -v[44:45], v[84:85], v[24:25]
	v_fmac_f64_e32 v[16:17], v[42:43], v[84:85]
	v_fma_f64 v[20:21], -v[40:41], v[84:85], v[20:21]
	v_fmac_f64_e32 v[12:13], v[38:39], v[84:85]
	v_fma_f64 v[14:15], -v[36:37], v[84:85], v[14:15]
	v_fmac_f64_e32 v[0:1], v[34:35], v[84:85]
	s_waitcnt vmcnt(1)
	v_fmac_f64_e32 v[26:27], v[62:63], v[86:87]
	v_fmac_f64_e32 v[18:19], v[64:65], v[86:87]
	v_fmac_f64_e32 v[24:25], v[58:59], v[86:87]
	v_fmac_f64_e32 v[16:17], v[60:61], v[86:87]
	v_fmac_f64_e32 v[20:21], v[54:55], v[86:87]
	v_fmac_f64_e32 v[12:13], v[56:57], v[86:87]
	v_fmac_f64_e32 v[14:15], v[50:51], v[86:87]
	v_fmac_f64_e32 v[0:1], v[52:53], v[86:87]
	v_fma_f64 v[26:27], -v[64:65], v[88:89], v[26:27]
	v_fmac_f64_e32 v[18:19], v[62:63], v[88:89]
	v_fma_f64 v[24:25], -v[60:61], v[88:89], v[24:25]
	v_fmac_f64_e32 v[16:17], v[58:59], v[88:89]
	v_fma_f64 v[20:21], -v[56:57], v[88:89], v[20:21]
	v_fmac_f64_e32 v[12:13], v[54:55], v[88:89]
	v_fma_f64 v[14:15], -v[52:53], v[88:89], v[14:15]
	v_fmac_f64_e32 v[0:1], v[50:51], v[88:89]
	;; [unrolled: 17-line block ×3, first 2 shown]
	s_andn2_b64 exec, exec, s[14:15]
	s_cbranch_execnz .LBB125_7
; %bb.8:
	s_or_b64 exec, exec, s[14:15]
.LBB125_9:
	s_or_b64 exec, exec, s[4:5]
	s_cbranch_execz .LBB125_11
	s_branch .LBB125_16
.LBB125_10:
                                        ; implicit-def: $vgpr18_vgpr19
                                        ; implicit-def: $vgpr26_vgpr27
                                        ; implicit-def: $vgpr14_vgpr15
                                        ; implicit-def: $vgpr0_vgpr1
                                        ; implicit-def: $vgpr20_vgpr21
                                        ; implicit-def: $vgpr12_vgpr13
                                        ; implicit-def: $vgpr24_vgpr25
                                        ; implicit-def: $vgpr16_vgpr17
.LBB125_11:
	v_mov_b64_e32 v[18:19], 0
	v_mov_b64_e32 v[26:27], 0
	v_mov_b64_e32 v[14:15], 0
	v_mov_b64_e32 v[0:1], 0
	v_mov_b64_e32 v[20:21], 0
	v_mov_b64_e32 v[12:13], 0
	v_mov_b64_e32 v[24:25], 0
	v_mov_b64_e32 v[16:17], 0
	s_and_saveexec_b64 s[4:5], s[2:3]
	s_cbranch_execz .LBB125_15
; %bb.12:
	v_mad_u64_u32 v[28:29], s[2:3], v22, 12, 11
	v_mov_b64_e32 v[18:19], 0
	s_mov_b64 s[2:3], 0
	v_mov_b32_e32 v31, 0
	v_mov_b64_e32 v[26:27], 0
	v_mov_b64_e32 v[14:15], 0
	v_mov_b64_e32 v[0:1], 0
	v_mov_b64_e32 v[20:21], 0
	v_mov_b64_e32 v[12:13], 0
	v_mov_b64_e32 v[24:25], 0
	v_mov_b64_e32 v[16:17], 0
.LBB125_13:                             ; =>This Inner Loop Header: Depth=1
	v_ashrrev_i32_e32 v23, 31, v22
	v_add_u32_e32 v30, -11, v28
	v_add_u32_e32 v34, -5, v28
	;; [unrolled: 1-line block ×3, first 2 shown]
	v_mov_b32_e32 v35, v31
	v_mov_b32_e32 v37, v31
	;; [unrolled: 1-line block ×3, first 2 shown]
	v_lshl_add_u64 v[62:63], v[22:23], 2, s[6:7]
	v_lshl_add_u64 v[64:65], v[30:31], 4, s[8:9]
	;; [unrolled: 1-line block ×5, first 2 shown]
	global_load_dword v23, v[62:63], off
	global_load_dwordx4 v[34:37], v[64:65], off offset:48
	global_load_dwordx4 v[38:41], v[64:65], off offset:32
	;; [unrolled: 1-line block ×3, first 2 shown]
	global_load_dwordx4 v[46:49], v[64:65], off
	global_load_dwordx4 v[50:53], v[66:67], off
	;; [unrolled: 1-line block ×4, first 2 shown]
	v_mov_b32_e32 v79, v31
	v_add_u32_e32 v22, 64, v22
	v_cmp_ge_i32_e32 vcc, v22, v32
	s_or_b64 s[2:3], vcc, s[2:3]
	s_waitcnt vmcnt(7)
	v_subrev_u32_e32 v23, s12, v23
	v_lshl_add_u32 v78, v23, 1, v23
	v_lshl_add_u64 v[62:63], v[78:79], 4, s[10:11]
	global_load_dwordx4 v[62:65], v[62:63], off
	v_add_u32_e32 v30, 1, v78
	v_lshl_add_u64 v[66:67], v[30:31], 4, s[10:11]
	v_add_u32_e32 v30, -7, v28
	v_lshl_add_u64 v[70:71], v[30:31], 4, s[8:9]
	v_add_u32_e32 v30, -4, v28
	;; [unrolled: 2-line block ×3, first 2 shown]
	v_lshl_add_u64 v[80:81], v[30:31], 4, s[8:9]
	v_add_u32_e32 v30, 2, v78
	global_load_dwordx4 v[66:69], v[66:67], off
	v_lshl_add_u64 v[82:83], v[30:31], 4, s[10:11]
	v_add_u32_e32 v30, -6, v28
	global_load_dwordx4 v[70:73], v[70:71], off
	s_waitcnt vmcnt(2)
	v_fmac_f64_e32 v[18:19], v[48:49], v[62:63]
	global_load_dwordx4 v[74:77], v[74:75], off
	v_fmac_f64_e32 v[26:27], v[46:47], v[62:63]
	global_load_dwordx4 v[78:81], v[80:81], off
	v_fmac_f64_e32 v[18:19], v[46:47], v[64:65]
	v_lshl_add_u64 v[46:47], v[30:31], 4, s[8:9]
	v_add_u32_e32 v30, -3, v28
	v_fmac_f64_e32 v[16:17], v[36:37], v[62:63]
	v_fmac_f64_e32 v[24:25], v[34:35], v[62:63]
	;; [unrolled: 1-line block ×3, first 2 shown]
	v_lshl_add_u64 v[34:35], v[30:31], 4, s[8:9]
	global_load_dwordx4 v[82:85], v[82:83], off
	v_fma_f64 v[26:27], -v[48:49], v[64:65], v[26:27]
	global_load_dwordx4 v[46:49], v[46:47], off
	v_fma_f64 v[24:25], -v[36:37], v[64:65], v[24:25]
	global_load_dwordx4 v[34:37], v[34:35], off
	v_fmac_f64_e32 v[20:21], v[50:51], v[62:63]
	v_fmac_f64_e32 v[12:13], v[52:53], v[62:63]
	;; [unrolled: 1-line block ×4, first 2 shown]
	v_fma_f64 v[20:21], -v[52:53], v[64:65], v[20:21]
	v_fmac_f64_e32 v[12:13], v[50:51], v[64:65]
	v_fma_f64 v[14:15], -v[56:57], v[64:65], v[14:15]
	v_fmac_f64_e32 v[0:1], v[54:55], v[64:65]
	s_waitcnt vmcnt(6)
	v_fmac_f64_e32 v[26:27], v[42:43], v[66:67]
	v_fmac_f64_e32 v[18:19], v[44:45], v[66:67]
	s_waitcnt vmcnt(5)
	v_fmac_f64_e32 v[24:25], v[70:71], v[66:67]
	v_fmac_f64_e32 v[16:17], v[72:73], v[66:67]
	v_fma_f64 v[26:27], -v[44:45], v[68:69], v[26:27]
	v_fmac_f64_e32 v[18:19], v[42:43], v[68:69]
	v_fma_f64 v[24:25], -v[72:73], v[68:69], v[24:25]
	v_fmac_f64_e32 v[16:17], v[70:71], v[68:69]
	v_add_u32_e32 v28, 0x300, v28
	s_waitcnt vmcnt(4)
	v_fmac_f64_e32 v[20:21], v[74:75], v[66:67]
	v_fmac_f64_e32 v[12:13], v[76:77], v[66:67]
	s_waitcnt vmcnt(3)
	v_fmac_f64_e32 v[14:15], v[78:79], v[66:67]
	v_fmac_f64_e32 v[0:1], v[80:81], v[66:67]
	v_fma_f64 v[20:21], -v[76:77], v[68:69], v[20:21]
	v_fmac_f64_e32 v[12:13], v[74:75], v[68:69]
	v_fma_f64 v[14:15], -v[80:81], v[68:69], v[14:15]
	v_fmac_f64_e32 v[0:1], v[78:79], v[68:69]
	s_waitcnt vmcnt(2)
	v_fmac_f64_e32 v[26:27], v[38:39], v[82:83]
	v_fmac_f64_e32 v[18:19], v[40:41], v[82:83]
	s_waitcnt vmcnt(1)
	v_fmac_f64_e32 v[24:25], v[46:47], v[82:83]
	v_fmac_f64_e32 v[16:17], v[48:49], v[82:83]
	;; [unrolled: 1-line block ×4, first 2 shown]
	s_waitcnt vmcnt(0)
	v_fmac_f64_e32 v[20:21], v[34:35], v[82:83]
	v_fmac_f64_e32 v[12:13], v[36:37], v[82:83]
	v_fma_f64 v[26:27], -v[40:41], v[84:85], v[26:27]
	v_fmac_f64_e32 v[18:19], v[38:39], v[84:85]
	v_fma_f64 v[24:25], -v[48:49], v[84:85], v[24:25]
	;; [unrolled: 2-line block ×4, first 2 shown]
	v_fmac_f64_e32 v[12:13], v[34:35], v[84:85]
	s_andn2_b64 exec, exec, s[2:3]
	s_cbranch_execnz .LBB125_13
; %bb.14:
	s_or_b64 exec, exec, s[2:3]
.LBB125_15:
	s_or_b64 exec, exec, s[4:5]
.LBB125_16:
	v_mov_b32_dpp v34, v20 row_shr:1 row_mask:0xf bank_mask:0xf
	v_mov_b32_dpp v35, v21 row_shr:1 row_mask:0xf bank_mask:0xf
	v_add_f64 v[20:21], v[20:21], v[34:35]
	v_mov_b32_dpp v22, v26 row_shr:1 row_mask:0xf bank_mask:0xf
	v_mov_b32_dpp v23, v27 row_shr:1 row_mask:0xf bank_mask:0xf
	v_mov_b32_dpp v34, v20 row_shr:2 row_mask:0xf bank_mask:0xf
	v_mov_b32_dpp v35, v21 row_shr:2 row_mask:0xf bank_mask:0xf
	v_add_f64 v[20:21], v[20:21], v[34:35]
	v_mov_b32_dpp v28, v18 row_shr:1 row_mask:0xf bank_mask:0xf
	v_mov_b32_dpp v29, v19 row_shr:1 row_mask:0xf bank_mask:0xf
	;; [unrolled: 5-line block ×4, first 2 shown]
	v_mov_b32_dpp v34, v20 row_bcast:15 row_mask:0xa bank_mask:0xf
	v_mov_b32_dpp v35, v21 row_bcast:15 row_mask:0xa bank_mask:0xf
	v_add_f64 v[34:35], v[20:21], v[34:35]
	v_mov_b32_dpp v20, v12 row_shr:1 row_mask:0xf bank_mask:0xf
	v_mov_b32_dpp v21, v13 row_shr:1 row_mask:0xf bank_mask:0xf
	v_add_f64 v[12:13], v[12:13], v[20:21]
	v_add_f64 v[22:23], v[26:27], v[22:23]
	;; [unrolled: 1-line block ×3, first 2 shown]
	v_mov_b32_dpp v20, v12 row_shr:2 row_mask:0xf bank_mask:0xf
	v_mov_b32_dpp v21, v13 row_shr:2 row_mask:0xf bank_mask:0xf
	v_add_f64 v[12:13], v[12:13], v[20:21]
	v_add_f64 v[24:25], v[24:25], v[30:31]
	;; [unrolled: 1-line block ×3, first 2 shown]
	v_mov_b32_dpp v20, v12 row_shr:4 row_mask:0xf bank_mask:0xe
	v_mov_b32_dpp v21, v13 row_shr:4 row_mask:0xf bank_mask:0xe
	v_add_f64 v[12:13], v[12:13], v[20:21]
	v_mov_b32_dpp v26, v22 row_shr:2 row_mask:0xf bank_mask:0xf
	v_mov_b32_dpp v27, v23 row_shr:2 row_mask:0xf bank_mask:0xf
	;; [unrolled: 1-line block ×4, first 2 shown]
	v_add_f64 v[12:13], v[12:13], v[20:21]
	v_mov_b32_dpp v28, v18 row_shr:2 row_mask:0xf bank_mask:0xf
	v_mov_b32_dpp v29, v19 row_shr:2 row_mask:0xf bank_mask:0xf
	v_mov_b32_dpp v20, v12 row_bcast:15 row_mask:0xa bank_mask:0xf
	v_mov_b32_dpp v21, v13 row_bcast:15 row_mask:0xa bank_mask:0xf
	v_add_f64 v[38:39], v[12:13], v[20:21]
	v_mov_b32_dpp v12, v14 row_shr:1 row_mask:0xf bank_mask:0xf
	v_mov_b32_dpp v13, v15 row_shr:1 row_mask:0xf bank_mask:0xf
	v_add_f64 v[12:13], v[14:15], v[12:13]
	v_mov_b32_dpp v30, v24 row_shr:2 row_mask:0xf bank_mask:0xf
	v_mov_b32_dpp v31, v25 row_shr:2 row_mask:0xf bank_mask:0xf
	;; [unrolled: 1-line block ×4, first 2 shown]
	v_add_f64 v[12:13], v[12:13], v[14:15]
	v_mov_b32_dpp v32, v16 row_shr:2 row_mask:0xf bank_mask:0xf
	v_mov_b32_dpp v33, v17 row_shr:2 row_mask:0xf bank_mask:0xf
	;; [unrolled: 1-line block ×4, first 2 shown]
	v_add_f64 v[12:13], v[12:13], v[14:15]
	v_add_f64 v[22:23], v[22:23], v[26:27]
	;; [unrolled: 1-line block ×3, first 2 shown]
	v_mov_b32_dpp v14, v12 row_shr:8 row_mask:0xf bank_mask:0xc
	v_mov_b32_dpp v15, v13 row_shr:8 row_mask:0xf bank_mask:0xc
	v_add_f64 v[12:13], v[12:13], v[14:15]
	v_add_f64 v[24:25], v[24:25], v[30:31]
	;; [unrolled: 1-line block ×3, first 2 shown]
	v_mov_b32_dpp v14, v12 row_bcast:15 row_mask:0xa bank_mask:0xf
	v_mov_b32_dpp v15, v13 row_bcast:15 row_mask:0xa bank_mask:0xf
	v_add_f64 v[42:43], v[12:13], v[14:15]
	v_mov_b32_dpp v12, v0 row_shr:1 row_mask:0xf bank_mask:0xf
	v_mov_b32_dpp v13, v1 row_shr:1 row_mask:0xf bank_mask:0xf
	v_add_f64 v[0:1], v[0:1], v[12:13]
	v_mov_b32_dpp v26, v22 row_shr:4 row_mask:0xf bank_mask:0xe
	v_mov_b32_dpp v27, v23 row_shr:4 row_mask:0xf bank_mask:0xe
	;; [unrolled: 1-line block ×4, first 2 shown]
	v_add_f64 v[0:1], v[0:1], v[12:13]
	v_mov_b32_dpp v28, v18 row_shr:4 row_mask:0xf bank_mask:0xe
	v_mov_b32_dpp v29, v19 row_shr:4 row_mask:0xf bank_mask:0xe
	;; [unrolled: 1-line block ×8, first 2 shown]
	v_add_f64 v[22:23], v[22:23], v[26:27]
	v_add_f64 v[18:19], v[18:19], v[28:29]
	;; [unrolled: 1-line block ×5, first 2 shown]
	v_mov_b32_dpp v26, v22 row_shr:8 row_mask:0xf bank_mask:0xc
	v_mov_b32_dpp v27, v23 row_shr:8 row_mask:0xf bank_mask:0xc
	;; [unrolled: 1-line block ×10, first 2 shown]
	v_add_f64 v[22:23], v[22:23], v[26:27]
	v_add_f64 v[18:19], v[18:19], v[28:29]
	;; [unrolled: 1-line block ×5, first 2 shown]
	v_mov_b32_dpp v26, v22 row_bcast:15 row_mask:0xa bank_mask:0xf
	v_mov_b32_dpp v27, v23 row_bcast:15 row_mask:0xa bank_mask:0xf
	;; [unrolled: 1-line block ×10, first 2 shown]
	v_add_f64 v[22:23], v[22:23], v[26:27]
	v_add_f64 v[18:19], v[18:19], v[28:29]
	;; [unrolled: 1-line block ×5, first 2 shown]
	v_mov_b32_dpp v26, v22 row_bcast:31 row_mask:0xc bank_mask:0xf
	v_mov_b32_dpp v27, v23 row_bcast:31 row_mask:0xc bank_mask:0xf
	;; [unrolled: 1-line block ×16, first 2 shown]
	v_cmp_eq_u32_e32 vcc, 63, v11
	s_and_b64 exec, exec, vcc
	s_cbranch_execz .LBB125_21
; %bb.17:
	s_load_dwordx2 s[2:3], s[0:1], 0x48
	v_cmp_eq_f64_e32 vcc, 0, v[6:7]
	v_cmp_eq_f64_e64 s[0:1], 0, v[8:9]
	v_add_f64 v[20:21], v[22:23], v[26:27]
	v_add_f64 v[26:27], v[18:19], v[28:29]
	;; [unrolled: 1-line block ×8, first 2 shown]
	s_and_b64 s[0:1], vcc, s[0:1]
	s_and_saveexec_b64 s[4:5], s[0:1]
	s_xor_b64 s[0:1], exec, s[4:5]
	s_cbranch_execz .LBB125_19
; %bb.18:
	v_lshlrev_b32_e32 v10, 2, v10
	v_mul_f64 v[6:7], v[26:27], -v[4:5]
	v_mul_f64 v[8:9], v[2:3], v[26:27]
	v_ashrrev_i32_e32 v11, 31, v10
	v_fmac_f64_e32 v[6:7], v[2:3], v[20:21]
	v_fmac_f64_e32 v[8:9], v[4:5], v[20:21]
	s_waitcnt lgkmcnt(0)
	v_lshl_add_u64 v[10:11], v[10:11], 4, s[2:3]
	global_store_dwordx4 v[10:11], v[6:9], off
                                        ; implicit-def: $vgpr20_vgpr21
                                        ; implicit-def: $vgpr26_vgpr27
	s_nop 1
	v_mul_f64 v[6:7], v[22:23], -v[4:5]
	v_mul_f64 v[8:9], v[2:3], v[22:23]
	v_fmac_f64_e32 v[6:7], v[2:3], v[14:15]
	v_fmac_f64_e32 v[8:9], v[4:5], v[14:15]
	global_store_dwordx4 v[10:11], v[6:9], off offset:16
                                        ; implicit-def: $vgpr14_vgpr15
                                        ; implicit-def: $vgpr22_vgpr23
	s_nop 1
	v_mul_f64 v[6:7], v[18:19], -v[4:5]
	v_mul_f64 v[8:9], v[2:3], v[18:19]
	v_fmac_f64_e32 v[6:7], v[2:3], v[12:13]
	v_fmac_f64_e32 v[8:9], v[4:5], v[12:13]
	global_store_dwordx4 v[10:11], v[6:9], off offset:32
                                        ; implicit-def: $vgpr12_vgpr13
                                        ; implicit-def: $vgpr18_vgpr19
	s_nop 1
	v_mul_f64 v[6:7], v[16:17], -v[4:5]
	v_mul_f64 v[8:9], v[2:3], v[16:17]
	v_fmac_f64_e32 v[6:7], v[2:3], v[0:1]
	v_fmac_f64_e32 v[8:9], v[4:5], v[0:1]
	global_store_dwordx4 v[10:11], v[6:9], off offset:48
                                        ; implicit-def: $vgpr10
                                        ; implicit-def: $vgpr0_vgpr1
                                        ; implicit-def: $vgpr16_vgpr17
                                        ; implicit-def: $vgpr8_vgpr9
                                        ; implicit-def: $vgpr4_vgpr5
.LBB125_19:
	s_andn2_saveexec_b64 s[0:1], s[0:1]
	s_cbranch_execz .LBB125_21
; %bb.20:
	v_lshlrev_b32_e32 v10, 2, v10
	v_ashrrev_i32_e32 v11, 31, v10
	s_waitcnt lgkmcnt(0)
	v_lshl_add_u64 v[48:49], v[10:11], 4, s[2:3]
	global_load_dwordx4 v[28:31], v[48:49], off
	global_load_dwordx4 v[32:35], v[48:49], off offset:16
	global_load_dwordx4 v[36:39], v[48:49], off offset:32
	;; [unrolled: 1-line block ×3, first 2 shown]
	v_mul_f64 v[44:45], v[26:27], -v[4:5]
	v_mul_f64 v[24:25], v[2:3], v[26:27]
	v_mul_f64 v[26:27], v[22:23], -v[4:5]
	v_mul_f64 v[46:47], v[2:3], v[22:23]
	;; [unrolled: 2-line block ×4, first 2 shown]
	v_fmac_f64_e32 v[44:45], v[2:3], v[20:21]
	v_fmac_f64_e32 v[24:25], v[4:5], v[20:21]
	;; [unrolled: 1-line block ×8, first 2 shown]
	s_waitcnt vmcnt(3)
	v_fmac_f64_e32 v[44:45], v[6:7], v[28:29]
	v_fmac_f64_e32 v[24:25], v[8:9], v[28:29]
	s_waitcnt vmcnt(2)
	v_fmac_f64_e32 v[26:27], v[6:7], v[32:33]
	v_fmac_f64_e32 v[46:47], v[8:9], v[32:33]
	;; [unrolled: 3-line block ×4, first 2 shown]
	v_fma_f64 v[22:23], -v[8:9], v[30:31], v[44:45]
	v_fmac_f64_e32 v[24:25], v[6:7], v[30:31]
	v_fma_f64 v[44:45], -v[8:9], v[34:35], v[26:27]
	v_fmac_f64_e32 v[46:47], v[6:7], v[34:35]
	v_fma_f64 v[16:17], -v[8:9], v[38:39], v[50:51]
	v_fmac_f64_e32 v[18:19], v[6:7], v[38:39]
	v_fma_f64 v[8:9], -v[8:9], v[42:43], v[52:53]
	v_fmac_f64_e32 v[10:11], v[6:7], v[42:43]
	global_store_dwordx4 v[48:49], v[22:25], off
	global_store_dwordx4 v[48:49], v[44:47], off offset:16
	global_store_dwordx4 v[48:49], v[16:19], off offset:32
	;; [unrolled: 1-line block ×3, first 2 shown]
.LBB125_21:
	s_endpgm
	.section	.rodata,"a",@progbits
	.p2align	6, 0x0
	.amdhsa_kernel _ZN9rocsparseL19gebsrmvn_4xn_kernelILj128ELj3ELj64E21rocsparse_complex_numIdEEEvi20rocsparse_direction_NS_24const_host_device_scalarIT2_EEPKiS8_PKS5_SA_S6_PS5_21rocsparse_index_base_b
		.amdhsa_group_segment_fixed_size 0
		.amdhsa_private_segment_fixed_size 0
		.amdhsa_kernarg_size 88
		.amdhsa_user_sgpr_count 2
		.amdhsa_user_sgpr_dispatch_ptr 0
		.amdhsa_user_sgpr_queue_ptr 0
		.amdhsa_user_sgpr_kernarg_segment_ptr 1
		.amdhsa_user_sgpr_dispatch_id 0
		.amdhsa_user_sgpr_kernarg_preload_length 0
		.amdhsa_user_sgpr_kernarg_preload_offset 0
		.amdhsa_user_sgpr_private_segment_size 0
		.amdhsa_uses_dynamic_stack 0
		.amdhsa_enable_private_segment 0
		.amdhsa_system_sgpr_workgroup_id_x 1
		.amdhsa_system_sgpr_workgroup_id_y 0
		.amdhsa_system_sgpr_workgroup_id_z 0
		.amdhsa_system_sgpr_workgroup_info 0
		.amdhsa_system_vgpr_workitem_id 0
		.amdhsa_next_free_vgpr 98
		.amdhsa_next_free_sgpr 16
		.amdhsa_accum_offset 100
		.amdhsa_reserve_vcc 1
		.amdhsa_float_round_mode_32 0
		.amdhsa_float_round_mode_16_64 0
		.amdhsa_float_denorm_mode_32 3
		.amdhsa_float_denorm_mode_16_64 3
		.amdhsa_dx10_clamp 1
		.amdhsa_ieee_mode 1
		.amdhsa_fp16_overflow 0
		.amdhsa_tg_split 0
		.amdhsa_exception_fp_ieee_invalid_op 0
		.amdhsa_exception_fp_denorm_src 0
		.amdhsa_exception_fp_ieee_div_zero 0
		.amdhsa_exception_fp_ieee_overflow 0
		.amdhsa_exception_fp_ieee_underflow 0
		.amdhsa_exception_fp_ieee_inexact 0
		.amdhsa_exception_int_div_zero 0
	.end_amdhsa_kernel
	.section	.text._ZN9rocsparseL19gebsrmvn_4xn_kernelILj128ELj3ELj64E21rocsparse_complex_numIdEEEvi20rocsparse_direction_NS_24const_host_device_scalarIT2_EEPKiS8_PKS5_SA_S6_PS5_21rocsparse_index_base_b,"axG",@progbits,_ZN9rocsparseL19gebsrmvn_4xn_kernelILj128ELj3ELj64E21rocsparse_complex_numIdEEEvi20rocsparse_direction_NS_24const_host_device_scalarIT2_EEPKiS8_PKS5_SA_S6_PS5_21rocsparse_index_base_b,comdat
.Lfunc_end125:
	.size	_ZN9rocsparseL19gebsrmvn_4xn_kernelILj128ELj3ELj64E21rocsparse_complex_numIdEEEvi20rocsparse_direction_NS_24const_host_device_scalarIT2_EEPKiS8_PKS5_SA_S6_PS5_21rocsparse_index_base_b, .Lfunc_end125-_ZN9rocsparseL19gebsrmvn_4xn_kernelILj128ELj3ELj64E21rocsparse_complex_numIdEEEvi20rocsparse_direction_NS_24const_host_device_scalarIT2_EEPKiS8_PKS5_SA_S6_PS5_21rocsparse_index_base_b
                                        ; -- End function
	.set _ZN9rocsparseL19gebsrmvn_4xn_kernelILj128ELj3ELj64E21rocsparse_complex_numIdEEEvi20rocsparse_direction_NS_24const_host_device_scalarIT2_EEPKiS8_PKS5_SA_S6_PS5_21rocsparse_index_base_b.num_vgpr, 98
	.set _ZN9rocsparseL19gebsrmvn_4xn_kernelILj128ELj3ELj64E21rocsparse_complex_numIdEEEvi20rocsparse_direction_NS_24const_host_device_scalarIT2_EEPKiS8_PKS5_SA_S6_PS5_21rocsparse_index_base_b.num_agpr, 0
	.set _ZN9rocsparseL19gebsrmvn_4xn_kernelILj128ELj3ELj64E21rocsparse_complex_numIdEEEvi20rocsparse_direction_NS_24const_host_device_scalarIT2_EEPKiS8_PKS5_SA_S6_PS5_21rocsparse_index_base_b.numbered_sgpr, 16
	.set _ZN9rocsparseL19gebsrmvn_4xn_kernelILj128ELj3ELj64E21rocsparse_complex_numIdEEEvi20rocsparse_direction_NS_24const_host_device_scalarIT2_EEPKiS8_PKS5_SA_S6_PS5_21rocsparse_index_base_b.num_named_barrier, 0
	.set _ZN9rocsparseL19gebsrmvn_4xn_kernelILj128ELj3ELj64E21rocsparse_complex_numIdEEEvi20rocsparse_direction_NS_24const_host_device_scalarIT2_EEPKiS8_PKS5_SA_S6_PS5_21rocsparse_index_base_b.private_seg_size, 0
	.set _ZN9rocsparseL19gebsrmvn_4xn_kernelILj128ELj3ELj64E21rocsparse_complex_numIdEEEvi20rocsparse_direction_NS_24const_host_device_scalarIT2_EEPKiS8_PKS5_SA_S6_PS5_21rocsparse_index_base_b.uses_vcc, 1
	.set _ZN9rocsparseL19gebsrmvn_4xn_kernelILj128ELj3ELj64E21rocsparse_complex_numIdEEEvi20rocsparse_direction_NS_24const_host_device_scalarIT2_EEPKiS8_PKS5_SA_S6_PS5_21rocsparse_index_base_b.uses_flat_scratch, 0
	.set _ZN9rocsparseL19gebsrmvn_4xn_kernelILj128ELj3ELj64E21rocsparse_complex_numIdEEEvi20rocsparse_direction_NS_24const_host_device_scalarIT2_EEPKiS8_PKS5_SA_S6_PS5_21rocsparse_index_base_b.has_dyn_sized_stack, 0
	.set _ZN9rocsparseL19gebsrmvn_4xn_kernelILj128ELj3ELj64E21rocsparse_complex_numIdEEEvi20rocsparse_direction_NS_24const_host_device_scalarIT2_EEPKiS8_PKS5_SA_S6_PS5_21rocsparse_index_base_b.has_recursion, 0
	.set _ZN9rocsparseL19gebsrmvn_4xn_kernelILj128ELj3ELj64E21rocsparse_complex_numIdEEEvi20rocsparse_direction_NS_24const_host_device_scalarIT2_EEPKiS8_PKS5_SA_S6_PS5_21rocsparse_index_base_b.has_indirect_call, 0
	.section	.AMDGPU.csdata,"",@progbits
; Kernel info:
; codeLenInByte = 3240
; TotalNumSgprs: 22
; NumVgprs: 98
; NumAgprs: 0
; TotalNumVgprs: 98
; ScratchSize: 0
; MemoryBound: 0
; FloatMode: 240
; IeeeMode: 1
; LDSByteSize: 0 bytes/workgroup (compile time only)
; SGPRBlocks: 2
; VGPRBlocks: 12
; NumSGPRsForWavesPerEU: 22
; NumVGPRsForWavesPerEU: 98
; AccumOffset: 100
; Occupancy: 4
; WaveLimiterHint : 1
; COMPUTE_PGM_RSRC2:SCRATCH_EN: 0
; COMPUTE_PGM_RSRC2:USER_SGPR: 2
; COMPUTE_PGM_RSRC2:TRAP_HANDLER: 0
; COMPUTE_PGM_RSRC2:TGID_X_EN: 1
; COMPUTE_PGM_RSRC2:TGID_Y_EN: 0
; COMPUTE_PGM_RSRC2:TGID_Z_EN: 0
; COMPUTE_PGM_RSRC2:TIDIG_COMP_CNT: 0
; COMPUTE_PGM_RSRC3_GFX90A:ACCUM_OFFSET: 24
; COMPUTE_PGM_RSRC3_GFX90A:TG_SPLIT: 0
	.section	.text._ZN9rocsparseL19gebsrmvn_4xn_kernelILj128ELj5ELj4E21rocsparse_complex_numIdEEEvi20rocsparse_direction_NS_24const_host_device_scalarIT2_EEPKiS8_PKS5_SA_S6_PS5_21rocsparse_index_base_b,"axG",@progbits,_ZN9rocsparseL19gebsrmvn_4xn_kernelILj128ELj5ELj4E21rocsparse_complex_numIdEEEvi20rocsparse_direction_NS_24const_host_device_scalarIT2_EEPKiS8_PKS5_SA_S6_PS5_21rocsparse_index_base_b,comdat
	.globl	_ZN9rocsparseL19gebsrmvn_4xn_kernelILj128ELj5ELj4E21rocsparse_complex_numIdEEEvi20rocsparse_direction_NS_24const_host_device_scalarIT2_EEPKiS8_PKS5_SA_S6_PS5_21rocsparse_index_base_b ; -- Begin function _ZN9rocsparseL19gebsrmvn_4xn_kernelILj128ELj5ELj4E21rocsparse_complex_numIdEEEvi20rocsparse_direction_NS_24const_host_device_scalarIT2_EEPKiS8_PKS5_SA_S6_PS5_21rocsparse_index_base_b
	.p2align	8
	.type	_ZN9rocsparseL19gebsrmvn_4xn_kernelILj128ELj5ELj4E21rocsparse_complex_numIdEEEvi20rocsparse_direction_NS_24const_host_device_scalarIT2_EEPKiS8_PKS5_SA_S6_PS5_21rocsparse_index_base_b,@function
_ZN9rocsparseL19gebsrmvn_4xn_kernelILj128ELj5ELj4E21rocsparse_complex_numIdEEEvi20rocsparse_direction_NS_24const_host_device_scalarIT2_EEPKiS8_PKS5_SA_S6_PS5_21rocsparse_index_base_b: ; @_ZN9rocsparseL19gebsrmvn_4xn_kernelILj128ELj5ELj4E21rocsparse_complex_numIdEEEvi20rocsparse_direction_NS_24const_host_device_scalarIT2_EEPKiS8_PKS5_SA_S6_PS5_21rocsparse_index_base_b
; %bb.0:
	s_load_dwordx2 s[4:5], s[0:1], 0x8
	s_load_dwordx2 s[6:7], s[0:1], 0x38
	;; [unrolled: 1-line block ×3, first 2 shown]
	s_add_u32 s3, s0, 8
	s_addc_u32 s8, s1, 0
	s_add_u32 s9, s0, 56
	s_addc_u32 s10, s1, 0
	s_waitcnt lgkmcnt(0)
	s_bitcmp1_b32 s13, 0
	s_cselect_b32 s5, s8, s5
	s_cselect_b32 s3, s3, s4
	v_mov_b32_e32 v2, s3
	v_mov_b32_e32 v3, s5
	flat_load_dwordx4 v[2:5], v[2:3]
	s_cselect_b32 s3, s10, s7
	s_cselect_b32 s4, s9, s6
	v_mov_b32_e32 v6, s4
	v_mov_b32_e32 v7, s3
	flat_load_dwordx4 v[6:9], v[6:7]
	s_waitcnt vmcnt(0) lgkmcnt(0)
	v_cmp_eq_f64_e32 vcc, 0, v[2:3]
	v_cmp_eq_f64_e64 s[4:5], 0, v[4:5]
	s_and_b64 s[8:9], vcc, s[4:5]
	s_mov_b64 s[4:5], -1
	s_and_saveexec_b64 s[6:7], s[8:9]
; %bb.1:
	v_cmp_neq_f64_e32 vcc, 1.0, v[6:7]
	v_cmp_neq_f64_e64 s[4:5], 0, v[8:9]
	s_or_b64 s[4:5], vcc, s[4:5]
	s_orn2_b64 s[4:5], s[4:5], exec
; %bb.2:
	s_or_b64 exec, exec, s[6:7]
	s_and_saveexec_b64 s[6:7], s[4:5]
	s_cbranch_execz .LBB126_21
; %bb.3:
	s_load_dwordx2 s[14:15], s[0:1], 0x0
	v_lshrrev_b32_e32 v1, 2, v0
	v_lshl_or_b32 v22, s2, 5, v1
	s_waitcnt lgkmcnt(0)
	v_cmp_gt_i32_e32 vcc, s14, v22
	s_and_b64 exec, exec, vcc
	s_cbranch_execz .LBB126_21
; %bb.4:
	s_load_dwordx8 s[4:11], s[0:1], 0x18
	v_ashrrev_i32_e32 v23, 31, v22
	s_cmp_lg_u32 s15, 0
	s_waitcnt lgkmcnt(0)
	v_lshl_add_u64 v[10:11], v[22:23], 2, s[4:5]
	global_load_dwordx2 v[10:11], v[10:11], off
	v_and_b32_e32 v23, 3, v0
	s_waitcnt vmcnt(0)
	v_subrev_u32_e32 v0, s12, v10
	v_subrev_u32_e32 v48, s12, v11
	v_add_u32_e32 v30, v0, v23
	v_cmp_lt_i32_e64 s[2:3], v30, v48
	s_cbranch_scc0 .LBB126_10
; %bb.5:
	v_mov_b64_e32 v[24:25], 0
	v_mov_b64_e32 v[38:39], 0
	;; [unrolled: 1-line block ×8, first 2 shown]
	s_and_saveexec_b64 s[4:5], s[2:3]
	s_cbranch_execz .LBB126_9
; %bb.6:
	v_mad_u64_u32 v[40:41], s[14:15], v30, 20, 16
	v_mov_b64_e32 v[24:25], 0
	s_mov_b64 s[14:15], 0
	v_mov_b32_e32 v43, 0
	v_mov_b32_e32 v44, v30
	v_mov_b64_e32 v[38:39], 0
	v_mov_b64_e32 v[32:33], 0
	;; [unrolled: 1-line block ×7, first 2 shown]
.LBB126_7:                              ; =>This Inner Loop Header: Depth=1
	v_ashrrev_i32_e32 v45, 31, v44
	v_add_u32_e32 v42, -16, v40
	v_lshl_add_u64 v[10:11], v[44:45], 2, s[6:7]
	v_lshl_add_u64 v[12:13], v[42:43], 4, s[8:9]
	global_load_dword v31, v[10:11], off
	global_load_dwordx4 v[50:53], v[12:13], off offset:48
	global_load_dwordx4 v[54:57], v[12:13], off offset:32
	;; [unrolled: 1-line block ×3, first 2 shown]
	global_load_dwordx4 v[62:65], v[12:13], off
	v_mov_b32_e32 v41, v43
	v_mov_b32_e32 v47, v43
	v_add_u32_e32 v42, -12, v40
	v_lshl_add_u64 v[82:83], v[40:41], 4, s[8:9]
	v_lshl_add_u64 v[86:87], v[42:43], 4, s[8:9]
	global_load_dwordx4 v[10:13], v[82:83], off offset:48
	global_load_dwordx4 v[14:17], v[82:83], off offset:32
	;; [unrolled: 1-line block ×3, first 2 shown]
	global_load_dwordx4 v[66:69], v[82:83], off
	global_load_dwordx4 v[70:73], v[86:87], off offset:48
	global_load_dwordx4 v[74:77], v[86:87], off offset:32
	;; [unrolled: 1-line block ×3, first 2 shown]
	v_add_u32_e32 v44, 4, v44
	v_cmp_ge_i32_e32 vcc, v44, v48
	s_or_b64 s[14:15], vcc, s[14:15]
	s_waitcnt vmcnt(11)
	v_subrev_u32_e32 v31, s12, v31
	v_lshl_add_u32 v46, v31, 2, v31
	v_lshl_add_u64 v[82:83], v[46:47], 4, s[10:11]
	global_load_dwordx4 v[82:85], v[82:83], off
	v_add_u32_e32 v42, 1, v46
	s_waitcnt vmcnt(0)
	v_fmac_f64_e32 v[38:39], v[62:63], v[82:83]
	v_fma_f64 v[88:89], -v[64:65], v[84:85], v[38:39]
	v_lshl_add_u64 v[38:39], v[42:43], 4, s[10:11]
	v_add_u32_e32 v42, -8, v40
	v_fmac_f64_e32 v[28:29], v[60:61], v[82:83]
	v_fmac_f64_e32 v[24:25], v[64:65], v[82:83]
	;; [unrolled: 1-line block ×4, first 2 shown]
	v_lshl_add_u64 v[58:59], v[42:43], 4, s[8:9]
	v_fmac_f64_e32 v[34:35], v[54:55], v[82:83]
	v_fmac_f64_e32 v[26:27], v[56:57], v[82:83]
	;; [unrolled: 1-line block ×3, first 2 shown]
	global_load_dwordx4 v[62:65], v[86:87], off
	v_fma_f64 v[90:91], -v[56:57], v[84:85], v[34:35]
	v_fmac_f64_e32 v[26:27], v[54:55], v[84:85]
	global_load_dwordx4 v[54:57], v[58:59], off offset:48
	v_fma_f64 v[86:87], -v[60:61], v[84:85], v[36:37]
	global_load_dwordx4 v[36:39], v[38:39], off
	v_add_u32_e32 v42, 2, v46
	v_fmac_f64_e32 v[32:33], v[50:51], v[82:83]
	v_fmac_f64_e32 v[0:1], v[52:53], v[82:83]
	v_fma_f64 v[82:83], -v[52:53], v[84:85], v[32:33]
	v_fmac_f64_e32 v[0:1], v[50:51], v[84:85]
	global_load_dwordx4 v[32:35], v[58:59], off offset:32
	global_load_dwordx4 v[50:53], v[58:59], off offset:16
	s_waitcnt vmcnt(2)
	v_fmac_f64_e32 v[24:25], v[64:65], v[36:37]
	v_fmac_f64_e32 v[88:89], v[62:63], v[36:37]
	;; [unrolled: 1-line block ×3, first 2 shown]
	v_lshl_add_u64 v[62:63], v[42:43], 4, s[10:11]
	v_fma_f64 v[84:85], -v[64:65], v[38:39], v[88:89]
	global_load_dwordx4 v[58:61], v[58:59], off
	v_add_u32_e32 v42, -4, v40
	global_load_dwordx4 v[62:65], v[62:63], off
	v_fmac_f64_e32 v[28:29], v[80:81], v[36:37]
	v_fmac_f64_e32 v[86:87], v[78:79], v[36:37]
	;; [unrolled: 1-line block ×3, first 2 shown]
	v_lshl_add_u64 v[78:79], v[42:43], 4, s[8:9]
	v_add_u32_e32 v42, 3, v46
	v_fmac_f64_e32 v[90:91], v[74:75], v[36:37]
	v_fmac_f64_e32 v[26:27], v[76:77], v[36:37]
	;; [unrolled: 1-line block ×4, first 2 shown]
	v_fma_f64 v[86:87], -v[80:81], v[38:39], v[86:87]
	v_fma_f64 v[88:89], -v[76:77], v[38:39], v[90:91]
	v_fmac_f64_e32 v[26:27], v[74:75], v[38:39]
	global_load_dwordx4 v[74:77], v[78:79], off offset:48
	v_fma_f64 v[82:83], -v[72:73], v[38:39], v[82:83]
	v_fmac_f64_e32 v[0:1], v[70:71], v[38:39]
	global_load_dwordx4 v[36:39], v[78:79], off offset:32
	global_load_dwordx4 v[70:73], v[78:79], off offset:16
	v_add_u32_e32 v40, 0x50, v40
	s_waitcnt vmcnt(3)
	v_fmac_f64_e32 v[84:85], v[58:59], v[62:63]
	v_fmac_f64_e32 v[24:25], v[60:61], v[62:63]
	v_fma_f64 v[84:85], -v[60:61], v[64:65], v[84:85]
	v_fmac_f64_e32 v[24:25], v[58:59], v[64:65]
	global_load_dwordx4 v[58:61], v[78:79], off
	v_lshl_add_u64 v[78:79], v[42:43], 4, s[10:11]
	v_add_u32_e32 v42, 4, v46
	global_load_dwordx4 v[78:81], v[78:79], off
	v_fmac_f64_e32 v[28:29], v[52:53], v[62:63]
	v_fmac_f64_e32 v[86:87], v[50:51], v[62:63]
	;; [unrolled: 1-line block ×3, first 2 shown]
	v_lshl_add_u64 v[50:51], v[42:43], 4, s[10:11]
	v_fma_f64 v[46:47], -v[52:53], v[64:65], v[86:87]
	global_load_dwordx4 v[50:53], v[50:51], off
	v_fmac_f64_e32 v[88:89], v[32:33], v[62:63]
	v_fmac_f64_e32 v[26:27], v[34:35], v[62:63]
	;; [unrolled: 1-line block ×4, first 2 shown]
	v_fma_f64 v[34:35], -v[34:35], v[64:65], v[88:89]
	v_fmac_f64_e32 v[26:27], v[32:33], v[64:65]
	v_fma_f64 v[32:33], -v[56:57], v[64:65], v[82:83]
	v_fmac_f64_e32 v[0:1], v[54:55], v[64:65]
	s_waitcnt vmcnt(1)
	v_fmac_f64_e32 v[84:85], v[58:59], v[78:79]
	v_fmac_f64_e32 v[24:25], v[60:61], v[78:79]
	;; [unrolled: 1-line block ×8, first 2 shown]
	v_fma_f64 v[54:55], -v[60:61], v[80:81], v[84:85]
	v_fmac_f64_e32 v[24:25], v[58:59], v[80:81]
	v_fma_f64 v[46:47], -v[72:73], v[80:81], v[46:47]
	v_fmac_f64_e32 v[28:29], v[70:71], v[80:81]
	;; [unrolled: 2-line block ×4, first 2 shown]
	s_waitcnt vmcnt(0)
	v_fmac_f64_e32 v[54:55], v[66:67], v[50:51]
	v_fmac_f64_e32 v[24:25], v[68:69], v[50:51]
	;; [unrolled: 1-line block ×8, first 2 shown]
	v_fma_f64 v[38:39], -v[68:69], v[52:53], v[54:55]
	v_fmac_f64_e32 v[24:25], v[66:67], v[52:53]
	v_fma_f64 v[36:37], -v[20:21], v[52:53], v[46:47]
	v_fmac_f64_e32 v[28:29], v[18:19], v[52:53]
	;; [unrolled: 2-line block ×4, first 2 shown]
	s_andn2_b64 exec, exec, s[14:15]
	s_cbranch_execnz .LBB126_7
; %bb.8:
	s_or_b64 exec, exec, s[14:15]
.LBB126_9:
	s_or_b64 exec, exec, s[4:5]
	s_cbranch_execz .LBB126_11
	s_branch .LBB126_16
.LBB126_10:
                                        ; implicit-def: $vgpr24_vgpr25
                                        ; implicit-def: $vgpr38_vgpr39
                                        ; implicit-def: $vgpr32_vgpr33
                                        ; implicit-def: $vgpr0_vgpr1
                                        ; implicit-def: $vgpr34_vgpr35
                                        ; implicit-def: $vgpr26_vgpr27
                                        ; implicit-def: $vgpr36_vgpr37
                                        ; implicit-def: $vgpr28_vgpr29
.LBB126_11:
	v_mov_b64_e32 v[24:25], 0
	v_mov_b64_e32 v[38:39], 0
	;; [unrolled: 1-line block ×8, first 2 shown]
	s_and_saveexec_b64 s[4:5], s[2:3]
	s_cbranch_execz .LBB126_15
; %bb.12:
	v_mad_u64_u32 v[10:11], s[2:3], v30, 20, 19
	v_mov_b64_e32 v[24:25], 0
	s_mov_b64 s[2:3], 0
	v_mov_b32_e32 v13, 0
	v_mov_b64_e32 v[38:39], 0
	v_mov_b64_e32 v[32:33], 0
	;; [unrolled: 1-line block ×7, first 2 shown]
.LBB126_13:                             ; =>This Inner Loop Header: Depth=1
	v_ashrrev_i32_e32 v31, 31, v30
	v_subrev_u32_e32 v12, 19, v10
	v_add_u32_e32 v20, -14, v10
	v_add_u32_e32 v18, -9, v10
	;; [unrolled: 1-line block ×3, first 2 shown]
	v_mov_b32_e32 v21, v13
	v_mov_b32_e32 v19, v13
	;; [unrolled: 1-line block ×4, first 2 shown]
	v_lshl_add_u64 v[70:71], v[30:31], 2, s[6:7]
	v_lshl_add_u64 v[72:73], v[12:13], 4, s[8:9]
	;; [unrolled: 1-line block ×6, first 2 shown]
	global_load_dword v11, v[70:71], off
	global_load_dwordx4 v[16:19], v[72:73], off offset:48
	global_load_dwordx4 v[40:43], v[72:73], off offset:32
	;; [unrolled: 1-line block ×3, first 2 shown]
	global_load_dwordx4 v[50:53], v[72:73], off
	global_load_dwordx4 v[54:57], v[20:21], off
	;; [unrolled: 1-line block ×5, first 2 shown]
	v_mov_b32_e32 v15, v13
	v_add_u32_e32 v30, 4, v30
	v_cmp_ge_i32_e32 vcc, v30, v48
	s_or_b64 s[2:3], vcc, s[2:3]
	s_waitcnt vmcnt(8)
	v_subrev_u32_e32 v11, s12, v11
	v_lshl_add_u32 v14, v11, 2, v11
	v_lshl_add_u64 v[20:21], v[14:15], 4, s[10:11]
	global_load_dwordx4 v[70:73], v[20:21], off
	v_add_u32_e32 v12, 1, v14
	v_lshl_add_u64 v[20:21], v[12:13], 4, s[10:11]
	v_add_u32_e32 v12, -13, v10
	global_load_dwordx4 v[74:77], v[20:21], off
	v_lshl_add_u64 v[20:21], v[12:13], 4, s[8:9]
	v_add_u32_e32 v12, -8, v10
	s_waitcnt vmcnt(1)
	v_fmac_f64_e32 v[38:39], v[50:51], v[70:71]
	v_fmac_f64_e32 v[24:25], v[52:53], v[70:71]
	v_fma_f64 v[78:79], -v[52:53], v[72:73], v[38:39]
	v_fmac_f64_e32 v[24:25], v[50:51], v[72:73]
	global_load_dwordx4 v[50:53], v[20:21], off
	v_lshl_add_u64 v[20:21], v[12:13], 4, s[8:9]
	v_add_u32_e32 v12, -3, v10
	v_fmac_f64_e32 v[36:37], v[54:55], v[70:71]
	v_fmac_f64_e32 v[28:29], v[56:57], v[70:71]
	v_fma_f64 v[80:81], -v[56:57], v[72:73], v[36:37]
	global_load_dwordx4 v[36:39], v[20:21], off
	v_lshl_add_u64 v[20:21], v[12:13], 4, s[8:9]
	v_fmac_f64_e32 v[28:29], v[54:55], v[72:73]
	v_add_u32_e32 v12, 2, v14
	global_load_dwordx4 v[54:57], v[20:21], off
	v_fmac_f64_e32 v[34:35], v[58:59], v[70:71]
	v_lshl_add_u64 v[20:21], v[12:13], 4, s[10:11]
	v_add_u32_e32 v12, -12, v10
	v_fmac_f64_e32 v[32:33], v[62:63], v[70:71]
	v_fmac_f64_e32 v[26:27], v[60:61], v[70:71]
	v_fma_f64 v[82:83], -v[60:61], v[72:73], v[34:35]
	v_fmac_f64_e32 v[0:1], v[64:65], v[70:71]
	v_fma_f64 v[64:65], -v[64:65], v[72:73], v[32:33]
	global_load_dwordx4 v[32:35], v[20:21], off
	v_lshl_add_u64 v[20:21], v[12:13], 4, s[8:9]
	v_add_u32_e32 v12, -7, v10
	v_fmac_f64_e32 v[26:27], v[58:59], v[72:73]
	global_load_dwordx4 v[58:61], v[20:21], off
	v_lshl_add_u64 v[20:21], v[12:13], 4, s[8:9]
	v_add_u32_e32 v12, -2, v10
	s_waitcnt vmcnt(5)
	v_fmac_f64_e32 v[78:79], v[44:45], v[74:75]
	v_fmac_f64_e32 v[24:25], v[46:47], v[74:75]
	v_fma_f64 v[70:71], -v[46:47], v[76:77], v[78:79]
	v_fmac_f64_e32 v[24:25], v[44:45], v[76:77]
	global_load_dwordx4 v[44:47], v[20:21], off
	v_lshl_add_u64 v[20:21], v[12:13], 4, s[8:9]
	v_add_u32_e32 v12, 3, v14
	v_fmac_f64_e32 v[0:1], v[62:63], v[72:73]
	s_waitcnt vmcnt(5)
	v_fmac_f64_e32 v[80:81], v[50:51], v[74:75]
	v_fmac_f64_e32 v[28:29], v[52:53], v[74:75]
	v_fma_f64 v[78:79], -v[52:53], v[76:77], v[80:81]
	v_fmac_f64_e32 v[28:29], v[50:51], v[76:77]
	global_load_dwordx4 v[50:53], v[20:21], off
	v_lshl_add_u64 v[20:21], v[12:13], 4, s[10:11]
	v_add_u32_e32 v12, -11, v10
	s_waitcnt vmcnt(5)
	v_fmac_f64_e32 v[82:83], v[36:37], v[74:75]
	v_fmac_f64_e32 v[26:27], v[38:39], v[74:75]
	v_fma_f64 v[80:81], -v[38:39], v[76:77], v[82:83]
	v_fmac_f64_e32 v[26:27], v[36:37], v[76:77]
	global_load_dwordx4 v[36:39], v[20:21], off
	v_lshl_add_u64 v[20:21], v[12:13], 4, s[8:9]
	v_add_u32_e32 v12, -6, v10
	;; [unrolled: 8-line block ×3, first 2 shown]
	v_lshl_add_u64 v[76:77], v[12:13], 4, s[8:9]
	v_add_u32_e32 v12, -15, v10
	v_lshl_add_u64 v[82:83], v[12:13], 4, s[8:9]
	v_add_u32_e32 v12, 4, v14
	s_waitcnt vmcnt(4)
	v_fmac_f64_e32 v[28:29], v[60:61], v[32:33]
	v_fmac_f64_e32 v[78:79], v[58:59], v[32:33]
	;; [unrolled: 1-line block ×3, first 2 shown]
	v_lshl_add_u64 v[58:59], v[12:13], 4, s[10:11]
	v_add_u32_e32 v12, -10, v10
	s_waitcnt vmcnt(3)
	v_fmac_f64_e32 v[26:27], v[46:47], v[32:33]
	global_load_dwordx4 v[62:65], v[20:21], off
	v_fmac_f64_e32 v[70:71], v[40:41], v[32:33]
	v_fmac_f64_e32 v[24:25], v[42:43], v[32:33]
	;; [unrolled: 1-line block ×4, first 2 shown]
	v_lshl_add_u64 v[44:45], v[12:13], 4, s[8:9]
	v_add_u32_e32 v12, -5, v10
	v_fma_f64 v[14:15], -v[42:43], v[34:35], v[70:71]
	v_fmac_f64_e32 v[24:25], v[40:41], v[34:35]
	global_load_dwordx4 v[40:43], v[76:77], off
	global_load_dwordx4 v[70:73], v[82:83], off
	v_fma_f64 v[20:21], -v[60:61], v[34:35], v[78:79]
	v_fma_f64 v[76:77], -v[46:47], v[34:35], v[80:81]
	global_load_dwordx4 v[58:61], v[58:59], off
	v_add_u32_e32 v10, 0x50, v10
	global_load_dwordx4 v[44:47], v[44:45], off
	s_waitcnt vmcnt(7)
	v_fmac_f64_e32 v[74:75], v[50:51], v[32:33]
	v_fmac_f64_e32 v[0:1], v[52:53], v[32:33]
	v_fma_f64 v[32:33], -v[52:53], v[34:35], v[74:75]
	v_fmac_f64_e32 v[0:1], v[50:51], v[34:35]
	v_lshl_add_u64 v[34:35], v[12:13], 4, s[8:9]
	global_load_dwordx4 v[50:53], v[34:35], off
	s_waitcnt vmcnt(7)
	v_fmac_f64_e32 v[14:15], v[16:17], v[36:37]
	v_fmac_f64_e32 v[24:25], v[18:19], v[36:37]
	v_fma_f64 v[14:15], -v[18:19], v[38:39], v[14:15]
	v_fmac_f64_e32 v[24:25], v[16:17], v[38:39]
	s_waitcnt vmcnt(6)
	v_fmac_f64_e32 v[20:21], v[54:55], v[36:37]
	v_fmac_f64_e32 v[28:29], v[56:57], v[36:37]
	v_fma_f64 v[16:17], -v[56:57], v[38:39], v[20:21]
	v_fmac_f64_e32 v[28:29], v[54:55], v[38:39]
	;; [unrolled: 5-line block ×4, first 2 shown]
	s_waitcnt vmcnt(2)
	v_fmac_f64_e32 v[14:15], v[70:71], v[58:59]
	v_fmac_f64_e32 v[24:25], v[72:73], v[58:59]
	v_fmac_f64_e32 v[20:21], v[66:67], v[58:59]
	v_fmac_f64_e32 v[0:1], v[68:69], v[58:59]
	s_waitcnt vmcnt(1)
	v_fmac_f64_e32 v[16:17], v[44:45], v[58:59]
	v_fmac_f64_e32 v[28:29], v[46:47], v[58:59]
	v_fma_f64 v[38:39], -v[72:73], v[60:61], v[14:15]
	v_fmac_f64_e32 v[24:25], v[70:71], v[60:61]
	v_fma_f64 v[32:33], -v[68:69], v[60:61], v[20:21]
	;; [unrolled: 2-line block ×3, first 2 shown]
	v_fmac_f64_e32 v[28:29], v[44:45], v[60:61]
	s_waitcnt vmcnt(0)
	v_fmac_f64_e32 v[18:19], v[50:51], v[58:59]
	v_fmac_f64_e32 v[26:27], v[52:53], v[58:59]
	v_fma_f64 v[34:35], -v[52:53], v[60:61], v[18:19]
	v_fmac_f64_e32 v[26:27], v[50:51], v[60:61]
	s_andn2_b64 exec, exec, s[2:3]
	s_cbranch_execnz .LBB126_13
; %bb.14:
	s_or_b64 exec, exec, s[2:3]
.LBB126_15:
	s_or_b64 exec, exec, s[4:5]
.LBB126_16:
	v_mov_b32_dpp v16, v36 row_shr:1 row_mask:0xf bank_mask:0xf
	v_mov_b32_dpp v17, v37 row_shr:1 row_mask:0xf bank_mask:0xf
	v_add_f64 v[20:21], v[36:37], v[16:17]
	v_mov_b32_dpp v16, v28 row_shr:1 row_mask:0xf bank_mask:0xf
	v_mov_b32_dpp v17, v29 row_shr:1 row_mask:0xf bank_mask:0xf
	v_add_f64 v[28:29], v[28:29], v[16:17]
	;; [unrolled: 3-line block ×4, first 2 shown]
	v_mov_b32_dpp v16, v32 row_shr:1 row_mask:0xf bank_mask:0xf
	v_mov_b32_dpp v17, v33 row_shr:1 row_mask:0xf bank_mask:0xf
	;; [unrolled: 1-line block ×6, first 2 shown]
	v_add_f64 v[32:33], v[32:33], v[16:17]
	v_mov_b32_dpp v16, v0 row_shr:1 row_mask:0xf bank_mask:0xf
	v_mov_b32_dpp v17, v1 row_shr:1 row_mask:0xf bank_mask:0xf
	v_add_f64 v[10:11], v[38:39], v[10:11]
	v_add_f64 v[14:15], v[24:25], v[14:15]
	;; [unrolled: 1-line block ×3, first 2 shown]
	v_mov_b32_dpp v12, v10 row_shr:2 row_mask:0xf bank_mask:0xf
	v_mov_b32_dpp v13, v11 row_shr:2 row_mask:0xf bank_mask:0xf
	;; [unrolled: 1-line block ×16, first 2 shown]
	v_cmp_eq_u32_e32 vcc, 3, v23
	s_and_b64 exec, exec, vcc
	s_cbranch_execz .LBB126_21
; %bb.17:
	s_load_dwordx2 s[2:3], s[0:1], 0x48
	v_cmp_eq_f64_e32 vcc, 0, v[6:7]
	v_cmp_eq_f64_e64 s[0:1], 0, v[8:9]
	v_add_f64 v[16:17], v[10:11], v[12:13]
	v_add_f64 v[24:25], v[14:15], v[18:19]
	;; [unrolled: 1-line block ×8, first 2 shown]
	s_and_b64 s[0:1], vcc, s[0:1]
	s_and_saveexec_b64 s[4:5], s[0:1]
	s_xor_b64 s[0:1], exec, s[4:5]
	s_cbranch_execz .LBB126_19
; %bb.18:
	v_mul_f64 v[6:7], v[24:25], -v[4:5]
	v_mul_f64 v[8:9], v[2:3], v[24:25]
	v_fmac_f64_e32 v[6:7], v[2:3], v[16:17]
	v_fmac_f64_e32 v[8:9], v[4:5], v[16:17]
	v_lshlrev_b32_e32 v16, 2, v22
	v_ashrrev_i32_e32 v17, 31, v16
	s_waitcnt lgkmcnt(0)
	v_lshl_add_u64 v[16:17], v[16:17], 4, s[2:3]
	global_store_dwordx4 v[16:17], v[6:9], off
                                        ; implicit-def: $vgpr22
                                        ; implicit-def: $vgpr24_vgpr25
	s_nop 1
	v_mul_f64 v[6:7], v[20:21], -v[4:5]
	v_mul_f64 v[8:9], v[2:3], v[20:21]
	v_fmac_f64_e32 v[6:7], v[2:3], v[12:13]
	v_fmac_f64_e32 v[8:9], v[4:5], v[12:13]
	global_store_dwordx4 v[16:17], v[6:9], off offset:16
                                        ; implicit-def: $vgpr12_vgpr13
                                        ; implicit-def: $vgpr20_vgpr21
	s_nop 1
	v_mul_f64 v[6:7], v[18:19], -v[4:5]
	v_mul_f64 v[8:9], v[2:3], v[18:19]
	v_fmac_f64_e32 v[6:7], v[2:3], v[10:11]
	v_fmac_f64_e32 v[8:9], v[4:5], v[10:11]
	global_store_dwordx4 v[16:17], v[6:9], off offset:32
                                        ; implicit-def: $vgpr10_vgpr11
                                        ; implicit-def: $vgpr18_vgpr19
	s_nop 1
	v_mul_f64 v[6:7], v[14:15], -v[4:5]
	v_mul_f64 v[8:9], v[2:3], v[14:15]
	v_fmac_f64_e32 v[6:7], v[2:3], v[0:1]
	v_fmac_f64_e32 v[8:9], v[4:5], v[0:1]
	global_store_dwordx4 v[16:17], v[6:9], off offset:48
                                        ; implicit-def: $vgpr16_vgpr17
                                        ; implicit-def: $vgpr0_vgpr1
                                        ; implicit-def: $vgpr14_vgpr15
                                        ; implicit-def: $vgpr8_vgpr9
                                        ; implicit-def: $vgpr4_vgpr5
.LBB126_19:
	s_andn2_saveexec_b64 s[0:1], s[0:1]
	s_cbranch_execz .LBB126_21
; %bb.20:
	v_lshlrev_b32_e32 v22, 2, v22
	v_ashrrev_i32_e32 v23, 31, v22
	s_waitcnt lgkmcnt(0)
	v_lshl_add_u64 v[46:47], v[22:23], 4, s[2:3]
	global_load_dwordx4 v[26:29], v[46:47], off
	global_load_dwordx4 v[30:33], v[46:47], off offset:16
	global_load_dwordx4 v[34:37], v[46:47], off offset:32
	;; [unrolled: 1-line block ×3, first 2 shown]
	v_mul_f64 v[42:43], v[24:25], -v[4:5]
	v_mul_f64 v[22:23], v[2:3], v[24:25]
	v_mul_f64 v[24:25], v[20:21], -v[4:5]
	v_mul_f64 v[44:45], v[2:3], v[20:21]
	;; [unrolled: 2-line block ×4, first 2 shown]
	v_fmac_f64_e32 v[42:43], v[2:3], v[16:17]
	v_fmac_f64_e32 v[22:23], v[4:5], v[16:17]
	v_fmac_f64_e32 v[24:25], v[2:3], v[12:13]
	v_fmac_f64_e32 v[44:45], v[4:5], v[12:13]
	v_fmac_f64_e32 v[48:49], v[2:3], v[10:11]
	v_fmac_f64_e32 v[18:19], v[4:5], v[10:11]
	v_fmac_f64_e32 v[50:51], v[2:3], v[0:1]
	v_fmac_f64_e32 v[14:15], v[4:5], v[0:1]
	s_waitcnt vmcnt(3)
	v_fmac_f64_e32 v[42:43], v[6:7], v[26:27]
	v_fmac_f64_e32 v[22:23], v[8:9], v[26:27]
	s_waitcnt vmcnt(2)
	v_fmac_f64_e32 v[24:25], v[6:7], v[30:31]
	v_fmac_f64_e32 v[44:45], v[8:9], v[30:31]
	;; [unrolled: 3-line block ×4, first 2 shown]
	v_fma_f64 v[20:21], -v[8:9], v[28:29], v[42:43]
	v_fmac_f64_e32 v[22:23], v[6:7], v[28:29]
	v_fma_f64 v[42:43], -v[8:9], v[32:33], v[24:25]
	v_fmac_f64_e32 v[44:45], v[6:7], v[32:33]
	;; [unrolled: 2-line block ×4, first 2 shown]
	global_store_dwordx4 v[46:47], v[20:23], off
	global_store_dwordx4 v[46:47], v[42:45], off offset:16
	global_store_dwordx4 v[46:47], v[16:19], off offset:32
	;; [unrolled: 1-line block ×3, first 2 shown]
.LBB126_21:
	s_endpgm
	.section	.rodata,"a",@progbits
	.p2align	6, 0x0
	.amdhsa_kernel _ZN9rocsparseL19gebsrmvn_4xn_kernelILj128ELj5ELj4E21rocsparse_complex_numIdEEEvi20rocsparse_direction_NS_24const_host_device_scalarIT2_EEPKiS8_PKS5_SA_S6_PS5_21rocsparse_index_base_b
		.amdhsa_group_segment_fixed_size 0
		.amdhsa_private_segment_fixed_size 0
		.amdhsa_kernarg_size 88
		.amdhsa_user_sgpr_count 2
		.amdhsa_user_sgpr_dispatch_ptr 0
		.amdhsa_user_sgpr_queue_ptr 0
		.amdhsa_user_sgpr_kernarg_segment_ptr 1
		.amdhsa_user_sgpr_dispatch_id 0
		.amdhsa_user_sgpr_kernarg_preload_length 0
		.amdhsa_user_sgpr_kernarg_preload_offset 0
		.amdhsa_user_sgpr_private_segment_size 0
		.amdhsa_uses_dynamic_stack 0
		.amdhsa_enable_private_segment 0
		.amdhsa_system_sgpr_workgroup_id_x 1
		.amdhsa_system_sgpr_workgroup_id_y 0
		.amdhsa_system_sgpr_workgroup_id_z 0
		.amdhsa_system_sgpr_workgroup_info 0
		.amdhsa_system_vgpr_workitem_id 0
		.amdhsa_next_free_vgpr 92
		.amdhsa_next_free_sgpr 16
		.amdhsa_accum_offset 92
		.amdhsa_reserve_vcc 1
		.amdhsa_float_round_mode_32 0
		.amdhsa_float_round_mode_16_64 0
		.amdhsa_float_denorm_mode_32 3
		.amdhsa_float_denorm_mode_16_64 3
		.amdhsa_dx10_clamp 1
		.amdhsa_ieee_mode 1
		.amdhsa_fp16_overflow 0
		.amdhsa_tg_split 0
		.amdhsa_exception_fp_ieee_invalid_op 0
		.amdhsa_exception_fp_denorm_src 0
		.amdhsa_exception_fp_ieee_div_zero 0
		.amdhsa_exception_fp_ieee_overflow 0
		.amdhsa_exception_fp_ieee_underflow 0
		.amdhsa_exception_fp_ieee_inexact 0
		.amdhsa_exception_int_div_zero 0
	.end_amdhsa_kernel
	.section	.text._ZN9rocsparseL19gebsrmvn_4xn_kernelILj128ELj5ELj4E21rocsparse_complex_numIdEEEvi20rocsparse_direction_NS_24const_host_device_scalarIT2_EEPKiS8_PKS5_SA_S6_PS5_21rocsparse_index_base_b,"axG",@progbits,_ZN9rocsparseL19gebsrmvn_4xn_kernelILj128ELj5ELj4E21rocsparse_complex_numIdEEEvi20rocsparse_direction_NS_24const_host_device_scalarIT2_EEPKiS8_PKS5_SA_S6_PS5_21rocsparse_index_base_b,comdat
.Lfunc_end126:
	.size	_ZN9rocsparseL19gebsrmvn_4xn_kernelILj128ELj5ELj4E21rocsparse_complex_numIdEEEvi20rocsparse_direction_NS_24const_host_device_scalarIT2_EEPKiS8_PKS5_SA_S6_PS5_21rocsparse_index_base_b, .Lfunc_end126-_ZN9rocsparseL19gebsrmvn_4xn_kernelILj128ELj5ELj4E21rocsparse_complex_numIdEEEvi20rocsparse_direction_NS_24const_host_device_scalarIT2_EEPKiS8_PKS5_SA_S6_PS5_21rocsparse_index_base_b
                                        ; -- End function
	.set _ZN9rocsparseL19gebsrmvn_4xn_kernelILj128ELj5ELj4E21rocsparse_complex_numIdEEEvi20rocsparse_direction_NS_24const_host_device_scalarIT2_EEPKiS8_PKS5_SA_S6_PS5_21rocsparse_index_base_b.num_vgpr, 92
	.set _ZN9rocsparseL19gebsrmvn_4xn_kernelILj128ELj5ELj4E21rocsparse_complex_numIdEEEvi20rocsparse_direction_NS_24const_host_device_scalarIT2_EEPKiS8_PKS5_SA_S6_PS5_21rocsparse_index_base_b.num_agpr, 0
	.set _ZN9rocsparseL19gebsrmvn_4xn_kernelILj128ELj5ELj4E21rocsparse_complex_numIdEEEvi20rocsparse_direction_NS_24const_host_device_scalarIT2_EEPKiS8_PKS5_SA_S6_PS5_21rocsparse_index_base_b.numbered_sgpr, 16
	.set _ZN9rocsparseL19gebsrmvn_4xn_kernelILj128ELj5ELj4E21rocsparse_complex_numIdEEEvi20rocsparse_direction_NS_24const_host_device_scalarIT2_EEPKiS8_PKS5_SA_S6_PS5_21rocsparse_index_base_b.num_named_barrier, 0
	.set _ZN9rocsparseL19gebsrmvn_4xn_kernelILj128ELj5ELj4E21rocsparse_complex_numIdEEEvi20rocsparse_direction_NS_24const_host_device_scalarIT2_EEPKiS8_PKS5_SA_S6_PS5_21rocsparse_index_base_b.private_seg_size, 0
	.set _ZN9rocsparseL19gebsrmvn_4xn_kernelILj128ELj5ELj4E21rocsparse_complex_numIdEEEvi20rocsparse_direction_NS_24const_host_device_scalarIT2_EEPKiS8_PKS5_SA_S6_PS5_21rocsparse_index_base_b.uses_vcc, 1
	.set _ZN9rocsparseL19gebsrmvn_4xn_kernelILj128ELj5ELj4E21rocsparse_complex_numIdEEEvi20rocsparse_direction_NS_24const_host_device_scalarIT2_EEPKiS8_PKS5_SA_S6_PS5_21rocsparse_index_base_b.uses_flat_scratch, 0
	.set _ZN9rocsparseL19gebsrmvn_4xn_kernelILj128ELj5ELj4E21rocsparse_complex_numIdEEEvi20rocsparse_direction_NS_24const_host_device_scalarIT2_EEPKiS8_PKS5_SA_S6_PS5_21rocsparse_index_base_b.has_dyn_sized_stack, 0
	.set _ZN9rocsparseL19gebsrmvn_4xn_kernelILj128ELj5ELj4E21rocsparse_complex_numIdEEEvi20rocsparse_direction_NS_24const_host_device_scalarIT2_EEPKiS8_PKS5_SA_S6_PS5_21rocsparse_index_base_b.has_recursion, 0
	.set _ZN9rocsparseL19gebsrmvn_4xn_kernelILj128ELj5ELj4E21rocsparse_complex_numIdEEEvi20rocsparse_direction_NS_24const_host_device_scalarIT2_EEPKiS8_PKS5_SA_S6_PS5_21rocsparse_index_base_b.has_indirect_call, 0
	.section	.AMDGPU.csdata,"",@progbits
; Kernel info:
; codeLenInByte = 3148
; TotalNumSgprs: 22
; NumVgprs: 92
; NumAgprs: 0
; TotalNumVgprs: 92
; ScratchSize: 0
; MemoryBound: 0
; FloatMode: 240
; IeeeMode: 1
; LDSByteSize: 0 bytes/workgroup (compile time only)
; SGPRBlocks: 2
; VGPRBlocks: 11
; NumSGPRsForWavesPerEU: 22
; NumVGPRsForWavesPerEU: 92
; AccumOffset: 92
; Occupancy: 5
; WaveLimiterHint : 1
; COMPUTE_PGM_RSRC2:SCRATCH_EN: 0
; COMPUTE_PGM_RSRC2:USER_SGPR: 2
; COMPUTE_PGM_RSRC2:TRAP_HANDLER: 0
; COMPUTE_PGM_RSRC2:TGID_X_EN: 1
; COMPUTE_PGM_RSRC2:TGID_Y_EN: 0
; COMPUTE_PGM_RSRC2:TGID_Z_EN: 0
; COMPUTE_PGM_RSRC2:TIDIG_COMP_CNT: 0
; COMPUTE_PGM_RSRC3_GFX90A:ACCUM_OFFSET: 22
; COMPUTE_PGM_RSRC3_GFX90A:TG_SPLIT: 0
	.section	.text._ZN9rocsparseL19gebsrmvn_4xn_kernelILj128ELj5ELj8E21rocsparse_complex_numIdEEEvi20rocsparse_direction_NS_24const_host_device_scalarIT2_EEPKiS8_PKS5_SA_S6_PS5_21rocsparse_index_base_b,"axG",@progbits,_ZN9rocsparseL19gebsrmvn_4xn_kernelILj128ELj5ELj8E21rocsparse_complex_numIdEEEvi20rocsparse_direction_NS_24const_host_device_scalarIT2_EEPKiS8_PKS5_SA_S6_PS5_21rocsparse_index_base_b,comdat
	.globl	_ZN9rocsparseL19gebsrmvn_4xn_kernelILj128ELj5ELj8E21rocsparse_complex_numIdEEEvi20rocsparse_direction_NS_24const_host_device_scalarIT2_EEPKiS8_PKS5_SA_S6_PS5_21rocsparse_index_base_b ; -- Begin function _ZN9rocsparseL19gebsrmvn_4xn_kernelILj128ELj5ELj8E21rocsparse_complex_numIdEEEvi20rocsparse_direction_NS_24const_host_device_scalarIT2_EEPKiS8_PKS5_SA_S6_PS5_21rocsparse_index_base_b
	.p2align	8
	.type	_ZN9rocsparseL19gebsrmvn_4xn_kernelILj128ELj5ELj8E21rocsparse_complex_numIdEEEvi20rocsparse_direction_NS_24const_host_device_scalarIT2_EEPKiS8_PKS5_SA_S6_PS5_21rocsparse_index_base_b,@function
_ZN9rocsparseL19gebsrmvn_4xn_kernelILj128ELj5ELj8E21rocsparse_complex_numIdEEEvi20rocsparse_direction_NS_24const_host_device_scalarIT2_EEPKiS8_PKS5_SA_S6_PS5_21rocsparse_index_base_b: ; @_ZN9rocsparseL19gebsrmvn_4xn_kernelILj128ELj5ELj8E21rocsparse_complex_numIdEEEvi20rocsparse_direction_NS_24const_host_device_scalarIT2_EEPKiS8_PKS5_SA_S6_PS5_21rocsparse_index_base_b
; %bb.0:
	s_load_dwordx2 s[4:5], s[0:1], 0x8
	s_load_dwordx2 s[6:7], s[0:1], 0x38
	;; [unrolled: 1-line block ×3, first 2 shown]
	s_add_u32 s3, s0, 8
	s_addc_u32 s8, s1, 0
	s_add_u32 s9, s0, 56
	s_addc_u32 s10, s1, 0
	s_waitcnt lgkmcnt(0)
	s_bitcmp1_b32 s13, 0
	s_cselect_b32 s5, s8, s5
	s_cselect_b32 s3, s3, s4
	v_mov_b32_e32 v2, s3
	v_mov_b32_e32 v3, s5
	flat_load_dwordx4 v[2:5], v[2:3]
	s_cselect_b32 s3, s10, s7
	s_cselect_b32 s4, s9, s6
	v_mov_b32_e32 v6, s4
	v_mov_b32_e32 v7, s3
	flat_load_dwordx4 v[6:9], v[6:7]
	s_waitcnt vmcnt(0) lgkmcnt(0)
	v_cmp_eq_f64_e32 vcc, 0, v[2:3]
	v_cmp_eq_f64_e64 s[4:5], 0, v[4:5]
	s_and_b64 s[8:9], vcc, s[4:5]
	s_mov_b64 s[4:5], -1
	s_and_saveexec_b64 s[6:7], s[8:9]
; %bb.1:
	v_cmp_neq_f64_e32 vcc, 1.0, v[6:7]
	v_cmp_neq_f64_e64 s[4:5], 0, v[8:9]
	s_or_b64 s[4:5], vcc, s[4:5]
	s_orn2_b64 s[4:5], s[4:5], exec
; %bb.2:
	s_or_b64 exec, exec, s[6:7]
	s_and_saveexec_b64 s[6:7], s[4:5]
	s_cbranch_execz .LBB127_21
; %bb.3:
	s_load_dwordx2 s[14:15], s[0:1], 0x0
	v_lshrrev_b32_e32 v1, 3, v0
	v_lshl_or_b32 v22, s2, 4, v1
	s_waitcnt lgkmcnt(0)
	v_cmp_gt_i32_e32 vcc, s14, v22
	s_and_b64 exec, exec, vcc
	s_cbranch_execz .LBB127_21
; %bb.4:
	s_load_dwordx8 s[4:11], s[0:1], 0x18
	v_ashrrev_i32_e32 v23, 31, v22
	s_cmp_lg_u32 s15, 0
	s_waitcnt lgkmcnt(0)
	v_lshl_add_u64 v[10:11], v[22:23], 2, s[4:5]
	global_load_dwordx2 v[10:11], v[10:11], off
	v_and_b32_e32 v23, 7, v0
	s_waitcnt vmcnt(0)
	v_subrev_u32_e32 v0, s12, v10
	v_subrev_u32_e32 v48, s12, v11
	v_add_u32_e32 v30, v0, v23
	v_cmp_lt_i32_e64 s[2:3], v30, v48
	s_cbranch_scc0 .LBB127_10
; %bb.5:
	v_mov_b64_e32 v[26:27], 0
	v_mov_b64_e32 v[38:39], 0
	v_mov_b64_e32 v[32:33], 0
	v_mov_b64_e32 v[0:1], 0
	v_mov_b64_e32 v[34:35], 0
	v_mov_b64_e32 v[24:25], 0
	v_mov_b64_e32 v[36:37], 0
	v_mov_b64_e32 v[28:29], 0
	s_and_saveexec_b64 s[4:5], s[2:3]
	s_cbranch_execz .LBB127_9
; %bb.6:
	v_mad_u64_u32 v[40:41], s[14:15], v30, 20, 16
	v_mov_b64_e32 v[26:27], 0
	s_mov_b64 s[14:15], 0
	v_mov_b32_e32 v43, 0
	v_mov_b32_e32 v44, v30
	v_mov_b64_e32 v[38:39], 0
	v_mov_b64_e32 v[32:33], 0
	;; [unrolled: 1-line block ×7, first 2 shown]
.LBB127_7:                              ; =>This Inner Loop Header: Depth=1
	v_ashrrev_i32_e32 v45, 31, v44
	v_add_u32_e32 v42, -16, v40
	v_lshl_add_u64 v[10:11], v[44:45], 2, s[6:7]
	v_lshl_add_u64 v[12:13], v[42:43], 4, s[8:9]
	global_load_dword v31, v[10:11], off
	global_load_dwordx4 v[50:53], v[12:13], off offset:48
	global_load_dwordx4 v[54:57], v[12:13], off offset:32
	;; [unrolled: 1-line block ×3, first 2 shown]
	global_load_dwordx4 v[62:65], v[12:13], off
	v_mov_b32_e32 v41, v43
	v_mov_b32_e32 v47, v43
	v_add_u32_e32 v42, -12, v40
	v_lshl_add_u64 v[82:83], v[40:41], 4, s[8:9]
	v_lshl_add_u64 v[86:87], v[42:43], 4, s[8:9]
	global_load_dwordx4 v[10:13], v[82:83], off offset:48
	global_load_dwordx4 v[14:17], v[82:83], off offset:32
	;; [unrolled: 1-line block ×3, first 2 shown]
	global_load_dwordx4 v[66:69], v[82:83], off
	global_load_dwordx4 v[70:73], v[86:87], off offset:48
	global_load_dwordx4 v[74:77], v[86:87], off offset:32
	;; [unrolled: 1-line block ×3, first 2 shown]
	v_add_u32_e32 v44, 8, v44
	v_cmp_ge_i32_e32 vcc, v44, v48
	s_or_b64 s[14:15], vcc, s[14:15]
	s_waitcnt vmcnt(11)
	v_subrev_u32_e32 v31, s12, v31
	v_lshl_add_u32 v46, v31, 2, v31
	v_lshl_add_u64 v[82:83], v[46:47], 4, s[10:11]
	global_load_dwordx4 v[82:85], v[82:83], off
	v_add_u32_e32 v42, 1, v46
	s_waitcnt vmcnt(0)
	v_fmac_f64_e32 v[38:39], v[62:63], v[82:83]
	v_fma_f64 v[88:89], -v[64:65], v[84:85], v[38:39]
	v_lshl_add_u64 v[38:39], v[42:43], 4, s[10:11]
	v_add_u32_e32 v42, -8, v40
	v_fmac_f64_e32 v[28:29], v[60:61], v[82:83]
	v_fmac_f64_e32 v[26:27], v[64:65], v[82:83]
	v_fmac_f64_e32 v[36:37], v[58:59], v[82:83]
	v_fmac_f64_e32 v[28:29], v[58:59], v[84:85]
	v_lshl_add_u64 v[58:59], v[42:43], 4, s[8:9]
	v_fmac_f64_e32 v[34:35], v[54:55], v[82:83]
	v_fmac_f64_e32 v[24:25], v[56:57], v[82:83]
	;; [unrolled: 1-line block ×3, first 2 shown]
	global_load_dwordx4 v[62:65], v[86:87], off
	v_fma_f64 v[90:91], -v[56:57], v[84:85], v[34:35]
	v_fmac_f64_e32 v[24:25], v[54:55], v[84:85]
	global_load_dwordx4 v[54:57], v[58:59], off offset:48
	v_fma_f64 v[86:87], -v[60:61], v[84:85], v[36:37]
	global_load_dwordx4 v[36:39], v[38:39], off
	v_add_u32_e32 v42, 2, v46
	v_fmac_f64_e32 v[32:33], v[50:51], v[82:83]
	v_fmac_f64_e32 v[0:1], v[52:53], v[82:83]
	v_fma_f64 v[82:83], -v[52:53], v[84:85], v[32:33]
	v_fmac_f64_e32 v[0:1], v[50:51], v[84:85]
	global_load_dwordx4 v[32:35], v[58:59], off offset:32
	global_load_dwordx4 v[50:53], v[58:59], off offset:16
	s_waitcnt vmcnt(2)
	v_fmac_f64_e32 v[26:27], v[64:65], v[36:37]
	v_fmac_f64_e32 v[88:89], v[62:63], v[36:37]
	;; [unrolled: 1-line block ×3, first 2 shown]
	v_lshl_add_u64 v[62:63], v[42:43], 4, s[10:11]
	v_fma_f64 v[84:85], -v[64:65], v[38:39], v[88:89]
	global_load_dwordx4 v[58:61], v[58:59], off
	v_add_u32_e32 v42, -4, v40
	global_load_dwordx4 v[62:65], v[62:63], off
	v_fmac_f64_e32 v[28:29], v[80:81], v[36:37]
	v_fmac_f64_e32 v[86:87], v[78:79], v[36:37]
	;; [unrolled: 1-line block ×3, first 2 shown]
	v_lshl_add_u64 v[78:79], v[42:43], 4, s[8:9]
	v_add_u32_e32 v42, 3, v46
	v_fmac_f64_e32 v[90:91], v[74:75], v[36:37]
	v_fmac_f64_e32 v[24:25], v[76:77], v[36:37]
	;; [unrolled: 1-line block ×4, first 2 shown]
	v_fma_f64 v[86:87], -v[80:81], v[38:39], v[86:87]
	v_fma_f64 v[88:89], -v[76:77], v[38:39], v[90:91]
	v_fmac_f64_e32 v[24:25], v[74:75], v[38:39]
	global_load_dwordx4 v[74:77], v[78:79], off offset:48
	v_fma_f64 v[82:83], -v[72:73], v[38:39], v[82:83]
	v_fmac_f64_e32 v[0:1], v[70:71], v[38:39]
	global_load_dwordx4 v[36:39], v[78:79], off offset:32
	global_load_dwordx4 v[70:73], v[78:79], off offset:16
	v_add_u32_e32 v40, 0xa0, v40
	s_waitcnt vmcnt(3)
	v_fmac_f64_e32 v[84:85], v[58:59], v[62:63]
	v_fmac_f64_e32 v[26:27], v[60:61], v[62:63]
	v_fma_f64 v[84:85], -v[60:61], v[64:65], v[84:85]
	v_fmac_f64_e32 v[26:27], v[58:59], v[64:65]
	global_load_dwordx4 v[58:61], v[78:79], off
	v_lshl_add_u64 v[78:79], v[42:43], 4, s[10:11]
	v_add_u32_e32 v42, 4, v46
	global_load_dwordx4 v[78:81], v[78:79], off
	v_fmac_f64_e32 v[28:29], v[52:53], v[62:63]
	v_fmac_f64_e32 v[86:87], v[50:51], v[62:63]
	;; [unrolled: 1-line block ×3, first 2 shown]
	v_lshl_add_u64 v[50:51], v[42:43], 4, s[10:11]
	v_fma_f64 v[46:47], -v[52:53], v[64:65], v[86:87]
	global_load_dwordx4 v[50:53], v[50:51], off
	v_fmac_f64_e32 v[88:89], v[32:33], v[62:63]
	v_fmac_f64_e32 v[24:25], v[34:35], v[62:63]
	;; [unrolled: 1-line block ×4, first 2 shown]
	v_fma_f64 v[34:35], -v[34:35], v[64:65], v[88:89]
	v_fmac_f64_e32 v[24:25], v[32:33], v[64:65]
	v_fma_f64 v[32:33], -v[56:57], v[64:65], v[82:83]
	v_fmac_f64_e32 v[0:1], v[54:55], v[64:65]
	s_waitcnt vmcnt(1)
	v_fmac_f64_e32 v[84:85], v[58:59], v[78:79]
	v_fmac_f64_e32 v[26:27], v[60:61], v[78:79]
	;; [unrolled: 1-line block ×8, first 2 shown]
	v_fma_f64 v[54:55], -v[60:61], v[80:81], v[84:85]
	v_fmac_f64_e32 v[26:27], v[58:59], v[80:81]
	v_fma_f64 v[46:47], -v[72:73], v[80:81], v[46:47]
	v_fmac_f64_e32 v[28:29], v[70:71], v[80:81]
	;; [unrolled: 2-line block ×4, first 2 shown]
	s_waitcnt vmcnt(0)
	v_fmac_f64_e32 v[54:55], v[66:67], v[50:51]
	v_fmac_f64_e32 v[26:27], v[68:69], v[50:51]
	;; [unrolled: 1-line block ×8, first 2 shown]
	v_fma_f64 v[38:39], -v[68:69], v[52:53], v[54:55]
	v_fmac_f64_e32 v[26:27], v[66:67], v[52:53]
	v_fma_f64 v[36:37], -v[20:21], v[52:53], v[46:47]
	v_fmac_f64_e32 v[28:29], v[18:19], v[52:53]
	;; [unrolled: 2-line block ×4, first 2 shown]
	s_andn2_b64 exec, exec, s[14:15]
	s_cbranch_execnz .LBB127_7
; %bb.8:
	s_or_b64 exec, exec, s[14:15]
.LBB127_9:
	s_or_b64 exec, exec, s[4:5]
	s_cbranch_execz .LBB127_11
	s_branch .LBB127_16
.LBB127_10:
                                        ; implicit-def: $vgpr26_vgpr27
                                        ; implicit-def: $vgpr38_vgpr39
                                        ; implicit-def: $vgpr32_vgpr33
                                        ; implicit-def: $vgpr0_vgpr1
                                        ; implicit-def: $vgpr34_vgpr35
                                        ; implicit-def: $vgpr24_vgpr25
                                        ; implicit-def: $vgpr36_vgpr37
                                        ; implicit-def: $vgpr28_vgpr29
.LBB127_11:
	v_mov_b64_e32 v[26:27], 0
	v_mov_b64_e32 v[38:39], 0
	;; [unrolled: 1-line block ×8, first 2 shown]
	s_and_saveexec_b64 s[4:5], s[2:3]
	s_cbranch_execz .LBB127_15
; %bb.12:
	v_mad_u64_u32 v[10:11], s[2:3], v30, 20, 19
	v_mov_b64_e32 v[26:27], 0
	s_mov_b64 s[2:3], 0
	v_mov_b32_e32 v13, 0
	v_mov_b64_e32 v[38:39], 0
	v_mov_b64_e32 v[32:33], 0
	;; [unrolled: 1-line block ×7, first 2 shown]
.LBB127_13:                             ; =>This Inner Loop Header: Depth=1
	v_ashrrev_i32_e32 v31, 31, v30
	v_subrev_u32_e32 v12, 19, v10
	v_add_u32_e32 v20, -14, v10
	v_add_u32_e32 v18, -9, v10
	;; [unrolled: 1-line block ×3, first 2 shown]
	v_mov_b32_e32 v21, v13
	v_mov_b32_e32 v19, v13
	;; [unrolled: 1-line block ×4, first 2 shown]
	v_lshl_add_u64 v[70:71], v[30:31], 2, s[6:7]
	v_lshl_add_u64 v[72:73], v[12:13], 4, s[8:9]
	;; [unrolled: 1-line block ×6, first 2 shown]
	global_load_dword v11, v[70:71], off
	global_load_dwordx4 v[16:19], v[72:73], off offset:48
	global_load_dwordx4 v[40:43], v[72:73], off offset:32
	;; [unrolled: 1-line block ×3, first 2 shown]
	global_load_dwordx4 v[50:53], v[72:73], off
	global_load_dwordx4 v[54:57], v[20:21], off
	;; [unrolled: 1-line block ×5, first 2 shown]
	v_mov_b32_e32 v15, v13
	v_add_u32_e32 v30, 8, v30
	v_cmp_ge_i32_e32 vcc, v30, v48
	s_or_b64 s[2:3], vcc, s[2:3]
	s_waitcnt vmcnt(8)
	v_subrev_u32_e32 v11, s12, v11
	v_lshl_add_u32 v14, v11, 2, v11
	v_lshl_add_u64 v[20:21], v[14:15], 4, s[10:11]
	global_load_dwordx4 v[70:73], v[20:21], off
	v_add_u32_e32 v12, 1, v14
	v_lshl_add_u64 v[20:21], v[12:13], 4, s[10:11]
	v_add_u32_e32 v12, -13, v10
	global_load_dwordx4 v[74:77], v[20:21], off
	v_lshl_add_u64 v[20:21], v[12:13], 4, s[8:9]
	v_add_u32_e32 v12, -8, v10
	s_waitcnt vmcnt(1)
	v_fmac_f64_e32 v[38:39], v[50:51], v[70:71]
	v_fmac_f64_e32 v[26:27], v[52:53], v[70:71]
	v_fma_f64 v[78:79], -v[52:53], v[72:73], v[38:39]
	v_fmac_f64_e32 v[26:27], v[50:51], v[72:73]
	global_load_dwordx4 v[50:53], v[20:21], off
	v_lshl_add_u64 v[20:21], v[12:13], 4, s[8:9]
	v_add_u32_e32 v12, -3, v10
	v_fmac_f64_e32 v[36:37], v[54:55], v[70:71]
	v_fmac_f64_e32 v[28:29], v[56:57], v[70:71]
	v_fma_f64 v[80:81], -v[56:57], v[72:73], v[36:37]
	global_load_dwordx4 v[36:39], v[20:21], off
	v_lshl_add_u64 v[20:21], v[12:13], 4, s[8:9]
	v_fmac_f64_e32 v[28:29], v[54:55], v[72:73]
	v_add_u32_e32 v12, 2, v14
	global_load_dwordx4 v[54:57], v[20:21], off
	v_fmac_f64_e32 v[34:35], v[58:59], v[70:71]
	v_lshl_add_u64 v[20:21], v[12:13], 4, s[10:11]
	v_add_u32_e32 v12, -12, v10
	v_fmac_f64_e32 v[32:33], v[62:63], v[70:71]
	v_fmac_f64_e32 v[24:25], v[60:61], v[70:71]
	v_fma_f64 v[82:83], -v[60:61], v[72:73], v[34:35]
	v_fmac_f64_e32 v[0:1], v[64:65], v[70:71]
	v_fma_f64 v[64:65], -v[64:65], v[72:73], v[32:33]
	global_load_dwordx4 v[32:35], v[20:21], off
	v_lshl_add_u64 v[20:21], v[12:13], 4, s[8:9]
	v_add_u32_e32 v12, -7, v10
	v_fmac_f64_e32 v[24:25], v[58:59], v[72:73]
	global_load_dwordx4 v[58:61], v[20:21], off
	v_lshl_add_u64 v[20:21], v[12:13], 4, s[8:9]
	v_add_u32_e32 v12, -2, v10
	s_waitcnt vmcnt(5)
	v_fmac_f64_e32 v[78:79], v[44:45], v[74:75]
	v_fmac_f64_e32 v[26:27], v[46:47], v[74:75]
	v_fma_f64 v[70:71], -v[46:47], v[76:77], v[78:79]
	v_fmac_f64_e32 v[26:27], v[44:45], v[76:77]
	global_load_dwordx4 v[44:47], v[20:21], off
	v_lshl_add_u64 v[20:21], v[12:13], 4, s[8:9]
	v_add_u32_e32 v12, 3, v14
	v_fmac_f64_e32 v[0:1], v[62:63], v[72:73]
	s_waitcnt vmcnt(5)
	v_fmac_f64_e32 v[80:81], v[50:51], v[74:75]
	v_fmac_f64_e32 v[28:29], v[52:53], v[74:75]
	v_fma_f64 v[78:79], -v[52:53], v[76:77], v[80:81]
	v_fmac_f64_e32 v[28:29], v[50:51], v[76:77]
	global_load_dwordx4 v[50:53], v[20:21], off
	v_lshl_add_u64 v[20:21], v[12:13], 4, s[10:11]
	v_add_u32_e32 v12, -11, v10
	s_waitcnt vmcnt(5)
	v_fmac_f64_e32 v[82:83], v[36:37], v[74:75]
	v_fmac_f64_e32 v[24:25], v[38:39], v[74:75]
	v_fma_f64 v[80:81], -v[38:39], v[76:77], v[82:83]
	v_fmac_f64_e32 v[24:25], v[36:37], v[76:77]
	global_load_dwordx4 v[36:39], v[20:21], off
	v_lshl_add_u64 v[20:21], v[12:13], 4, s[8:9]
	v_add_u32_e32 v12, -6, v10
	;; [unrolled: 8-line block ×3, first 2 shown]
	v_lshl_add_u64 v[76:77], v[12:13], 4, s[8:9]
	v_add_u32_e32 v12, -15, v10
	v_lshl_add_u64 v[82:83], v[12:13], 4, s[8:9]
	v_add_u32_e32 v12, 4, v14
	s_waitcnt vmcnt(4)
	v_fmac_f64_e32 v[28:29], v[60:61], v[32:33]
	v_fmac_f64_e32 v[78:79], v[58:59], v[32:33]
	;; [unrolled: 1-line block ×3, first 2 shown]
	v_lshl_add_u64 v[58:59], v[12:13], 4, s[10:11]
	v_add_u32_e32 v12, -10, v10
	s_waitcnt vmcnt(3)
	v_fmac_f64_e32 v[24:25], v[46:47], v[32:33]
	global_load_dwordx4 v[62:65], v[20:21], off
	v_fmac_f64_e32 v[70:71], v[40:41], v[32:33]
	v_fmac_f64_e32 v[26:27], v[42:43], v[32:33]
	;; [unrolled: 1-line block ×4, first 2 shown]
	v_lshl_add_u64 v[44:45], v[12:13], 4, s[8:9]
	v_add_u32_e32 v12, -5, v10
	v_fma_f64 v[14:15], -v[42:43], v[34:35], v[70:71]
	v_fmac_f64_e32 v[26:27], v[40:41], v[34:35]
	global_load_dwordx4 v[40:43], v[76:77], off
	global_load_dwordx4 v[70:73], v[82:83], off
	v_fma_f64 v[20:21], -v[60:61], v[34:35], v[78:79]
	v_fma_f64 v[76:77], -v[46:47], v[34:35], v[80:81]
	global_load_dwordx4 v[58:61], v[58:59], off
	v_add_u32_e32 v10, 0xa0, v10
	global_load_dwordx4 v[44:47], v[44:45], off
	s_waitcnt vmcnt(7)
	v_fmac_f64_e32 v[74:75], v[50:51], v[32:33]
	v_fmac_f64_e32 v[0:1], v[52:53], v[32:33]
	v_fma_f64 v[32:33], -v[52:53], v[34:35], v[74:75]
	v_fmac_f64_e32 v[0:1], v[50:51], v[34:35]
	v_lshl_add_u64 v[34:35], v[12:13], 4, s[8:9]
	global_load_dwordx4 v[50:53], v[34:35], off
	s_waitcnt vmcnt(7)
	v_fmac_f64_e32 v[14:15], v[16:17], v[36:37]
	v_fmac_f64_e32 v[26:27], v[18:19], v[36:37]
	v_fma_f64 v[14:15], -v[18:19], v[38:39], v[14:15]
	v_fmac_f64_e32 v[26:27], v[16:17], v[38:39]
	s_waitcnt vmcnt(6)
	v_fmac_f64_e32 v[20:21], v[54:55], v[36:37]
	v_fmac_f64_e32 v[28:29], v[56:57], v[36:37]
	v_fma_f64 v[16:17], -v[56:57], v[38:39], v[20:21]
	v_fmac_f64_e32 v[28:29], v[54:55], v[38:39]
	;; [unrolled: 5-line block ×4, first 2 shown]
	s_waitcnt vmcnt(2)
	v_fmac_f64_e32 v[14:15], v[70:71], v[58:59]
	v_fmac_f64_e32 v[26:27], v[72:73], v[58:59]
	v_fmac_f64_e32 v[20:21], v[66:67], v[58:59]
	v_fmac_f64_e32 v[0:1], v[68:69], v[58:59]
	s_waitcnt vmcnt(1)
	v_fmac_f64_e32 v[16:17], v[44:45], v[58:59]
	v_fmac_f64_e32 v[28:29], v[46:47], v[58:59]
	v_fma_f64 v[38:39], -v[72:73], v[60:61], v[14:15]
	v_fmac_f64_e32 v[26:27], v[70:71], v[60:61]
	v_fma_f64 v[32:33], -v[68:69], v[60:61], v[20:21]
	;; [unrolled: 2-line block ×3, first 2 shown]
	v_fmac_f64_e32 v[28:29], v[44:45], v[60:61]
	s_waitcnt vmcnt(0)
	v_fmac_f64_e32 v[18:19], v[50:51], v[58:59]
	v_fmac_f64_e32 v[24:25], v[52:53], v[58:59]
	v_fma_f64 v[34:35], -v[52:53], v[60:61], v[18:19]
	v_fmac_f64_e32 v[24:25], v[50:51], v[60:61]
	s_andn2_b64 exec, exec, s[2:3]
	s_cbranch_execnz .LBB127_13
; %bb.14:
	s_or_b64 exec, exec, s[2:3]
.LBB127_15:
	s_or_b64 exec, exec, s[4:5]
.LBB127_16:
	v_mov_b32_dpp v14, v26 row_shr:1 row_mask:0xf bank_mask:0xf
	v_mov_b32_dpp v15, v27 row_shr:1 row_mask:0xf bank_mask:0xf
	v_add_f64 v[14:15], v[26:27], v[14:15]
	v_mov_b32_dpp v10, v38 row_shr:1 row_mask:0xf bank_mask:0xf
	v_mov_b32_dpp v11, v39 row_shr:1 row_mask:0xf bank_mask:0xf
	;; [unrolled: 1-line block ×4, first 2 shown]
	v_add_f64 v[14:15], v[14:15], v[16:17]
	v_mov_b32_dpp v16, v36 row_shr:1 row_mask:0xf bank_mask:0xf
	v_mov_b32_dpp v17, v37 row_shr:1 row_mask:0xf bank_mask:0xf
	v_add_f64 v[16:17], v[36:37], v[16:17]
	v_add_f64 v[10:11], v[38:39], v[10:11]
	v_mov_b32_dpp v18, v14 row_shr:4 row_mask:0xf bank_mask:0xe
	v_mov_b32_dpp v20, v16 row_shr:2 row_mask:0xf bank_mask:0xf
	;; [unrolled: 1-line block ×3, first 2 shown]
	v_add_f64 v[20:21], v[16:17], v[20:21]
	v_mov_b32_dpp v16, v28 row_shr:1 row_mask:0xf bank_mask:0xf
	v_mov_b32_dpp v17, v29 row_shr:1 row_mask:0xf bank_mask:0xf
	v_add_f64 v[16:17], v[28:29], v[16:17]
	v_mov_b32_dpp v12, v10 row_shr:2 row_mask:0xf bank_mask:0xf
	v_mov_b32_dpp v13, v11 row_shr:2 row_mask:0xf bank_mask:0xf
	;; [unrolled: 1-line block ×4, first 2 shown]
	v_add_f64 v[28:29], v[16:17], v[28:29]
	v_mov_b32_dpp v16, v34 row_shr:1 row_mask:0xf bank_mask:0xf
	v_mov_b32_dpp v17, v35 row_shr:1 row_mask:0xf bank_mask:0xf
	v_add_f64 v[16:17], v[34:35], v[16:17]
	v_add_f64 v[10:11], v[10:11], v[12:13]
	v_mov_b32_dpp v19, v15 row_shr:4 row_mask:0xf bank_mask:0xe
	v_mov_b32_dpp v34, v16 row_shr:2 row_mask:0xf bank_mask:0xf
	v_mov_b32_dpp v35, v17 row_shr:2 row_mask:0xf bank_mask:0xf
	v_add_f64 v[34:35], v[16:17], v[34:35]
	v_mov_b32_dpp v16, v24 row_shr:1 row_mask:0xf bank_mask:0xf
	v_mov_b32_dpp v17, v25 row_shr:1 row_mask:0xf bank_mask:0xf
	v_add_f64 v[16:17], v[24:25], v[16:17]
	v_mov_b32_dpp v12, v10 row_shr:4 row_mask:0xf bank_mask:0xe
	v_mov_b32_dpp v13, v11 row_shr:4 row_mask:0xf bank_mask:0xe
	v_mov_b32_dpp v24, v16 row_shr:2 row_mask:0xf bank_mask:0xf
	v_mov_b32_dpp v25, v17 row_shr:2 row_mask:0xf bank_mask:0xf
	v_add_f64 v[38:39], v[16:17], v[24:25]
	v_mov_b32_dpp v16, v32 row_shr:1 row_mask:0xf bank_mask:0xf
	v_mov_b32_dpp v17, v33 row_shr:1 row_mask:0xf bank_mask:0xf
	v_add_f64 v[16:17], v[32:33], v[16:17]
	v_mov_b32_dpp v26, v20 row_shr:4 row_mask:0xf bank_mask:0xe
	v_mov_b32_dpp v27, v21 row_shr:4 row_mask:0xf bank_mask:0xe
	v_mov_b32_dpp v24, v16 row_shr:2 row_mask:0xf bank_mask:0xf
	v_mov_b32_dpp v25, v17 row_shr:2 row_mask:0xf bank_mask:0xf
	v_add_f64 v[32:33], v[16:17], v[24:25]
	v_mov_b32_dpp v16, v0 row_shr:1 row_mask:0xf bank_mask:0xf
	v_mov_b32_dpp v17, v1 row_shr:1 row_mask:0xf bank_mask:0xf
	v_add_f64 v[0:1], v[0:1], v[16:17]
	v_mov_b32_dpp v30, v28 row_shr:4 row_mask:0xf bank_mask:0xe
	v_mov_b32_dpp v31, v29 row_shr:4 row_mask:0xf bank_mask:0xe
	v_mov_b32_dpp v16, v0 row_shr:2 row_mask:0xf bank_mask:0xf
	;; [unrolled: 1-line block ×3, first 2 shown]
	v_add_f64 v[44:45], v[0:1], v[16:17]
	v_mov_b32_dpp v36, v34 row_shr:4 row_mask:0xf bank_mask:0xe
	v_mov_b32_dpp v37, v35 row_shr:4 row_mask:0xf bank_mask:0xe
	;; [unrolled: 1-line block ×8, first 2 shown]
	v_cmp_eq_u32_e32 vcc, 7, v23
	s_and_b64 exec, exec, vcc
	s_cbranch_execz .LBB127_21
; %bb.17:
	s_load_dwordx2 s[2:3], s[0:1], 0x48
	v_cmp_eq_f64_e32 vcc, 0, v[6:7]
	v_cmp_eq_f64_e64 s[0:1], 0, v[8:9]
	v_add_f64 v[16:17], v[10:11], v[12:13]
	v_add_f64 v[24:25], v[14:15], v[18:19]
	;; [unrolled: 1-line block ×8, first 2 shown]
	s_and_b64 s[0:1], vcc, s[0:1]
	s_and_saveexec_b64 s[4:5], s[0:1]
	s_xor_b64 s[0:1], exec, s[4:5]
	s_cbranch_execz .LBB127_19
; %bb.18:
	v_mul_f64 v[6:7], v[24:25], -v[4:5]
	v_mul_f64 v[8:9], v[2:3], v[24:25]
	v_fmac_f64_e32 v[6:7], v[2:3], v[16:17]
	v_fmac_f64_e32 v[8:9], v[4:5], v[16:17]
	v_lshlrev_b32_e32 v16, 2, v22
	v_ashrrev_i32_e32 v17, 31, v16
	s_waitcnt lgkmcnt(0)
	v_lshl_add_u64 v[16:17], v[16:17], 4, s[2:3]
	global_store_dwordx4 v[16:17], v[6:9], off
                                        ; implicit-def: $vgpr22
                                        ; implicit-def: $vgpr24_vgpr25
	s_nop 1
	v_mul_f64 v[6:7], v[20:21], -v[4:5]
	v_mul_f64 v[8:9], v[2:3], v[20:21]
	v_fmac_f64_e32 v[6:7], v[2:3], v[12:13]
	v_fmac_f64_e32 v[8:9], v[4:5], v[12:13]
	global_store_dwordx4 v[16:17], v[6:9], off offset:16
                                        ; implicit-def: $vgpr12_vgpr13
                                        ; implicit-def: $vgpr20_vgpr21
	s_nop 1
	v_mul_f64 v[6:7], v[18:19], -v[4:5]
	v_mul_f64 v[8:9], v[2:3], v[18:19]
	v_fmac_f64_e32 v[6:7], v[2:3], v[10:11]
	v_fmac_f64_e32 v[8:9], v[4:5], v[10:11]
	global_store_dwordx4 v[16:17], v[6:9], off offset:32
                                        ; implicit-def: $vgpr10_vgpr11
                                        ; implicit-def: $vgpr18_vgpr19
	s_nop 1
	v_mul_f64 v[6:7], v[14:15], -v[4:5]
	v_mul_f64 v[8:9], v[2:3], v[14:15]
	v_fmac_f64_e32 v[6:7], v[2:3], v[0:1]
	v_fmac_f64_e32 v[8:9], v[4:5], v[0:1]
	global_store_dwordx4 v[16:17], v[6:9], off offset:48
                                        ; implicit-def: $vgpr16_vgpr17
                                        ; implicit-def: $vgpr0_vgpr1
                                        ; implicit-def: $vgpr14_vgpr15
                                        ; implicit-def: $vgpr8_vgpr9
                                        ; implicit-def: $vgpr4_vgpr5
.LBB127_19:
	s_andn2_saveexec_b64 s[0:1], s[0:1]
	s_cbranch_execz .LBB127_21
; %bb.20:
	v_lshlrev_b32_e32 v22, 2, v22
	v_ashrrev_i32_e32 v23, 31, v22
	s_waitcnt lgkmcnt(0)
	v_lshl_add_u64 v[46:47], v[22:23], 4, s[2:3]
	global_load_dwordx4 v[26:29], v[46:47], off
	global_load_dwordx4 v[30:33], v[46:47], off offset:16
	global_load_dwordx4 v[34:37], v[46:47], off offset:32
	;; [unrolled: 1-line block ×3, first 2 shown]
	v_mul_f64 v[42:43], v[24:25], -v[4:5]
	v_mul_f64 v[22:23], v[2:3], v[24:25]
	v_mul_f64 v[24:25], v[20:21], -v[4:5]
	v_mul_f64 v[44:45], v[2:3], v[20:21]
	;; [unrolled: 2-line block ×4, first 2 shown]
	v_fmac_f64_e32 v[42:43], v[2:3], v[16:17]
	v_fmac_f64_e32 v[22:23], v[4:5], v[16:17]
	;; [unrolled: 1-line block ×8, first 2 shown]
	s_waitcnt vmcnt(3)
	v_fmac_f64_e32 v[42:43], v[6:7], v[26:27]
	v_fmac_f64_e32 v[22:23], v[8:9], v[26:27]
	s_waitcnt vmcnt(2)
	v_fmac_f64_e32 v[24:25], v[6:7], v[30:31]
	v_fmac_f64_e32 v[44:45], v[8:9], v[30:31]
	;; [unrolled: 3-line block ×4, first 2 shown]
	v_fma_f64 v[20:21], -v[8:9], v[28:29], v[42:43]
	v_fmac_f64_e32 v[22:23], v[6:7], v[28:29]
	v_fma_f64 v[42:43], -v[8:9], v[32:33], v[24:25]
	v_fmac_f64_e32 v[44:45], v[6:7], v[32:33]
	;; [unrolled: 2-line block ×4, first 2 shown]
	global_store_dwordx4 v[46:47], v[20:23], off
	global_store_dwordx4 v[46:47], v[42:45], off offset:16
	global_store_dwordx4 v[46:47], v[16:19], off offset:32
	;; [unrolled: 1-line block ×3, first 2 shown]
.LBB127_21:
	s_endpgm
	.section	.rodata,"a",@progbits
	.p2align	6, 0x0
	.amdhsa_kernel _ZN9rocsparseL19gebsrmvn_4xn_kernelILj128ELj5ELj8E21rocsparse_complex_numIdEEEvi20rocsparse_direction_NS_24const_host_device_scalarIT2_EEPKiS8_PKS5_SA_S6_PS5_21rocsparse_index_base_b
		.amdhsa_group_segment_fixed_size 0
		.amdhsa_private_segment_fixed_size 0
		.amdhsa_kernarg_size 88
		.amdhsa_user_sgpr_count 2
		.amdhsa_user_sgpr_dispatch_ptr 0
		.amdhsa_user_sgpr_queue_ptr 0
		.amdhsa_user_sgpr_kernarg_segment_ptr 1
		.amdhsa_user_sgpr_dispatch_id 0
		.amdhsa_user_sgpr_kernarg_preload_length 0
		.amdhsa_user_sgpr_kernarg_preload_offset 0
		.amdhsa_user_sgpr_private_segment_size 0
		.amdhsa_uses_dynamic_stack 0
		.amdhsa_enable_private_segment 0
		.amdhsa_system_sgpr_workgroup_id_x 1
		.amdhsa_system_sgpr_workgroup_id_y 0
		.amdhsa_system_sgpr_workgroup_id_z 0
		.amdhsa_system_sgpr_workgroup_info 0
		.amdhsa_system_vgpr_workitem_id 0
		.amdhsa_next_free_vgpr 92
		.amdhsa_next_free_sgpr 16
		.amdhsa_accum_offset 92
		.amdhsa_reserve_vcc 1
		.amdhsa_float_round_mode_32 0
		.amdhsa_float_round_mode_16_64 0
		.amdhsa_float_denorm_mode_32 3
		.amdhsa_float_denorm_mode_16_64 3
		.amdhsa_dx10_clamp 1
		.amdhsa_ieee_mode 1
		.amdhsa_fp16_overflow 0
		.amdhsa_tg_split 0
		.amdhsa_exception_fp_ieee_invalid_op 0
		.amdhsa_exception_fp_denorm_src 0
		.amdhsa_exception_fp_ieee_div_zero 0
		.amdhsa_exception_fp_ieee_overflow 0
		.amdhsa_exception_fp_ieee_underflow 0
		.amdhsa_exception_fp_ieee_inexact 0
		.amdhsa_exception_int_div_zero 0
	.end_amdhsa_kernel
	.section	.text._ZN9rocsparseL19gebsrmvn_4xn_kernelILj128ELj5ELj8E21rocsparse_complex_numIdEEEvi20rocsparse_direction_NS_24const_host_device_scalarIT2_EEPKiS8_PKS5_SA_S6_PS5_21rocsparse_index_base_b,"axG",@progbits,_ZN9rocsparseL19gebsrmvn_4xn_kernelILj128ELj5ELj8E21rocsparse_complex_numIdEEEvi20rocsparse_direction_NS_24const_host_device_scalarIT2_EEPKiS8_PKS5_SA_S6_PS5_21rocsparse_index_base_b,comdat
.Lfunc_end127:
	.size	_ZN9rocsparseL19gebsrmvn_4xn_kernelILj128ELj5ELj8E21rocsparse_complex_numIdEEEvi20rocsparse_direction_NS_24const_host_device_scalarIT2_EEPKiS8_PKS5_SA_S6_PS5_21rocsparse_index_base_b, .Lfunc_end127-_ZN9rocsparseL19gebsrmvn_4xn_kernelILj128ELj5ELj8E21rocsparse_complex_numIdEEEvi20rocsparse_direction_NS_24const_host_device_scalarIT2_EEPKiS8_PKS5_SA_S6_PS5_21rocsparse_index_base_b
                                        ; -- End function
	.set _ZN9rocsparseL19gebsrmvn_4xn_kernelILj128ELj5ELj8E21rocsparse_complex_numIdEEEvi20rocsparse_direction_NS_24const_host_device_scalarIT2_EEPKiS8_PKS5_SA_S6_PS5_21rocsparse_index_base_b.num_vgpr, 92
	.set _ZN9rocsparseL19gebsrmvn_4xn_kernelILj128ELj5ELj8E21rocsparse_complex_numIdEEEvi20rocsparse_direction_NS_24const_host_device_scalarIT2_EEPKiS8_PKS5_SA_S6_PS5_21rocsparse_index_base_b.num_agpr, 0
	.set _ZN9rocsparseL19gebsrmvn_4xn_kernelILj128ELj5ELj8E21rocsparse_complex_numIdEEEvi20rocsparse_direction_NS_24const_host_device_scalarIT2_EEPKiS8_PKS5_SA_S6_PS5_21rocsparse_index_base_b.numbered_sgpr, 16
	.set _ZN9rocsparseL19gebsrmvn_4xn_kernelILj128ELj5ELj8E21rocsparse_complex_numIdEEEvi20rocsparse_direction_NS_24const_host_device_scalarIT2_EEPKiS8_PKS5_SA_S6_PS5_21rocsparse_index_base_b.num_named_barrier, 0
	.set _ZN9rocsparseL19gebsrmvn_4xn_kernelILj128ELj5ELj8E21rocsparse_complex_numIdEEEvi20rocsparse_direction_NS_24const_host_device_scalarIT2_EEPKiS8_PKS5_SA_S6_PS5_21rocsparse_index_base_b.private_seg_size, 0
	.set _ZN9rocsparseL19gebsrmvn_4xn_kernelILj128ELj5ELj8E21rocsparse_complex_numIdEEEvi20rocsparse_direction_NS_24const_host_device_scalarIT2_EEPKiS8_PKS5_SA_S6_PS5_21rocsparse_index_base_b.uses_vcc, 1
	.set _ZN9rocsparseL19gebsrmvn_4xn_kernelILj128ELj5ELj8E21rocsparse_complex_numIdEEEvi20rocsparse_direction_NS_24const_host_device_scalarIT2_EEPKiS8_PKS5_SA_S6_PS5_21rocsparse_index_base_b.uses_flat_scratch, 0
	.set _ZN9rocsparseL19gebsrmvn_4xn_kernelILj128ELj5ELj8E21rocsparse_complex_numIdEEEvi20rocsparse_direction_NS_24const_host_device_scalarIT2_EEPKiS8_PKS5_SA_S6_PS5_21rocsparse_index_base_b.has_dyn_sized_stack, 0
	.set _ZN9rocsparseL19gebsrmvn_4xn_kernelILj128ELj5ELj8E21rocsparse_complex_numIdEEEvi20rocsparse_direction_NS_24const_host_device_scalarIT2_EEPKiS8_PKS5_SA_S6_PS5_21rocsparse_index_base_b.has_recursion, 0
	.set _ZN9rocsparseL19gebsrmvn_4xn_kernelILj128ELj5ELj8E21rocsparse_complex_numIdEEEvi20rocsparse_direction_NS_24const_host_device_scalarIT2_EEPKiS8_PKS5_SA_S6_PS5_21rocsparse_index_base_b.has_indirect_call, 0
	.section	.AMDGPU.csdata,"",@progbits
; Kernel info:
; codeLenInByte = 3340
; TotalNumSgprs: 22
; NumVgprs: 92
; NumAgprs: 0
; TotalNumVgprs: 92
; ScratchSize: 0
; MemoryBound: 0
; FloatMode: 240
; IeeeMode: 1
; LDSByteSize: 0 bytes/workgroup (compile time only)
; SGPRBlocks: 2
; VGPRBlocks: 11
; NumSGPRsForWavesPerEU: 22
; NumVGPRsForWavesPerEU: 92
; AccumOffset: 92
; Occupancy: 5
; WaveLimiterHint : 1
; COMPUTE_PGM_RSRC2:SCRATCH_EN: 0
; COMPUTE_PGM_RSRC2:USER_SGPR: 2
; COMPUTE_PGM_RSRC2:TRAP_HANDLER: 0
; COMPUTE_PGM_RSRC2:TGID_X_EN: 1
; COMPUTE_PGM_RSRC2:TGID_Y_EN: 0
; COMPUTE_PGM_RSRC2:TGID_Z_EN: 0
; COMPUTE_PGM_RSRC2:TIDIG_COMP_CNT: 0
; COMPUTE_PGM_RSRC3_GFX90A:ACCUM_OFFSET: 22
; COMPUTE_PGM_RSRC3_GFX90A:TG_SPLIT: 0
	.section	.text._ZN9rocsparseL19gebsrmvn_4xn_kernelILj128ELj5ELj16E21rocsparse_complex_numIdEEEvi20rocsparse_direction_NS_24const_host_device_scalarIT2_EEPKiS8_PKS5_SA_S6_PS5_21rocsparse_index_base_b,"axG",@progbits,_ZN9rocsparseL19gebsrmvn_4xn_kernelILj128ELj5ELj16E21rocsparse_complex_numIdEEEvi20rocsparse_direction_NS_24const_host_device_scalarIT2_EEPKiS8_PKS5_SA_S6_PS5_21rocsparse_index_base_b,comdat
	.globl	_ZN9rocsparseL19gebsrmvn_4xn_kernelILj128ELj5ELj16E21rocsparse_complex_numIdEEEvi20rocsparse_direction_NS_24const_host_device_scalarIT2_EEPKiS8_PKS5_SA_S6_PS5_21rocsparse_index_base_b ; -- Begin function _ZN9rocsparseL19gebsrmvn_4xn_kernelILj128ELj5ELj16E21rocsparse_complex_numIdEEEvi20rocsparse_direction_NS_24const_host_device_scalarIT2_EEPKiS8_PKS5_SA_S6_PS5_21rocsparse_index_base_b
	.p2align	8
	.type	_ZN9rocsparseL19gebsrmvn_4xn_kernelILj128ELj5ELj16E21rocsparse_complex_numIdEEEvi20rocsparse_direction_NS_24const_host_device_scalarIT2_EEPKiS8_PKS5_SA_S6_PS5_21rocsparse_index_base_b,@function
_ZN9rocsparseL19gebsrmvn_4xn_kernelILj128ELj5ELj16E21rocsparse_complex_numIdEEEvi20rocsparse_direction_NS_24const_host_device_scalarIT2_EEPKiS8_PKS5_SA_S6_PS5_21rocsparse_index_base_b: ; @_ZN9rocsparseL19gebsrmvn_4xn_kernelILj128ELj5ELj16E21rocsparse_complex_numIdEEEvi20rocsparse_direction_NS_24const_host_device_scalarIT2_EEPKiS8_PKS5_SA_S6_PS5_21rocsparse_index_base_b
; %bb.0:
	s_load_dwordx2 s[4:5], s[0:1], 0x8
	s_load_dwordx2 s[6:7], s[0:1], 0x38
	;; [unrolled: 1-line block ×3, first 2 shown]
	s_add_u32 s3, s0, 8
	s_addc_u32 s8, s1, 0
	s_add_u32 s9, s0, 56
	s_addc_u32 s10, s1, 0
	s_waitcnt lgkmcnt(0)
	s_bitcmp1_b32 s13, 0
	s_cselect_b32 s5, s8, s5
	s_cselect_b32 s3, s3, s4
	v_mov_b32_e32 v2, s3
	v_mov_b32_e32 v3, s5
	flat_load_dwordx4 v[2:5], v[2:3]
	s_cselect_b32 s3, s10, s7
	s_cselect_b32 s4, s9, s6
	v_mov_b32_e32 v6, s4
	v_mov_b32_e32 v7, s3
	flat_load_dwordx4 v[6:9], v[6:7]
	s_waitcnt vmcnt(0) lgkmcnt(0)
	v_cmp_eq_f64_e32 vcc, 0, v[2:3]
	v_cmp_eq_f64_e64 s[4:5], 0, v[4:5]
	s_and_b64 s[8:9], vcc, s[4:5]
	s_mov_b64 s[4:5], -1
	s_and_saveexec_b64 s[6:7], s[8:9]
; %bb.1:
	v_cmp_neq_f64_e32 vcc, 1.0, v[6:7]
	v_cmp_neq_f64_e64 s[4:5], 0, v[8:9]
	s_or_b64 s[4:5], vcc, s[4:5]
	s_orn2_b64 s[4:5], s[4:5], exec
; %bb.2:
	s_or_b64 exec, exec, s[6:7]
	s_and_saveexec_b64 s[6:7], s[4:5]
	s_cbranch_execz .LBB128_21
; %bb.3:
	s_load_dwordx2 s[14:15], s[0:1], 0x0
	v_lshrrev_b32_e32 v1, 4, v0
	v_lshl_or_b32 v22, s2, 3, v1
	s_waitcnt lgkmcnt(0)
	v_cmp_gt_i32_e32 vcc, s14, v22
	s_and_b64 exec, exec, vcc
	s_cbranch_execz .LBB128_21
; %bb.4:
	s_load_dwordx8 s[4:11], s[0:1], 0x18
	v_ashrrev_i32_e32 v23, 31, v22
	s_cmp_lg_u32 s15, 0
	s_waitcnt lgkmcnt(0)
	v_lshl_add_u64 v[10:11], v[22:23], 2, s[4:5]
	global_load_dwordx2 v[10:11], v[10:11], off
	v_and_b32_e32 v23, 15, v0
	s_waitcnt vmcnt(0)
	v_subrev_u32_e32 v0, s12, v10
	v_subrev_u32_e32 v48, s12, v11
	v_add_u32_e32 v30, v0, v23
	v_cmp_lt_i32_e64 s[2:3], v30, v48
	s_cbranch_scc0 .LBB128_10
; %bb.5:
	v_mov_b64_e32 v[26:27], 0
	v_mov_b64_e32 v[38:39], 0
	;; [unrolled: 1-line block ×8, first 2 shown]
	s_and_saveexec_b64 s[4:5], s[2:3]
	s_cbranch_execz .LBB128_9
; %bb.6:
	v_mad_u64_u32 v[40:41], s[14:15], v30, 20, 16
	v_mov_b64_e32 v[26:27], 0
	s_mov_b64 s[14:15], 0
	v_mov_b32_e32 v43, 0
	v_mov_b32_e32 v44, v30
	v_mov_b64_e32 v[38:39], 0
	v_mov_b64_e32 v[32:33], 0
	v_mov_b64_e32 v[0:1], 0
	v_mov_b64_e32 v[34:35], 0
	v_mov_b64_e32 v[24:25], 0
	v_mov_b64_e32 v[36:37], 0
	v_mov_b64_e32 v[28:29], 0
.LBB128_7:                              ; =>This Inner Loop Header: Depth=1
	v_ashrrev_i32_e32 v45, 31, v44
	v_add_u32_e32 v42, -16, v40
	v_lshl_add_u64 v[10:11], v[44:45], 2, s[6:7]
	v_lshl_add_u64 v[12:13], v[42:43], 4, s[8:9]
	global_load_dword v31, v[10:11], off
	global_load_dwordx4 v[50:53], v[12:13], off offset:48
	global_load_dwordx4 v[54:57], v[12:13], off offset:32
	;; [unrolled: 1-line block ×3, first 2 shown]
	global_load_dwordx4 v[62:65], v[12:13], off
	v_mov_b32_e32 v41, v43
	v_mov_b32_e32 v47, v43
	v_add_u32_e32 v42, -12, v40
	v_lshl_add_u64 v[82:83], v[40:41], 4, s[8:9]
	v_lshl_add_u64 v[86:87], v[42:43], 4, s[8:9]
	global_load_dwordx4 v[10:13], v[82:83], off offset:48
	global_load_dwordx4 v[14:17], v[82:83], off offset:32
	;; [unrolled: 1-line block ×3, first 2 shown]
	global_load_dwordx4 v[66:69], v[82:83], off
	global_load_dwordx4 v[70:73], v[86:87], off offset:48
	global_load_dwordx4 v[74:77], v[86:87], off offset:32
	;; [unrolled: 1-line block ×3, first 2 shown]
	v_add_u32_e32 v44, 16, v44
	v_cmp_ge_i32_e32 vcc, v44, v48
	s_or_b64 s[14:15], vcc, s[14:15]
	s_waitcnt vmcnt(11)
	v_subrev_u32_e32 v31, s12, v31
	v_lshl_add_u32 v46, v31, 2, v31
	v_lshl_add_u64 v[82:83], v[46:47], 4, s[10:11]
	global_load_dwordx4 v[82:85], v[82:83], off
	v_add_u32_e32 v42, 1, v46
	s_waitcnt vmcnt(0)
	v_fmac_f64_e32 v[38:39], v[62:63], v[82:83]
	v_fma_f64 v[88:89], -v[64:65], v[84:85], v[38:39]
	v_lshl_add_u64 v[38:39], v[42:43], 4, s[10:11]
	v_add_u32_e32 v42, -8, v40
	v_fmac_f64_e32 v[28:29], v[60:61], v[82:83]
	v_fmac_f64_e32 v[26:27], v[64:65], v[82:83]
	;; [unrolled: 1-line block ×4, first 2 shown]
	v_lshl_add_u64 v[58:59], v[42:43], 4, s[8:9]
	v_fmac_f64_e32 v[34:35], v[54:55], v[82:83]
	v_fmac_f64_e32 v[24:25], v[56:57], v[82:83]
	v_fmac_f64_e32 v[26:27], v[62:63], v[84:85]
	global_load_dwordx4 v[62:65], v[86:87], off
	v_fma_f64 v[90:91], -v[56:57], v[84:85], v[34:35]
	v_fmac_f64_e32 v[24:25], v[54:55], v[84:85]
	global_load_dwordx4 v[54:57], v[58:59], off offset:48
	v_fma_f64 v[86:87], -v[60:61], v[84:85], v[36:37]
	global_load_dwordx4 v[36:39], v[38:39], off
	v_add_u32_e32 v42, 2, v46
	v_fmac_f64_e32 v[32:33], v[50:51], v[82:83]
	v_fmac_f64_e32 v[0:1], v[52:53], v[82:83]
	v_fma_f64 v[82:83], -v[52:53], v[84:85], v[32:33]
	v_fmac_f64_e32 v[0:1], v[50:51], v[84:85]
	global_load_dwordx4 v[32:35], v[58:59], off offset:32
	global_load_dwordx4 v[50:53], v[58:59], off offset:16
	s_waitcnt vmcnt(2)
	v_fmac_f64_e32 v[26:27], v[64:65], v[36:37]
	v_fmac_f64_e32 v[88:89], v[62:63], v[36:37]
	;; [unrolled: 1-line block ×3, first 2 shown]
	v_lshl_add_u64 v[62:63], v[42:43], 4, s[10:11]
	v_fma_f64 v[84:85], -v[64:65], v[38:39], v[88:89]
	global_load_dwordx4 v[58:61], v[58:59], off
	v_add_u32_e32 v42, -4, v40
	global_load_dwordx4 v[62:65], v[62:63], off
	v_fmac_f64_e32 v[28:29], v[80:81], v[36:37]
	v_fmac_f64_e32 v[86:87], v[78:79], v[36:37]
	;; [unrolled: 1-line block ×3, first 2 shown]
	v_lshl_add_u64 v[78:79], v[42:43], 4, s[8:9]
	v_add_u32_e32 v42, 3, v46
	v_fmac_f64_e32 v[90:91], v[74:75], v[36:37]
	v_fmac_f64_e32 v[24:25], v[76:77], v[36:37]
	;; [unrolled: 1-line block ×4, first 2 shown]
	v_fma_f64 v[86:87], -v[80:81], v[38:39], v[86:87]
	v_fma_f64 v[88:89], -v[76:77], v[38:39], v[90:91]
	v_fmac_f64_e32 v[24:25], v[74:75], v[38:39]
	global_load_dwordx4 v[74:77], v[78:79], off offset:48
	v_fma_f64 v[82:83], -v[72:73], v[38:39], v[82:83]
	v_fmac_f64_e32 v[0:1], v[70:71], v[38:39]
	global_load_dwordx4 v[36:39], v[78:79], off offset:32
	global_load_dwordx4 v[70:73], v[78:79], off offset:16
	v_add_u32_e32 v40, 0x140, v40
	s_waitcnt vmcnt(3)
	v_fmac_f64_e32 v[84:85], v[58:59], v[62:63]
	v_fmac_f64_e32 v[26:27], v[60:61], v[62:63]
	v_fma_f64 v[84:85], -v[60:61], v[64:65], v[84:85]
	v_fmac_f64_e32 v[26:27], v[58:59], v[64:65]
	global_load_dwordx4 v[58:61], v[78:79], off
	v_lshl_add_u64 v[78:79], v[42:43], 4, s[10:11]
	v_add_u32_e32 v42, 4, v46
	global_load_dwordx4 v[78:81], v[78:79], off
	v_fmac_f64_e32 v[28:29], v[52:53], v[62:63]
	v_fmac_f64_e32 v[86:87], v[50:51], v[62:63]
	;; [unrolled: 1-line block ×3, first 2 shown]
	v_lshl_add_u64 v[50:51], v[42:43], 4, s[10:11]
	v_fma_f64 v[46:47], -v[52:53], v[64:65], v[86:87]
	global_load_dwordx4 v[50:53], v[50:51], off
	v_fmac_f64_e32 v[88:89], v[32:33], v[62:63]
	v_fmac_f64_e32 v[24:25], v[34:35], v[62:63]
	;; [unrolled: 1-line block ×4, first 2 shown]
	v_fma_f64 v[34:35], -v[34:35], v[64:65], v[88:89]
	v_fmac_f64_e32 v[24:25], v[32:33], v[64:65]
	v_fma_f64 v[32:33], -v[56:57], v[64:65], v[82:83]
	v_fmac_f64_e32 v[0:1], v[54:55], v[64:65]
	s_waitcnt vmcnt(1)
	v_fmac_f64_e32 v[84:85], v[58:59], v[78:79]
	v_fmac_f64_e32 v[26:27], v[60:61], v[78:79]
	;; [unrolled: 1-line block ×8, first 2 shown]
	v_fma_f64 v[54:55], -v[60:61], v[80:81], v[84:85]
	v_fmac_f64_e32 v[26:27], v[58:59], v[80:81]
	v_fma_f64 v[46:47], -v[72:73], v[80:81], v[46:47]
	v_fmac_f64_e32 v[28:29], v[70:71], v[80:81]
	;; [unrolled: 2-line block ×4, first 2 shown]
	s_waitcnt vmcnt(0)
	v_fmac_f64_e32 v[54:55], v[66:67], v[50:51]
	v_fmac_f64_e32 v[26:27], v[68:69], v[50:51]
	;; [unrolled: 1-line block ×8, first 2 shown]
	v_fma_f64 v[38:39], -v[68:69], v[52:53], v[54:55]
	v_fmac_f64_e32 v[26:27], v[66:67], v[52:53]
	v_fma_f64 v[36:37], -v[20:21], v[52:53], v[46:47]
	v_fmac_f64_e32 v[28:29], v[18:19], v[52:53]
	;; [unrolled: 2-line block ×4, first 2 shown]
	s_andn2_b64 exec, exec, s[14:15]
	s_cbranch_execnz .LBB128_7
; %bb.8:
	s_or_b64 exec, exec, s[14:15]
.LBB128_9:
	s_or_b64 exec, exec, s[4:5]
	s_cbranch_execz .LBB128_11
	s_branch .LBB128_16
.LBB128_10:
                                        ; implicit-def: $vgpr26_vgpr27
                                        ; implicit-def: $vgpr38_vgpr39
                                        ; implicit-def: $vgpr32_vgpr33
                                        ; implicit-def: $vgpr0_vgpr1
                                        ; implicit-def: $vgpr34_vgpr35
                                        ; implicit-def: $vgpr24_vgpr25
                                        ; implicit-def: $vgpr36_vgpr37
                                        ; implicit-def: $vgpr28_vgpr29
.LBB128_11:
	v_mov_b64_e32 v[26:27], 0
	v_mov_b64_e32 v[38:39], 0
	;; [unrolled: 1-line block ×8, first 2 shown]
	s_and_saveexec_b64 s[4:5], s[2:3]
	s_cbranch_execz .LBB128_15
; %bb.12:
	v_mad_u64_u32 v[10:11], s[2:3], v30, 20, 19
	v_mov_b64_e32 v[26:27], 0
	s_mov_b64 s[2:3], 0
	v_mov_b32_e32 v13, 0
	v_mov_b64_e32 v[38:39], 0
	v_mov_b64_e32 v[32:33], 0
	;; [unrolled: 1-line block ×7, first 2 shown]
.LBB128_13:                             ; =>This Inner Loop Header: Depth=1
	v_ashrrev_i32_e32 v31, 31, v30
	v_subrev_u32_e32 v12, 19, v10
	v_add_u32_e32 v20, -14, v10
	v_add_u32_e32 v18, -9, v10
	;; [unrolled: 1-line block ×3, first 2 shown]
	v_mov_b32_e32 v21, v13
	v_mov_b32_e32 v19, v13
	v_mov_b32_e32 v17, v13
	v_mov_b32_e32 v11, v13
	v_lshl_add_u64 v[70:71], v[30:31], 2, s[6:7]
	v_lshl_add_u64 v[72:73], v[12:13], 4, s[8:9]
	;; [unrolled: 1-line block ×6, first 2 shown]
	global_load_dword v11, v[70:71], off
	global_load_dwordx4 v[16:19], v[72:73], off offset:48
	global_load_dwordx4 v[40:43], v[72:73], off offset:32
	;; [unrolled: 1-line block ×3, first 2 shown]
	global_load_dwordx4 v[50:53], v[72:73], off
	global_load_dwordx4 v[54:57], v[20:21], off
	;; [unrolled: 1-line block ×5, first 2 shown]
	v_mov_b32_e32 v15, v13
	v_add_u32_e32 v30, 16, v30
	v_cmp_ge_i32_e32 vcc, v30, v48
	s_or_b64 s[2:3], vcc, s[2:3]
	s_waitcnt vmcnt(8)
	v_subrev_u32_e32 v11, s12, v11
	v_lshl_add_u32 v14, v11, 2, v11
	v_lshl_add_u64 v[20:21], v[14:15], 4, s[10:11]
	global_load_dwordx4 v[70:73], v[20:21], off
	v_add_u32_e32 v12, 1, v14
	v_lshl_add_u64 v[20:21], v[12:13], 4, s[10:11]
	v_add_u32_e32 v12, -13, v10
	global_load_dwordx4 v[74:77], v[20:21], off
	v_lshl_add_u64 v[20:21], v[12:13], 4, s[8:9]
	v_add_u32_e32 v12, -8, v10
	s_waitcnt vmcnt(1)
	v_fmac_f64_e32 v[38:39], v[50:51], v[70:71]
	v_fmac_f64_e32 v[26:27], v[52:53], v[70:71]
	v_fma_f64 v[78:79], -v[52:53], v[72:73], v[38:39]
	v_fmac_f64_e32 v[26:27], v[50:51], v[72:73]
	global_load_dwordx4 v[50:53], v[20:21], off
	v_lshl_add_u64 v[20:21], v[12:13], 4, s[8:9]
	v_add_u32_e32 v12, -3, v10
	v_fmac_f64_e32 v[36:37], v[54:55], v[70:71]
	v_fmac_f64_e32 v[28:29], v[56:57], v[70:71]
	v_fma_f64 v[80:81], -v[56:57], v[72:73], v[36:37]
	global_load_dwordx4 v[36:39], v[20:21], off
	v_lshl_add_u64 v[20:21], v[12:13], 4, s[8:9]
	v_fmac_f64_e32 v[28:29], v[54:55], v[72:73]
	v_add_u32_e32 v12, 2, v14
	global_load_dwordx4 v[54:57], v[20:21], off
	v_fmac_f64_e32 v[34:35], v[58:59], v[70:71]
	v_lshl_add_u64 v[20:21], v[12:13], 4, s[10:11]
	v_add_u32_e32 v12, -12, v10
	v_fmac_f64_e32 v[32:33], v[62:63], v[70:71]
	v_fmac_f64_e32 v[24:25], v[60:61], v[70:71]
	v_fma_f64 v[82:83], -v[60:61], v[72:73], v[34:35]
	v_fmac_f64_e32 v[0:1], v[64:65], v[70:71]
	v_fma_f64 v[64:65], -v[64:65], v[72:73], v[32:33]
	global_load_dwordx4 v[32:35], v[20:21], off
	v_lshl_add_u64 v[20:21], v[12:13], 4, s[8:9]
	v_add_u32_e32 v12, -7, v10
	v_fmac_f64_e32 v[24:25], v[58:59], v[72:73]
	global_load_dwordx4 v[58:61], v[20:21], off
	v_lshl_add_u64 v[20:21], v[12:13], 4, s[8:9]
	v_add_u32_e32 v12, -2, v10
	s_waitcnt vmcnt(5)
	v_fmac_f64_e32 v[78:79], v[44:45], v[74:75]
	v_fmac_f64_e32 v[26:27], v[46:47], v[74:75]
	v_fma_f64 v[70:71], -v[46:47], v[76:77], v[78:79]
	v_fmac_f64_e32 v[26:27], v[44:45], v[76:77]
	global_load_dwordx4 v[44:47], v[20:21], off
	v_lshl_add_u64 v[20:21], v[12:13], 4, s[8:9]
	v_add_u32_e32 v12, 3, v14
	v_fmac_f64_e32 v[0:1], v[62:63], v[72:73]
	s_waitcnt vmcnt(5)
	v_fmac_f64_e32 v[80:81], v[50:51], v[74:75]
	v_fmac_f64_e32 v[28:29], v[52:53], v[74:75]
	v_fma_f64 v[78:79], -v[52:53], v[76:77], v[80:81]
	v_fmac_f64_e32 v[28:29], v[50:51], v[76:77]
	global_load_dwordx4 v[50:53], v[20:21], off
	v_lshl_add_u64 v[20:21], v[12:13], 4, s[10:11]
	v_add_u32_e32 v12, -11, v10
	s_waitcnt vmcnt(5)
	v_fmac_f64_e32 v[82:83], v[36:37], v[74:75]
	v_fmac_f64_e32 v[24:25], v[38:39], v[74:75]
	v_fma_f64 v[80:81], -v[38:39], v[76:77], v[82:83]
	v_fmac_f64_e32 v[24:25], v[36:37], v[76:77]
	global_load_dwordx4 v[36:39], v[20:21], off
	v_lshl_add_u64 v[20:21], v[12:13], 4, s[8:9]
	v_add_u32_e32 v12, -6, v10
	s_waitcnt vmcnt(5)
	v_fmac_f64_e32 v[64:65], v[54:55], v[74:75]
	v_fmac_f64_e32 v[0:1], v[56:57], v[74:75]
	v_fma_f64 v[74:75], -v[56:57], v[76:77], v[64:65]
	v_fmac_f64_e32 v[0:1], v[54:55], v[76:77]
	global_load_dwordx4 v[54:57], v[20:21], off
	v_lshl_add_u64 v[20:21], v[12:13], 4, s[8:9]
	v_add_u32_e32 v12, -1, v10
	v_lshl_add_u64 v[76:77], v[12:13], 4, s[8:9]
	v_add_u32_e32 v12, -15, v10
	v_lshl_add_u64 v[82:83], v[12:13], 4, s[8:9]
	v_add_u32_e32 v12, 4, v14
	s_waitcnt vmcnt(4)
	v_fmac_f64_e32 v[28:29], v[60:61], v[32:33]
	v_fmac_f64_e32 v[78:79], v[58:59], v[32:33]
	;; [unrolled: 1-line block ×3, first 2 shown]
	v_lshl_add_u64 v[58:59], v[12:13], 4, s[10:11]
	v_add_u32_e32 v12, -10, v10
	s_waitcnt vmcnt(3)
	v_fmac_f64_e32 v[24:25], v[46:47], v[32:33]
	global_load_dwordx4 v[62:65], v[20:21], off
	v_fmac_f64_e32 v[70:71], v[40:41], v[32:33]
	v_fmac_f64_e32 v[26:27], v[42:43], v[32:33]
	;; [unrolled: 1-line block ×4, first 2 shown]
	v_lshl_add_u64 v[44:45], v[12:13], 4, s[8:9]
	v_add_u32_e32 v12, -5, v10
	v_fma_f64 v[14:15], -v[42:43], v[34:35], v[70:71]
	v_fmac_f64_e32 v[26:27], v[40:41], v[34:35]
	global_load_dwordx4 v[40:43], v[76:77], off
	global_load_dwordx4 v[70:73], v[82:83], off
	v_fma_f64 v[20:21], -v[60:61], v[34:35], v[78:79]
	v_fma_f64 v[76:77], -v[46:47], v[34:35], v[80:81]
	global_load_dwordx4 v[58:61], v[58:59], off
	v_add_u32_e32 v10, 0x140, v10
	global_load_dwordx4 v[44:47], v[44:45], off
	s_waitcnt vmcnt(7)
	v_fmac_f64_e32 v[74:75], v[50:51], v[32:33]
	v_fmac_f64_e32 v[0:1], v[52:53], v[32:33]
	v_fma_f64 v[32:33], -v[52:53], v[34:35], v[74:75]
	v_fmac_f64_e32 v[0:1], v[50:51], v[34:35]
	v_lshl_add_u64 v[34:35], v[12:13], 4, s[8:9]
	global_load_dwordx4 v[50:53], v[34:35], off
	s_waitcnt vmcnt(7)
	v_fmac_f64_e32 v[14:15], v[16:17], v[36:37]
	v_fmac_f64_e32 v[26:27], v[18:19], v[36:37]
	v_fma_f64 v[14:15], -v[18:19], v[38:39], v[14:15]
	v_fmac_f64_e32 v[26:27], v[16:17], v[38:39]
	s_waitcnt vmcnt(6)
	v_fmac_f64_e32 v[20:21], v[54:55], v[36:37]
	v_fmac_f64_e32 v[28:29], v[56:57], v[36:37]
	v_fma_f64 v[16:17], -v[56:57], v[38:39], v[20:21]
	v_fmac_f64_e32 v[28:29], v[54:55], v[38:39]
	;; [unrolled: 5-line block ×4, first 2 shown]
	s_waitcnt vmcnt(2)
	v_fmac_f64_e32 v[14:15], v[70:71], v[58:59]
	v_fmac_f64_e32 v[26:27], v[72:73], v[58:59]
	v_fmac_f64_e32 v[20:21], v[66:67], v[58:59]
	v_fmac_f64_e32 v[0:1], v[68:69], v[58:59]
	s_waitcnt vmcnt(1)
	v_fmac_f64_e32 v[16:17], v[44:45], v[58:59]
	v_fmac_f64_e32 v[28:29], v[46:47], v[58:59]
	v_fma_f64 v[38:39], -v[72:73], v[60:61], v[14:15]
	v_fmac_f64_e32 v[26:27], v[70:71], v[60:61]
	v_fma_f64 v[32:33], -v[68:69], v[60:61], v[20:21]
	;; [unrolled: 2-line block ×3, first 2 shown]
	v_fmac_f64_e32 v[28:29], v[44:45], v[60:61]
	s_waitcnt vmcnt(0)
	v_fmac_f64_e32 v[18:19], v[50:51], v[58:59]
	v_fmac_f64_e32 v[24:25], v[52:53], v[58:59]
	v_fma_f64 v[34:35], -v[52:53], v[60:61], v[18:19]
	v_fmac_f64_e32 v[24:25], v[50:51], v[60:61]
	s_andn2_b64 exec, exec, s[2:3]
	s_cbranch_execnz .LBB128_13
; %bb.14:
	s_or_b64 exec, exec, s[2:3]
.LBB128_15:
	s_or_b64 exec, exec, s[4:5]
.LBB128_16:
	v_mov_b32_dpp v14, v26 row_shr:1 row_mask:0xf bank_mask:0xf
	v_mov_b32_dpp v15, v27 row_shr:1 row_mask:0xf bank_mask:0xf
	v_add_f64 v[14:15], v[26:27], v[14:15]
	v_mov_b32_dpp v10, v38 row_shr:1 row_mask:0xf bank_mask:0xf
	v_mov_b32_dpp v11, v39 row_shr:1 row_mask:0xf bank_mask:0xf
	;; [unrolled: 1-line block ×4, first 2 shown]
	v_add_f64 v[14:15], v[14:15], v[16:17]
	v_add_f64 v[10:11], v[38:39], v[10:11]
	v_cmp_eq_u32_e32 vcc, 15, v23
	v_mov_b32_dpp v16, v14 row_shr:4 row_mask:0xf bank_mask:0xe
	v_mov_b32_dpp v17, v15 row_shr:4 row_mask:0xf bank_mask:0xe
	v_add_f64 v[14:15], v[14:15], v[16:17]
	v_mov_b32_dpp v16, v36 row_shr:1 row_mask:0xf bank_mask:0xf
	v_mov_b32_dpp v17, v37 row_shr:1 row_mask:0xf bank_mask:0xf
	v_add_f64 v[16:17], v[36:37], v[16:17]
	v_mov_b32_dpp v12, v10 row_shr:2 row_mask:0xf bank_mask:0xf
	v_mov_b32_dpp v13, v11 row_shr:2 row_mask:0xf bank_mask:0xf
	;; [unrolled: 1-line block ×4, first 2 shown]
	v_add_f64 v[16:17], v[16:17], v[20:21]
	v_add_f64 v[10:11], v[10:11], v[12:13]
	v_mov_b32_dpp v18, v14 row_shr:8 row_mask:0xf bank_mask:0xc
	v_mov_b32_dpp v20, v16 row_shr:4 row_mask:0xf bank_mask:0xe
	;; [unrolled: 1-line block ×3, first 2 shown]
	v_add_f64 v[20:21], v[16:17], v[20:21]
	v_mov_b32_dpp v16, v28 row_shr:1 row_mask:0xf bank_mask:0xf
	v_mov_b32_dpp v17, v29 row_shr:1 row_mask:0xf bank_mask:0xf
	v_add_f64 v[16:17], v[28:29], v[16:17]
	v_mov_b32_dpp v12, v10 row_shr:4 row_mask:0xf bank_mask:0xe
	v_mov_b32_dpp v13, v11 row_shr:4 row_mask:0xf bank_mask:0xe
	;; [unrolled: 1-line block ×4, first 2 shown]
	v_add_f64 v[16:17], v[16:17], v[28:29]
	v_add_f64 v[10:11], v[10:11], v[12:13]
	v_mov_b32_dpp v19, v15 row_shr:8 row_mask:0xf bank_mask:0xc
	v_mov_b32_dpp v28, v16 row_shr:4 row_mask:0xf bank_mask:0xe
	;; [unrolled: 1-line block ×3, first 2 shown]
	v_add_f64 v[28:29], v[16:17], v[28:29]
	v_mov_b32_dpp v16, v34 row_shr:1 row_mask:0xf bank_mask:0xf
	v_mov_b32_dpp v17, v35 row_shr:1 row_mask:0xf bank_mask:0xf
	v_add_f64 v[16:17], v[34:35], v[16:17]
	v_mov_b32_dpp v12, v10 row_shr:8 row_mask:0xf bank_mask:0xc
	v_mov_b32_dpp v13, v11 row_shr:8 row_mask:0xf bank_mask:0xc
	v_mov_b32_dpp v34, v16 row_shr:2 row_mask:0xf bank_mask:0xf
	v_mov_b32_dpp v35, v17 row_shr:2 row_mask:0xf bank_mask:0xf
	v_add_f64 v[16:17], v[16:17], v[34:35]
	v_mov_b32_dpp v26, v20 row_shr:8 row_mask:0xf bank_mask:0xc
	v_mov_b32_dpp v27, v21 row_shr:8 row_mask:0xf bank_mask:0xc
	;; [unrolled: 5-line block ×3, first 2 shown]
	v_add_f64 v[16:17], v[24:25], v[16:17]
	v_mov_b32_dpp v30, v28 row_shr:8 row_mask:0xf bank_mask:0xc
	v_mov_b32_dpp v31, v29 row_shr:8 row_mask:0xf bank_mask:0xc
	;; [unrolled: 1-line block ×4, first 2 shown]
	v_add_f64 v[16:17], v[16:17], v[24:25]
	v_mov_b32_dpp v36, v34 row_shr:8 row_mask:0xf bank_mask:0xc
	v_mov_b32_dpp v37, v35 row_shr:8 row_mask:0xf bank_mask:0xc
	;; [unrolled: 1-line block ×4, first 2 shown]
	v_add_f64 v[38:39], v[16:17], v[24:25]
	v_mov_b32_dpp v16, v32 row_shr:1 row_mask:0xf bank_mask:0xf
	v_mov_b32_dpp v17, v33 row_shr:1 row_mask:0xf bank_mask:0xf
	v_add_f64 v[16:17], v[32:33], v[16:17]
	v_mov_b32_dpp v40, v38 row_shr:8 row_mask:0xf bank_mask:0xc
	v_mov_b32_dpp v41, v39 row_shr:8 row_mask:0xf bank_mask:0xc
	;; [unrolled: 1-line block ×4, first 2 shown]
	v_add_f64 v[16:17], v[16:17], v[24:25]
	s_nop 1
	v_mov_b32_dpp v24, v16 row_shr:4 row_mask:0xf bank_mask:0xe
	v_mov_b32_dpp v25, v17 row_shr:4 row_mask:0xf bank_mask:0xe
	v_add_f64 v[32:33], v[16:17], v[24:25]
	v_mov_b32_dpp v16, v0 row_shr:1 row_mask:0xf bank_mask:0xf
	v_mov_b32_dpp v17, v1 row_shr:1 row_mask:0xf bank_mask:0xf
	v_add_f64 v[0:1], v[0:1], v[16:17]
	v_mov_b32_dpp v42, v32 row_shr:8 row_mask:0xf bank_mask:0xc
	v_mov_b32_dpp v43, v33 row_shr:8 row_mask:0xf bank_mask:0xc
	;; [unrolled: 1-line block ×4, first 2 shown]
	v_add_f64 v[0:1], v[0:1], v[16:17]
	s_nop 1
	v_mov_b32_dpp v16, v0 row_shr:4 row_mask:0xf bank_mask:0xe
	v_mov_b32_dpp v17, v1 row_shr:4 row_mask:0xf bank_mask:0xe
	v_add_f64 v[44:45], v[0:1], v[16:17]
	s_nop 1
	v_mov_b32_dpp v46, v44 row_shr:8 row_mask:0xf bank_mask:0xc
	v_mov_b32_dpp v47, v45 row_shr:8 row_mask:0xf bank_mask:0xc
	s_and_b64 exec, exec, vcc
	s_cbranch_execz .LBB128_21
; %bb.17:
	s_load_dwordx2 s[2:3], s[0:1], 0x48
	v_cmp_eq_f64_e32 vcc, 0, v[6:7]
	v_cmp_eq_f64_e64 s[0:1], 0, v[8:9]
	v_add_f64 v[16:17], v[10:11], v[12:13]
	v_add_f64 v[24:25], v[14:15], v[18:19]
	;; [unrolled: 1-line block ×8, first 2 shown]
	s_and_b64 s[0:1], vcc, s[0:1]
	s_and_saveexec_b64 s[4:5], s[0:1]
	s_xor_b64 s[0:1], exec, s[4:5]
	s_cbranch_execz .LBB128_19
; %bb.18:
	v_mul_f64 v[6:7], v[24:25], -v[4:5]
	v_mul_f64 v[8:9], v[2:3], v[24:25]
	v_fmac_f64_e32 v[6:7], v[2:3], v[16:17]
	v_fmac_f64_e32 v[8:9], v[4:5], v[16:17]
	v_lshlrev_b32_e32 v16, 2, v22
	v_ashrrev_i32_e32 v17, 31, v16
	s_waitcnt lgkmcnt(0)
	v_lshl_add_u64 v[16:17], v[16:17], 4, s[2:3]
	global_store_dwordx4 v[16:17], v[6:9], off
                                        ; implicit-def: $vgpr22
                                        ; implicit-def: $vgpr24_vgpr25
	s_nop 1
	v_mul_f64 v[6:7], v[20:21], -v[4:5]
	v_mul_f64 v[8:9], v[2:3], v[20:21]
	v_fmac_f64_e32 v[6:7], v[2:3], v[12:13]
	v_fmac_f64_e32 v[8:9], v[4:5], v[12:13]
	global_store_dwordx4 v[16:17], v[6:9], off offset:16
                                        ; implicit-def: $vgpr12_vgpr13
                                        ; implicit-def: $vgpr20_vgpr21
	s_nop 1
	v_mul_f64 v[6:7], v[18:19], -v[4:5]
	v_mul_f64 v[8:9], v[2:3], v[18:19]
	v_fmac_f64_e32 v[6:7], v[2:3], v[10:11]
	v_fmac_f64_e32 v[8:9], v[4:5], v[10:11]
	global_store_dwordx4 v[16:17], v[6:9], off offset:32
                                        ; implicit-def: $vgpr10_vgpr11
                                        ; implicit-def: $vgpr18_vgpr19
	s_nop 1
	v_mul_f64 v[6:7], v[14:15], -v[4:5]
	v_mul_f64 v[8:9], v[2:3], v[14:15]
	v_fmac_f64_e32 v[6:7], v[2:3], v[0:1]
	v_fmac_f64_e32 v[8:9], v[4:5], v[0:1]
	global_store_dwordx4 v[16:17], v[6:9], off offset:48
                                        ; implicit-def: $vgpr16_vgpr17
                                        ; implicit-def: $vgpr0_vgpr1
                                        ; implicit-def: $vgpr14_vgpr15
                                        ; implicit-def: $vgpr8_vgpr9
                                        ; implicit-def: $vgpr4_vgpr5
.LBB128_19:
	s_andn2_saveexec_b64 s[0:1], s[0:1]
	s_cbranch_execz .LBB128_21
; %bb.20:
	v_lshlrev_b32_e32 v22, 2, v22
	v_ashrrev_i32_e32 v23, 31, v22
	s_waitcnt lgkmcnt(0)
	v_lshl_add_u64 v[46:47], v[22:23], 4, s[2:3]
	global_load_dwordx4 v[26:29], v[46:47], off
	global_load_dwordx4 v[30:33], v[46:47], off offset:16
	global_load_dwordx4 v[34:37], v[46:47], off offset:32
	;; [unrolled: 1-line block ×3, first 2 shown]
	v_mul_f64 v[42:43], v[24:25], -v[4:5]
	v_mul_f64 v[22:23], v[2:3], v[24:25]
	v_mul_f64 v[24:25], v[20:21], -v[4:5]
	v_mul_f64 v[44:45], v[2:3], v[20:21]
	;; [unrolled: 2-line block ×4, first 2 shown]
	v_fmac_f64_e32 v[42:43], v[2:3], v[16:17]
	v_fmac_f64_e32 v[22:23], v[4:5], v[16:17]
	;; [unrolled: 1-line block ×8, first 2 shown]
	s_waitcnt vmcnt(3)
	v_fmac_f64_e32 v[42:43], v[6:7], v[26:27]
	v_fmac_f64_e32 v[22:23], v[8:9], v[26:27]
	s_waitcnt vmcnt(2)
	v_fmac_f64_e32 v[24:25], v[6:7], v[30:31]
	v_fmac_f64_e32 v[44:45], v[8:9], v[30:31]
	;; [unrolled: 3-line block ×4, first 2 shown]
	v_fma_f64 v[20:21], -v[8:9], v[28:29], v[42:43]
	v_fmac_f64_e32 v[22:23], v[6:7], v[28:29]
	v_fma_f64 v[42:43], -v[8:9], v[32:33], v[24:25]
	v_fmac_f64_e32 v[44:45], v[6:7], v[32:33]
	;; [unrolled: 2-line block ×4, first 2 shown]
	global_store_dwordx4 v[46:47], v[20:23], off
	global_store_dwordx4 v[46:47], v[42:45], off offset:16
	global_store_dwordx4 v[46:47], v[16:19], off offset:32
	;; [unrolled: 1-line block ×3, first 2 shown]
.LBB128_21:
	s_endpgm
	.section	.rodata,"a",@progbits
	.p2align	6, 0x0
	.amdhsa_kernel _ZN9rocsparseL19gebsrmvn_4xn_kernelILj128ELj5ELj16E21rocsparse_complex_numIdEEEvi20rocsparse_direction_NS_24const_host_device_scalarIT2_EEPKiS8_PKS5_SA_S6_PS5_21rocsparse_index_base_b
		.amdhsa_group_segment_fixed_size 0
		.amdhsa_private_segment_fixed_size 0
		.amdhsa_kernarg_size 88
		.amdhsa_user_sgpr_count 2
		.amdhsa_user_sgpr_dispatch_ptr 0
		.amdhsa_user_sgpr_queue_ptr 0
		.amdhsa_user_sgpr_kernarg_segment_ptr 1
		.amdhsa_user_sgpr_dispatch_id 0
		.amdhsa_user_sgpr_kernarg_preload_length 0
		.amdhsa_user_sgpr_kernarg_preload_offset 0
		.amdhsa_user_sgpr_private_segment_size 0
		.amdhsa_uses_dynamic_stack 0
		.amdhsa_enable_private_segment 0
		.amdhsa_system_sgpr_workgroup_id_x 1
		.amdhsa_system_sgpr_workgroup_id_y 0
		.amdhsa_system_sgpr_workgroup_id_z 0
		.amdhsa_system_sgpr_workgroup_info 0
		.amdhsa_system_vgpr_workitem_id 0
		.amdhsa_next_free_vgpr 92
		.amdhsa_next_free_sgpr 16
		.amdhsa_accum_offset 92
		.amdhsa_reserve_vcc 1
		.amdhsa_float_round_mode_32 0
		.amdhsa_float_round_mode_16_64 0
		.amdhsa_float_denorm_mode_32 3
		.amdhsa_float_denorm_mode_16_64 3
		.amdhsa_dx10_clamp 1
		.amdhsa_ieee_mode 1
		.amdhsa_fp16_overflow 0
		.amdhsa_tg_split 0
		.amdhsa_exception_fp_ieee_invalid_op 0
		.amdhsa_exception_fp_denorm_src 0
		.amdhsa_exception_fp_ieee_div_zero 0
		.amdhsa_exception_fp_ieee_overflow 0
		.amdhsa_exception_fp_ieee_underflow 0
		.amdhsa_exception_fp_ieee_inexact 0
		.amdhsa_exception_int_div_zero 0
	.end_amdhsa_kernel
	.section	.text._ZN9rocsparseL19gebsrmvn_4xn_kernelILj128ELj5ELj16E21rocsparse_complex_numIdEEEvi20rocsparse_direction_NS_24const_host_device_scalarIT2_EEPKiS8_PKS5_SA_S6_PS5_21rocsparse_index_base_b,"axG",@progbits,_ZN9rocsparseL19gebsrmvn_4xn_kernelILj128ELj5ELj16E21rocsparse_complex_numIdEEEvi20rocsparse_direction_NS_24const_host_device_scalarIT2_EEPKiS8_PKS5_SA_S6_PS5_21rocsparse_index_base_b,comdat
.Lfunc_end128:
	.size	_ZN9rocsparseL19gebsrmvn_4xn_kernelILj128ELj5ELj16E21rocsparse_complex_numIdEEEvi20rocsparse_direction_NS_24const_host_device_scalarIT2_EEPKiS8_PKS5_SA_S6_PS5_21rocsparse_index_base_b, .Lfunc_end128-_ZN9rocsparseL19gebsrmvn_4xn_kernelILj128ELj5ELj16E21rocsparse_complex_numIdEEEvi20rocsparse_direction_NS_24const_host_device_scalarIT2_EEPKiS8_PKS5_SA_S6_PS5_21rocsparse_index_base_b
                                        ; -- End function
	.set _ZN9rocsparseL19gebsrmvn_4xn_kernelILj128ELj5ELj16E21rocsparse_complex_numIdEEEvi20rocsparse_direction_NS_24const_host_device_scalarIT2_EEPKiS8_PKS5_SA_S6_PS5_21rocsparse_index_base_b.num_vgpr, 92
	.set _ZN9rocsparseL19gebsrmvn_4xn_kernelILj128ELj5ELj16E21rocsparse_complex_numIdEEEvi20rocsparse_direction_NS_24const_host_device_scalarIT2_EEPKiS8_PKS5_SA_S6_PS5_21rocsparse_index_base_b.num_agpr, 0
	.set _ZN9rocsparseL19gebsrmvn_4xn_kernelILj128ELj5ELj16E21rocsparse_complex_numIdEEEvi20rocsparse_direction_NS_24const_host_device_scalarIT2_EEPKiS8_PKS5_SA_S6_PS5_21rocsparse_index_base_b.numbered_sgpr, 16
	.set _ZN9rocsparseL19gebsrmvn_4xn_kernelILj128ELj5ELj16E21rocsparse_complex_numIdEEEvi20rocsparse_direction_NS_24const_host_device_scalarIT2_EEPKiS8_PKS5_SA_S6_PS5_21rocsparse_index_base_b.num_named_barrier, 0
	.set _ZN9rocsparseL19gebsrmvn_4xn_kernelILj128ELj5ELj16E21rocsparse_complex_numIdEEEvi20rocsparse_direction_NS_24const_host_device_scalarIT2_EEPKiS8_PKS5_SA_S6_PS5_21rocsparse_index_base_b.private_seg_size, 0
	.set _ZN9rocsparseL19gebsrmvn_4xn_kernelILj128ELj5ELj16E21rocsparse_complex_numIdEEEvi20rocsparse_direction_NS_24const_host_device_scalarIT2_EEPKiS8_PKS5_SA_S6_PS5_21rocsparse_index_base_b.uses_vcc, 1
	.set _ZN9rocsparseL19gebsrmvn_4xn_kernelILj128ELj5ELj16E21rocsparse_complex_numIdEEEvi20rocsparse_direction_NS_24const_host_device_scalarIT2_EEPKiS8_PKS5_SA_S6_PS5_21rocsparse_index_base_b.uses_flat_scratch, 0
	.set _ZN9rocsparseL19gebsrmvn_4xn_kernelILj128ELj5ELj16E21rocsparse_complex_numIdEEEvi20rocsparse_direction_NS_24const_host_device_scalarIT2_EEPKiS8_PKS5_SA_S6_PS5_21rocsparse_index_base_b.has_dyn_sized_stack, 0
	.set _ZN9rocsparseL19gebsrmvn_4xn_kernelILj128ELj5ELj16E21rocsparse_complex_numIdEEEvi20rocsparse_direction_NS_24const_host_device_scalarIT2_EEPKiS8_PKS5_SA_S6_PS5_21rocsparse_index_base_b.has_recursion, 0
	.set _ZN9rocsparseL19gebsrmvn_4xn_kernelILj128ELj5ELj16E21rocsparse_complex_numIdEEEvi20rocsparse_direction_NS_24const_host_device_scalarIT2_EEPKiS8_PKS5_SA_S6_PS5_21rocsparse_index_base_b.has_indirect_call, 0
	.section	.AMDGPU.csdata,"",@progbits
; Kernel info:
; codeLenInByte = 3544
; TotalNumSgprs: 22
; NumVgprs: 92
; NumAgprs: 0
; TotalNumVgprs: 92
; ScratchSize: 0
; MemoryBound: 0
; FloatMode: 240
; IeeeMode: 1
; LDSByteSize: 0 bytes/workgroup (compile time only)
; SGPRBlocks: 2
; VGPRBlocks: 11
; NumSGPRsForWavesPerEU: 22
; NumVGPRsForWavesPerEU: 92
; AccumOffset: 92
; Occupancy: 5
; WaveLimiterHint : 1
; COMPUTE_PGM_RSRC2:SCRATCH_EN: 0
; COMPUTE_PGM_RSRC2:USER_SGPR: 2
; COMPUTE_PGM_RSRC2:TRAP_HANDLER: 0
; COMPUTE_PGM_RSRC2:TGID_X_EN: 1
; COMPUTE_PGM_RSRC2:TGID_Y_EN: 0
; COMPUTE_PGM_RSRC2:TGID_Z_EN: 0
; COMPUTE_PGM_RSRC2:TIDIG_COMP_CNT: 0
; COMPUTE_PGM_RSRC3_GFX90A:ACCUM_OFFSET: 22
; COMPUTE_PGM_RSRC3_GFX90A:TG_SPLIT: 0
	.section	.text._ZN9rocsparseL19gebsrmvn_4xn_kernelILj128ELj5ELj32E21rocsparse_complex_numIdEEEvi20rocsparse_direction_NS_24const_host_device_scalarIT2_EEPKiS8_PKS5_SA_S6_PS5_21rocsparse_index_base_b,"axG",@progbits,_ZN9rocsparseL19gebsrmvn_4xn_kernelILj128ELj5ELj32E21rocsparse_complex_numIdEEEvi20rocsparse_direction_NS_24const_host_device_scalarIT2_EEPKiS8_PKS5_SA_S6_PS5_21rocsparse_index_base_b,comdat
	.globl	_ZN9rocsparseL19gebsrmvn_4xn_kernelILj128ELj5ELj32E21rocsparse_complex_numIdEEEvi20rocsparse_direction_NS_24const_host_device_scalarIT2_EEPKiS8_PKS5_SA_S6_PS5_21rocsparse_index_base_b ; -- Begin function _ZN9rocsparseL19gebsrmvn_4xn_kernelILj128ELj5ELj32E21rocsparse_complex_numIdEEEvi20rocsparse_direction_NS_24const_host_device_scalarIT2_EEPKiS8_PKS5_SA_S6_PS5_21rocsparse_index_base_b
	.p2align	8
	.type	_ZN9rocsparseL19gebsrmvn_4xn_kernelILj128ELj5ELj32E21rocsparse_complex_numIdEEEvi20rocsparse_direction_NS_24const_host_device_scalarIT2_EEPKiS8_PKS5_SA_S6_PS5_21rocsparse_index_base_b,@function
_ZN9rocsparseL19gebsrmvn_4xn_kernelILj128ELj5ELj32E21rocsparse_complex_numIdEEEvi20rocsparse_direction_NS_24const_host_device_scalarIT2_EEPKiS8_PKS5_SA_S6_PS5_21rocsparse_index_base_b: ; @_ZN9rocsparseL19gebsrmvn_4xn_kernelILj128ELj5ELj32E21rocsparse_complex_numIdEEEvi20rocsparse_direction_NS_24const_host_device_scalarIT2_EEPKiS8_PKS5_SA_S6_PS5_21rocsparse_index_base_b
; %bb.0:
	s_load_dwordx2 s[4:5], s[0:1], 0x8
	s_load_dwordx2 s[6:7], s[0:1], 0x38
	;; [unrolled: 1-line block ×3, first 2 shown]
	s_add_u32 s3, s0, 8
	s_addc_u32 s8, s1, 0
	s_add_u32 s9, s0, 56
	s_addc_u32 s10, s1, 0
	s_waitcnt lgkmcnt(0)
	s_bitcmp1_b32 s13, 0
	s_cselect_b32 s5, s8, s5
	s_cselect_b32 s3, s3, s4
	v_mov_b32_e32 v2, s3
	v_mov_b32_e32 v3, s5
	flat_load_dwordx4 v[2:5], v[2:3]
	s_cselect_b32 s3, s10, s7
	s_cselect_b32 s4, s9, s6
	v_mov_b32_e32 v6, s4
	v_mov_b32_e32 v7, s3
	flat_load_dwordx4 v[6:9], v[6:7]
	s_waitcnt vmcnt(0) lgkmcnt(0)
	v_cmp_eq_f64_e32 vcc, 0, v[2:3]
	v_cmp_eq_f64_e64 s[4:5], 0, v[4:5]
	s_and_b64 s[8:9], vcc, s[4:5]
	s_mov_b64 s[4:5], -1
	s_and_saveexec_b64 s[6:7], s[8:9]
; %bb.1:
	v_cmp_neq_f64_e32 vcc, 1.0, v[6:7]
	v_cmp_neq_f64_e64 s[4:5], 0, v[8:9]
	s_or_b64 s[4:5], vcc, s[4:5]
	s_orn2_b64 s[4:5], s[4:5], exec
; %bb.2:
	s_or_b64 exec, exec, s[6:7]
	s_and_saveexec_b64 s[6:7], s[4:5]
	s_cbranch_execz .LBB129_21
; %bb.3:
	s_load_dwordx2 s[14:15], s[0:1], 0x0
	v_lshrrev_b32_e32 v1, 5, v0
	v_lshl_or_b32 v22, s2, 2, v1
	s_waitcnt lgkmcnt(0)
	v_cmp_gt_i32_e32 vcc, s14, v22
	s_and_b64 exec, exec, vcc
	s_cbranch_execz .LBB129_21
; %bb.4:
	s_load_dwordx8 s[4:11], s[0:1], 0x18
	v_ashrrev_i32_e32 v23, 31, v22
	s_cmp_lg_u32 s15, 0
	s_waitcnt lgkmcnt(0)
	v_lshl_add_u64 v[10:11], v[22:23], 2, s[4:5]
	global_load_dwordx2 v[10:11], v[10:11], off
	v_and_b32_e32 v23, 31, v0
	s_waitcnt vmcnt(0)
	v_subrev_u32_e32 v0, s12, v10
	v_subrev_u32_e32 v48, s12, v11
	v_add_u32_e32 v30, v0, v23
	v_cmp_lt_i32_e64 s[2:3], v30, v48
	s_cbranch_scc0 .LBB129_10
; %bb.5:
	v_mov_b64_e32 v[26:27], 0
	v_mov_b64_e32 v[38:39], 0
	;; [unrolled: 1-line block ×8, first 2 shown]
	s_and_saveexec_b64 s[4:5], s[2:3]
	s_cbranch_execz .LBB129_9
; %bb.6:
	v_mad_u64_u32 v[40:41], s[14:15], v30, 20, 16
	v_mov_b64_e32 v[26:27], 0
	s_mov_b64 s[14:15], 0
	v_mov_b32_e32 v43, 0
	v_mov_b32_e32 v44, v30
	v_mov_b64_e32 v[38:39], 0
	v_mov_b64_e32 v[32:33], 0
	;; [unrolled: 1-line block ×7, first 2 shown]
.LBB129_7:                              ; =>This Inner Loop Header: Depth=1
	v_ashrrev_i32_e32 v45, 31, v44
	v_add_u32_e32 v42, -16, v40
	v_lshl_add_u64 v[10:11], v[44:45], 2, s[6:7]
	v_lshl_add_u64 v[12:13], v[42:43], 4, s[8:9]
	global_load_dword v31, v[10:11], off
	global_load_dwordx4 v[50:53], v[12:13], off offset:48
	global_load_dwordx4 v[54:57], v[12:13], off offset:32
	;; [unrolled: 1-line block ×3, first 2 shown]
	global_load_dwordx4 v[62:65], v[12:13], off
	v_mov_b32_e32 v41, v43
	v_mov_b32_e32 v47, v43
	v_add_u32_e32 v42, -12, v40
	v_lshl_add_u64 v[82:83], v[40:41], 4, s[8:9]
	v_lshl_add_u64 v[86:87], v[42:43], 4, s[8:9]
	global_load_dwordx4 v[10:13], v[82:83], off offset:48
	global_load_dwordx4 v[14:17], v[82:83], off offset:32
	;; [unrolled: 1-line block ×3, first 2 shown]
	global_load_dwordx4 v[66:69], v[82:83], off
	global_load_dwordx4 v[70:73], v[86:87], off offset:48
	global_load_dwordx4 v[74:77], v[86:87], off offset:32
	;; [unrolled: 1-line block ×3, first 2 shown]
	v_add_u32_e32 v44, 32, v44
	v_cmp_ge_i32_e32 vcc, v44, v48
	s_or_b64 s[14:15], vcc, s[14:15]
	s_waitcnt vmcnt(11)
	v_subrev_u32_e32 v31, s12, v31
	v_lshl_add_u32 v46, v31, 2, v31
	v_lshl_add_u64 v[82:83], v[46:47], 4, s[10:11]
	global_load_dwordx4 v[82:85], v[82:83], off
	v_add_u32_e32 v42, 1, v46
	s_waitcnt vmcnt(0)
	v_fmac_f64_e32 v[38:39], v[62:63], v[82:83]
	v_fma_f64 v[88:89], -v[64:65], v[84:85], v[38:39]
	v_lshl_add_u64 v[38:39], v[42:43], 4, s[10:11]
	v_add_u32_e32 v42, -8, v40
	v_fmac_f64_e32 v[28:29], v[60:61], v[82:83]
	v_fmac_f64_e32 v[26:27], v[64:65], v[82:83]
	;; [unrolled: 1-line block ×4, first 2 shown]
	v_lshl_add_u64 v[58:59], v[42:43], 4, s[8:9]
	v_fmac_f64_e32 v[34:35], v[54:55], v[82:83]
	v_fmac_f64_e32 v[24:25], v[56:57], v[82:83]
	;; [unrolled: 1-line block ×3, first 2 shown]
	global_load_dwordx4 v[62:65], v[86:87], off
	v_fma_f64 v[90:91], -v[56:57], v[84:85], v[34:35]
	v_fmac_f64_e32 v[24:25], v[54:55], v[84:85]
	global_load_dwordx4 v[54:57], v[58:59], off offset:48
	v_fma_f64 v[86:87], -v[60:61], v[84:85], v[36:37]
	global_load_dwordx4 v[36:39], v[38:39], off
	v_add_u32_e32 v42, 2, v46
	v_fmac_f64_e32 v[32:33], v[50:51], v[82:83]
	v_fmac_f64_e32 v[0:1], v[52:53], v[82:83]
	v_fma_f64 v[82:83], -v[52:53], v[84:85], v[32:33]
	v_fmac_f64_e32 v[0:1], v[50:51], v[84:85]
	global_load_dwordx4 v[32:35], v[58:59], off offset:32
	global_load_dwordx4 v[50:53], v[58:59], off offset:16
	s_waitcnt vmcnt(2)
	v_fmac_f64_e32 v[26:27], v[64:65], v[36:37]
	v_fmac_f64_e32 v[88:89], v[62:63], v[36:37]
	;; [unrolled: 1-line block ×3, first 2 shown]
	v_lshl_add_u64 v[62:63], v[42:43], 4, s[10:11]
	v_fma_f64 v[84:85], -v[64:65], v[38:39], v[88:89]
	global_load_dwordx4 v[58:61], v[58:59], off
	v_add_u32_e32 v42, -4, v40
	global_load_dwordx4 v[62:65], v[62:63], off
	v_fmac_f64_e32 v[28:29], v[80:81], v[36:37]
	v_fmac_f64_e32 v[86:87], v[78:79], v[36:37]
	;; [unrolled: 1-line block ×3, first 2 shown]
	v_lshl_add_u64 v[78:79], v[42:43], 4, s[8:9]
	v_add_u32_e32 v42, 3, v46
	v_fmac_f64_e32 v[90:91], v[74:75], v[36:37]
	v_fmac_f64_e32 v[24:25], v[76:77], v[36:37]
	;; [unrolled: 1-line block ×4, first 2 shown]
	v_fma_f64 v[86:87], -v[80:81], v[38:39], v[86:87]
	v_fma_f64 v[88:89], -v[76:77], v[38:39], v[90:91]
	v_fmac_f64_e32 v[24:25], v[74:75], v[38:39]
	global_load_dwordx4 v[74:77], v[78:79], off offset:48
	v_fma_f64 v[82:83], -v[72:73], v[38:39], v[82:83]
	v_fmac_f64_e32 v[0:1], v[70:71], v[38:39]
	global_load_dwordx4 v[36:39], v[78:79], off offset:32
	global_load_dwordx4 v[70:73], v[78:79], off offset:16
	v_add_u32_e32 v40, 0x280, v40
	s_waitcnt vmcnt(3)
	v_fmac_f64_e32 v[84:85], v[58:59], v[62:63]
	v_fmac_f64_e32 v[26:27], v[60:61], v[62:63]
	v_fma_f64 v[84:85], -v[60:61], v[64:65], v[84:85]
	v_fmac_f64_e32 v[26:27], v[58:59], v[64:65]
	global_load_dwordx4 v[58:61], v[78:79], off
	v_lshl_add_u64 v[78:79], v[42:43], 4, s[10:11]
	v_add_u32_e32 v42, 4, v46
	global_load_dwordx4 v[78:81], v[78:79], off
	v_fmac_f64_e32 v[28:29], v[52:53], v[62:63]
	v_fmac_f64_e32 v[86:87], v[50:51], v[62:63]
	;; [unrolled: 1-line block ×3, first 2 shown]
	v_lshl_add_u64 v[50:51], v[42:43], 4, s[10:11]
	v_fma_f64 v[46:47], -v[52:53], v[64:65], v[86:87]
	global_load_dwordx4 v[50:53], v[50:51], off
	v_fmac_f64_e32 v[88:89], v[32:33], v[62:63]
	v_fmac_f64_e32 v[24:25], v[34:35], v[62:63]
	;; [unrolled: 1-line block ×4, first 2 shown]
	v_fma_f64 v[34:35], -v[34:35], v[64:65], v[88:89]
	v_fmac_f64_e32 v[24:25], v[32:33], v[64:65]
	v_fma_f64 v[32:33], -v[56:57], v[64:65], v[82:83]
	v_fmac_f64_e32 v[0:1], v[54:55], v[64:65]
	s_waitcnt vmcnt(1)
	v_fmac_f64_e32 v[84:85], v[58:59], v[78:79]
	v_fmac_f64_e32 v[26:27], v[60:61], v[78:79]
	;; [unrolled: 1-line block ×8, first 2 shown]
	v_fma_f64 v[54:55], -v[60:61], v[80:81], v[84:85]
	v_fmac_f64_e32 v[26:27], v[58:59], v[80:81]
	v_fma_f64 v[46:47], -v[72:73], v[80:81], v[46:47]
	v_fmac_f64_e32 v[28:29], v[70:71], v[80:81]
	;; [unrolled: 2-line block ×4, first 2 shown]
	s_waitcnt vmcnt(0)
	v_fmac_f64_e32 v[54:55], v[66:67], v[50:51]
	v_fmac_f64_e32 v[26:27], v[68:69], v[50:51]
	;; [unrolled: 1-line block ×8, first 2 shown]
	v_fma_f64 v[38:39], -v[68:69], v[52:53], v[54:55]
	v_fmac_f64_e32 v[26:27], v[66:67], v[52:53]
	v_fma_f64 v[36:37], -v[20:21], v[52:53], v[46:47]
	v_fmac_f64_e32 v[28:29], v[18:19], v[52:53]
	;; [unrolled: 2-line block ×4, first 2 shown]
	s_andn2_b64 exec, exec, s[14:15]
	s_cbranch_execnz .LBB129_7
; %bb.8:
	s_or_b64 exec, exec, s[14:15]
.LBB129_9:
	s_or_b64 exec, exec, s[4:5]
	s_cbranch_execz .LBB129_11
	s_branch .LBB129_16
.LBB129_10:
                                        ; implicit-def: $vgpr26_vgpr27
                                        ; implicit-def: $vgpr38_vgpr39
                                        ; implicit-def: $vgpr32_vgpr33
                                        ; implicit-def: $vgpr0_vgpr1
                                        ; implicit-def: $vgpr34_vgpr35
                                        ; implicit-def: $vgpr24_vgpr25
                                        ; implicit-def: $vgpr36_vgpr37
                                        ; implicit-def: $vgpr28_vgpr29
.LBB129_11:
	v_mov_b64_e32 v[26:27], 0
	v_mov_b64_e32 v[38:39], 0
	;; [unrolled: 1-line block ×8, first 2 shown]
	s_and_saveexec_b64 s[4:5], s[2:3]
	s_cbranch_execz .LBB129_15
; %bb.12:
	v_mad_u64_u32 v[10:11], s[2:3], v30, 20, 19
	v_mov_b64_e32 v[26:27], 0
	s_mov_b64 s[2:3], 0
	v_mov_b32_e32 v13, 0
	v_mov_b64_e32 v[38:39], 0
	v_mov_b64_e32 v[32:33], 0
	;; [unrolled: 1-line block ×7, first 2 shown]
.LBB129_13:                             ; =>This Inner Loop Header: Depth=1
	v_ashrrev_i32_e32 v31, 31, v30
	v_subrev_u32_e32 v12, 19, v10
	v_add_u32_e32 v20, -14, v10
	v_add_u32_e32 v18, -9, v10
	;; [unrolled: 1-line block ×3, first 2 shown]
	v_mov_b32_e32 v21, v13
	v_mov_b32_e32 v19, v13
	;; [unrolled: 1-line block ×4, first 2 shown]
	v_lshl_add_u64 v[70:71], v[30:31], 2, s[6:7]
	v_lshl_add_u64 v[72:73], v[12:13], 4, s[8:9]
	;; [unrolled: 1-line block ×6, first 2 shown]
	global_load_dword v11, v[70:71], off
	global_load_dwordx4 v[16:19], v[72:73], off offset:48
	global_load_dwordx4 v[40:43], v[72:73], off offset:32
	;; [unrolled: 1-line block ×3, first 2 shown]
	global_load_dwordx4 v[50:53], v[72:73], off
	global_load_dwordx4 v[54:57], v[20:21], off
	;; [unrolled: 1-line block ×5, first 2 shown]
	v_mov_b32_e32 v15, v13
	v_add_u32_e32 v30, 32, v30
	v_cmp_ge_i32_e32 vcc, v30, v48
	s_or_b64 s[2:3], vcc, s[2:3]
	s_waitcnt vmcnt(8)
	v_subrev_u32_e32 v11, s12, v11
	v_lshl_add_u32 v14, v11, 2, v11
	v_lshl_add_u64 v[20:21], v[14:15], 4, s[10:11]
	global_load_dwordx4 v[70:73], v[20:21], off
	v_add_u32_e32 v12, 1, v14
	v_lshl_add_u64 v[20:21], v[12:13], 4, s[10:11]
	v_add_u32_e32 v12, -13, v10
	global_load_dwordx4 v[74:77], v[20:21], off
	v_lshl_add_u64 v[20:21], v[12:13], 4, s[8:9]
	v_add_u32_e32 v12, -8, v10
	s_waitcnt vmcnt(1)
	v_fmac_f64_e32 v[38:39], v[50:51], v[70:71]
	v_fmac_f64_e32 v[26:27], v[52:53], v[70:71]
	v_fma_f64 v[78:79], -v[52:53], v[72:73], v[38:39]
	v_fmac_f64_e32 v[26:27], v[50:51], v[72:73]
	global_load_dwordx4 v[50:53], v[20:21], off
	v_lshl_add_u64 v[20:21], v[12:13], 4, s[8:9]
	v_add_u32_e32 v12, -3, v10
	v_fmac_f64_e32 v[36:37], v[54:55], v[70:71]
	v_fmac_f64_e32 v[28:29], v[56:57], v[70:71]
	v_fma_f64 v[80:81], -v[56:57], v[72:73], v[36:37]
	global_load_dwordx4 v[36:39], v[20:21], off
	v_lshl_add_u64 v[20:21], v[12:13], 4, s[8:9]
	v_fmac_f64_e32 v[28:29], v[54:55], v[72:73]
	v_add_u32_e32 v12, 2, v14
	global_load_dwordx4 v[54:57], v[20:21], off
	v_fmac_f64_e32 v[34:35], v[58:59], v[70:71]
	v_lshl_add_u64 v[20:21], v[12:13], 4, s[10:11]
	v_add_u32_e32 v12, -12, v10
	v_fmac_f64_e32 v[32:33], v[62:63], v[70:71]
	v_fmac_f64_e32 v[24:25], v[60:61], v[70:71]
	v_fma_f64 v[82:83], -v[60:61], v[72:73], v[34:35]
	v_fmac_f64_e32 v[0:1], v[64:65], v[70:71]
	v_fma_f64 v[64:65], -v[64:65], v[72:73], v[32:33]
	global_load_dwordx4 v[32:35], v[20:21], off
	v_lshl_add_u64 v[20:21], v[12:13], 4, s[8:9]
	v_add_u32_e32 v12, -7, v10
	v_fmac_f64_e32 v[24:25], v[58:59], v[72:73]
	global_load_dwordx4 v[58:61], v[20:21], off
	v_lshl_add_u64 v[20:21], v[12:13], 4, s[8:9]
	v_add_u32_e32 v12, -2, v10
	s_waitcnt vmcnt(5)
	v_fmac_f64_e32 v[78:79], v[44:45], v[74:75]
	v_fmac_f64_e32 v[26:27], v[46:47], v[74:75]
	v_fma_f64 v[70:71], -v[46:47], v[76:77], v[78:79]
	v_fmac_f64_e32 v[26:27], v[44:45], v[76:77]
	global_load_dwordx4 v[44:47], v[20:21], off
	v_lshl_add_u64 v[20:21], v[12:13], 4, s[8:9]
	v_add_u32_e32 v12, 3, v14
	v_fmac_f64_e32 v[0:1], v[62:63], v[72:73]
	s_waitcnt vmcnt(5)
	v_fmac_f64_e32 v[80:81], v[50:51], v[74:75]
	v_fmac_f64_e32 v[28:29], v[52:53], v[74:75]
	v_fma_f64 v[78:79], -v[52:53], v[76:77], v[80:81]
	v_fmac_f64_e32 v[28:29], v[50:51], v[76:77]
	global_load_dwordx4 v[50:53], v[20:21], off
	v_lshl_add_u64 v[20:21], v[12:13], 4, s[10:11]
	v_add_u32_e32 v12, -11, v10
	s_waitcnt vmcnt(5)
	v_fmac_f64_e32 v[82:83], v[36:37], v[74:75]
	v_fmac_f64_e32 v[24:25], v[38:39], v[74:75]
	v_fma_f64 v[80:81], -v[38:39], v[76:77], v[82:83]
	v_fmac_f64_e32 v[24:25], v[36:37], v[76:77]
	global_load_dwordx4 v[36:39], v[20:21], off
	v_lshl_add_u64 v[20:21], v[12:13], 4, s[8:9]
	v_add_u32_e32 v12, -6, v10
	;; [unrolled: 8-line block ×3, first 2 shown]
	v_lshl_add_u64 v[76:77], v[12:13], 4, s[8:9]
	v_add_u32_e32 v12, -15, v10
	v_lshl_add_u64 v[82:83], v[12:13], 4, s[8:9]
	v_add_u32_e32 v12, 4, v14
	s_waitcnt vmcnt(4)
	v_fmac_f64_e32 v[28:29], v[60:61], v[32:33]
	v_fmac_f64_e32 v[78:79], v[58:59], v[32:33]
	v_fmac_f64_e32 v[28:29], v[58:59], v[34:35]
	v_lshl_add_u64 v[58:59], v[12:13], 4, s[10:11]
	v_add_u32_e32 v12, -10, v10
	s_waitcnt vmcnt(3)
	v_fmac_f64_e32 v[24:25], v[46:47], v[32:33]
	global_load_dwordx4 v[62:65], v[20:21], off
	v_fmac_f64_e32 v[70:71], v[40:41], v[32:33]
	v_fmac_f64_e32 v[26:27], v[42:43], v[32:33]
	;; [unrolled: 1-line block ×4, first 2 shown]
	v_lshl_add_u64 v[44:45], v[12:13], 4, s[8:9]
	v_add_u32_e32 v12, -5, v10
	v_fma_f64 v[14:15], -v[42:43], v[34:35], v[70:71]
	v_fmac_f64_e32 v[26:27], v[40:41], v[34:35]
	global_load_dwordx4 v[40:43], v[76:77], off
	global_load_dwordx4 v[70:73], v[82:83], off
	v_fma_f64 v[20:21], -v[60:61], v[34:35], v[78:79]
	v_fma_f64 v[76:77], -v[46:47], v[34:35], v[80:81]
	global_load_dwordx4 v[58:61], v[58:59], off
	v_add_u32_e32 v10, 0x280, v10
	global_load_dwordx4 v[44:47], v[44:45], off
	s_waitcnt vmcnt(7)
	v_fmac_f64_e32 v[74:75], v[50:51], v[32:33]
	v_fmac_f64_e32 v[0:1], v[52:53], v[32:33]
	v_fma_f64 v[32:33], -v[52:53], v[34:35], v[74:75]
	v_fmac_f64_e32 v[0:1], v[50:51], v[34:35]
	v_lshl_add_u64 v[34:35], v[12:13], 4, s[8:9]
	global_load_dwordx4 v[50:53], v[34:35], off
	s_waitcnt vmcnt(7)
	v_fmac_f64_e32 v[14:15], v[16:17], v[36:37]
	v_fmac_f64_e32 v[26:27], v[18:19], v[36:37]
	v_fma_f64 v[14:15], -v[18:19], v[38:39], v[14:15]
	v_fmac_f64_e32 v[26:27], v[16:17], v[38:39]
	s_waitcnt vmcnt(6)
	v_fmac_f64_e32 v[20:21], v[54:55], v[36:37]
	v_fmac_f64_e32 v[28:29], v[56:57], v[36:37]
	v_fma_f64 v[16:17], -v[56:57], v[38:39], v[20:21]
	v_fmac_f64_e32 v[28:29], v[54:55], v[38:39]
	;; [unrolled: 5-line block ×4, first 2 shown]
	s_waitcnt vmcnt(2)
	v_fmac_f64_e32 v[14:15], v[70:71], v[58:59]
	v_fmac_f64_e32 v[26:27], v[72:73], v[58:59]
	v_fmac_f64_e32 v[20:21], v[66:67], v[58:59]
	v_fmac_f64_e32 v[0:1], v[68:69], v[58:59]
	s_waitcnt vmcnt(1)
	v_fmac_f64_e32 v[16:17], v[44:45], v[58:59]
	v_fmac_f64_e32 v[28:29], v[46:47], v[58:59]
	v_fma_f64 v[38:39], -v[72:73], v[60:61], v[14:15]
	v_fmac_f64_e32 v[26:27], v[70:71], v[60:61]
	v_fma_f64 v[32:33], -v[68:69], v[60:61], v[20:21]
	;; [unrolled: 2-line block ×3, first 2 shown]
	v_fmac_f64_e32 v[28:29], v[44:45], v[60:61]
	s_waitcnt vmcnt(0)
	v_fmac_f64_e32 v[18:19], v[50:51], v[58:59]
	v_fmac_f64_e32 v[24:25], v[52:53], v[58:59]
	v_fma_f64 v[34:35], -v[52:53], v[60:61], v[18:19]
	v_fmac_f64_e32 v[24:25], v[50:51], v[60:61]
	s_andn2_b64 exec, exec, s[2:3]
	s_cbranch_execnz .LBB129_13
; %bb.14:
	s_or_b64 exec, exec, s[2:3]
.LBB129_15:
	s_or_b64 exec, exec, s[4:5]
.LBB129_16:
	v_mov_b32_dpp v14, v26 row_shr:1 row_mask:0xf bank_mask:0xf
	v_mov_b32_dpp v15, v27 row_shr:1 row_mask:0xf bank_mask:0xf
	v_add_f64 v[14:15], v[26:27], v[14:15]
	v_mov_b32_dpp v10, v38 row_shr:1 row_mask:0xf bank_mask:0xf
	v_mov_b32_dpp v11, v39 row_shr:1 row_mask:0xf bank_mask:0xf
	;; [unrolled: 1-line block ×4, first 2 shown]
	v_add_f64 v[14:15], v[14:15], v[16:17]
	v_add_f64 v[10:11], v[38:39], v[10:11]
	v_cmp_eq_u32_e32 vcc, 31, v23
	v_mov_b32_dpp v16, v14 row_shr:4 row_mask:0xf bank_mask:0xe
	v_mov_b32_dpp v17, v15 row_shr:4 row_mask:0xf bank_mask:0xe
	v_add_f64 v[14:15], v[14:15], v[16:17]
	v_mov_b32_dpp v12, v10 row_shr:2 row_mask:0xf bank_mask:0xf
	v_mov_b32_dpp v13, v11 row_shr:2 row_mask:0xf bank_mask:0xf
	;; [unrolled: 1-line block ×4, first 2 shown]
	v_add_f64 v[14:15], v[14:15], v[16:17]
	v_mov_b32_dpp v16, v36 row_shr:1 row_mask:0xf bank_mask:0xf
	v_mov_b32_dpp v17, v37 row_shr:1 row_mask:0xf bank_mask:0xf
	v_add_f64 v[16:17], v[36:37], v[16:17]
	v_add_f64 v[10:11], v[10:11], v[12:13]
	v_mov_b32_dpp v18, v14 row_bcast:15 row_mask:0xa bank_mask:0xf
	v_mov_b32_dpp v20, v16 row_shr:2 row_mask:0xf bank_mask:0xf
	v_mov_b32_dpp v21, v17 row_shr:2 row_mask:0xf bank_mask:0xf
	v_add_f64 v[16:17], v[16:17], v[20:21]
	v_mov_b32_dpp v12, v10 row_shr:4 row_mask:0xf bank_mask:0xe
	v_mov_b32_dpp v13, v11 row_shr:4 row_mask:0xf bank_mask:0xe
	;; [unrolled: 1-line block ×4, first 2 shown]
	v_add_f64 v[16:17], v[16:17], v[20:21]
	v_add_f64 v[10:11], v[10:11], v[12:13]
	v_mov_b32_dpp v19, v15 row_bcast:15 row_mask:0xa bank_mask:0xf
	v_mov_b32_dpp v20, v16 row_shr:8 row_mask:0xf bank_mask:0xc
	v_mov_b32_dpp v21, v17 row_shr:8 row_mask:0xf bank_mask:0xc
	v_add_f64 v[20:21], v[16:17], v[20:21]
	v_mov_b32_dpp v16, v28 row_shr:1 row_mask:0xf bank_mask:0xf
	v_mov_b32_dpp v17, v29 row_shr:1 row_mask:0xf bank_mask:0xf
	v_add_f64 v[16:17], v[28:29], v[16:17]
	v_mov_b32_dpp v12, v10 row_shr:8 row_mask:0xf bank_mask:0xc
	v_mov_b32_dpp v13, v11 row_shr:8 row_mask:0xf bank_mask:0xc
	;; [unrolled: 1-line block ×4, first 2 shown]
	v_add_f64 v[16:17], v[16:17], v[28:29]
	v_add_f64 v[10:11], v[10:11], v[12:13]
	v_mov_b32_dpp v26, v20 row_bcast:15 row_mask:0xa bank_mask:0xf
	v_mov_b32_dpp v28, v16 row_shr:4 row_mask:0xf bank_mask:0xe
	v_mov_b32_dpp v29, v17 row_shr:4 row_mask:0xf bank_mask:0xe
	v_add_f64 v[16:17], v[16:17], v[28:29]
	v_mov_b32_dpp v12, v10 row_bcast:15 row_mask:0xa bank_mask:0xf
	v_mov_b32_dpp v13, v11 row_bcast:15 row_mask:0xa bank_mask:0xf
	v_mov_b32_dpp v28, v16 row_shr:8 row_mask:0xf bank_mask:0xc
	v_mov_b32_dpp v29, v17 row_shr:8 row_mask:0xf bank_mask:0xc
	v_add_f64 v[28:29], v[16:17], v[28:29]
	v_mov_b32_dpp v16, v34 row_shr:1 row_mask:0xf bank_mask:0xf
	v_mov_b32_dpp v17, v35 row_shr:1 row_mask:0xf bank_mask:0xf
	v_add_f64 v[16:17], v[34:35], v[16:17]
	v_mov_b32_dpp v27, v21 row_bcast:15 row_mask:0xa bank_mask:0xf
	v_mov_b32_dpp v30, v28 row_bcast:15 row_mask:0xa bank_mask:0xf
	v_mov_b32_dpp v34, v16 row_shr:2 row_mask:0xf bank_mask:0xf
	v_mov_b32_dpp v35, v17 row_shr:2 row_mask:0xf bank_mask:0xf
	v_add_f64 v[16:17], v[16:17], v[34:35]
	v_mov_b32_dpp v31, v29 row_bcast:15 row_mask:0xa bank_mask:0xf
	s_nop 0
	v_mov_b32_dpp v34, v16 row_shr:4 row_mask:0xf bank_mask:0xe
	v_mov_b32_dpp v35, v17 row_shr:4 row_mask:0xf bank_mask:0xe
	v_add_f64 v[16:17], v[16:17], v[34:35]
	s_nop 1
	v_mov_b32_dpp v34, v16 row_shr:8 row_mask:0xf bank_mask:0xc
	v_mov_b32_dpp v35, v17 row_shr:8 row_mask:0xf bank_mask:0xc
	v_add_f64 v[34:35], v[16:17], v[34:35]
	v_mov_b32_dpp v16, v24 row_shr:1 row_mask:0xf bank_mask:0xf
	v_mov_b32_dpp v17, v25 row_shr:1 row_mask:0xf bank_mask:0xf
	v_add_f64 v[16:17], v[24:25], v[16:17]
	v_mov_b32_dpp v36, v34 row_bcast:15 row_mask:0xa bank_mask:0xf
	v_mov_b32_dpp v37, v35 row_bcast:15 row_mask:0xa bank_mask:0xf
	v_mov_b32_dpp v24, v16 row_shr:2 row_mask:0xf bank_mask:0xf
	v_mov_b32_dpp v25, v17 row_shr:2 row_mask:0xf bank_mask:0xf
	v_add_f64 v[16:17], v[16:17], v[24:25]
	s_nop 1
	v_mov_b32_dpp v24, v16 row_shr:4 row_mask:0xf bank_mask:0xe
	v_mov_b32_dpp v25, v17 row_shr:4 row_mask:0xf bank_mask:0xe
	v_add_f64 v[16:17], v[16:17], v[24:25]
	s_nop 1
	v_mov_b32_dpp v24, v16 row_shr:8 row_mask:0xf bank_mask:0xc
	v_mov_b32_dpp v25, v17 row_shr:8 row_mask:0xf bank_mask:0xc
	v_add_f64 v[38:39], v[16:17], v[24:25]
	v_mov_b32_dpp v16, v32 row_shr:1 row_mask:0xf bank_mask:0xf
	v_mov_b32_dpp v17, v33 row_shr:1 row_mask:0xf bank_mask:0xf
	v_add_f64 v[16:17], v[32:33], v[16:17]
	v_mov_b32_dpp v40, v38 row_bcast:15 row_mask:0xa bank_mask:0xf
	v_mov_b32_dpp v41, v39 row_bcast:15 row_mask:0xa bank_mask:0xf
	v_mov_b32_dpp v24, v16 row_shr:2 row_mask:0xf bank_mask:0xf
	v_mov_b32_dpp v25, v17 row_shr:2 row_mask:0xf bank_mask:0xf
	v_add_f64 v[16:17], v[16:17], v[24:25]
	;; [unrolled: 16-line block ×3, first 2 shown]
	s_nop 1
	v_mov_b32_dpp v16, v0 row_shr:4 row_mask:0xf bank_mask:0xe
	v_mov_b32_dpp v17, v1 row_shr:4 row_mask:0xf bank_mask:0xe
	v_add_f64 v[0:1], v[0:1], v[16:17]
	s_nop 1
	v_mov_b32_dpp v16, v0 row_shr:8 row_mask:0xf bank_mask:0xc
	v_mov_b32_dpp v17, v1 row_shr:8 row_mask:0xf bank_mask:0xc
	v_add_f64 v[44:45], v[0:1], v[16:17]
	s_nop 1
	v_mov_b32_dpp v46, v44 row_bcast:15 row_mask:0xa bank_mask:0xf
	v_mov_b32_dpp v47, v45 row_bcast:15 row_mask:0xa bank_mask:0xf
	s_and_b64 exec, exec, vcc
	s_cbranch_execz .LBB129_21
; %bb.17:
	s_load_dwordx2 s[2:3], s[0:1], 0x48
	v_cmp_eq_f64_e32 vcc, 0, v[6:7]
	v_cmp_eq_f64_e64 s[0:1], 0, v[8:9]
	v_add_f64 v[16:17], v[10:11], v[12:13]
	v_add_f64 v[24:25], v[14:15], v[18:19]
	;; [unrolled: 1-line block ×8, first 2 shown]
	s_and_b64 s[0:1], vcc, s[0:1]
	s_and_saveexec_b64 s[4:5], s[0:1]
	s_xor_b64 s[0:1], exec, s[4:5]
	s_cbranch_execz .LBB129_19
; %bb.18:
	v_mul_f64 v[6:7], v[24:25], -v[4:5]
	v_mul_f64 v[8:9], v[2:3], v[24:25]
	v_fmac_f64_e32 v[6:7], v[2:3], v[16:17]
	v_fmac_f64_e32 v[8:9], v[4:5], v[16:17]
	v_lshlrev_b32_e32 v16, 2, v22
	v_ashrrev_i32_e32 v17, 31, v16
	s_waitcnt lgkmcnt(0)
	v_lshl_add_u64 v[16:17], v[16:17], 4, s[2:3]
	global_store_dwordx4 v[16:17], v[6:9], off
                                        ; implicit-def: $vgpr22
                                        ; implicit-def: $vgpr24_vgpr25
	s_nop 1
	v_mul_f64 v[6:7], v[20:21], -v[4:5]
	v_mul_f64 v[8:9], v[2:3], v[20:21]
	v_fmac_f64_e32 v[6:7], v[2:3], v[12:13]
	v_fmac_f64_e32 v[8:9], v[4:5], v[12:13]
	global_store_dwordx4 v[16:17], v[6:9], off offset:16
                                        ; implicit-def: $vgpr12_vgpr13
                                        ; implicit-def: $vgpr20_vgpr21
	s_nop 1
	v_mul_f64 v[6:7], v[18:19], -v[4:5]
	v_mul_f64 v[8:9], v[2:3], v[18:19]
	v_fmac_f64_e32 v[6:7], v[2:3], v[10:11]
	v_fmac_f64_e32 v[8:9], v[4:5], v[10:11]
	global_store_dwordx4 v[16:17], v[6:9], off offset:32
                                        ; implicit-def: $vgpr10_vgpr11
                                        ; implicit-def: $vgpr18_vgpr19
	s_nop 1
	v_mul_f64 v[6:7], v[14:15], -v[4:5]
	v_mul_f64 v[8:9], v[2:3], v[14:15]
	v_fmac_f64_e32 v[6:7], v[2:3], v[0:1]
	v_fmac_f64_e32 v[8:9], v[4:5], v[0:1]
	global_store_dwordx4 v[16:17], v[6:9], off offset:48
                                        ; implicit-def: $vgpr16_vgpr17
                                        ; implicit-def: $vgpr0_vgpr1
                                        ; implicit-def: $vgpr14_vgpr15
                                        ; implicit-def: $vgpr8_vgpr9
                                        ; implicit-def: $vgpr4_vgpr5
.LBB129_19:
	s_andn2_saveexec_b64 s[0:1], s[0:1]
	s_cbranch_execz .LBB129_21
; %bb.20:
	v_lshlrev_b32_e32 v22, 2, v22
	v_ashrrev_i32_e32 v23, 31, v22
	s_waitcnt lgkmcnt(0)
	v_lshl_add_u64 v[46:47], v[22:23], 4, s[2:3]
	global_load_dwordx4 v[26:29], v[46:47], off
	global_load_dwordx4 v[30:33], v[46:47], off offset:16
	global_load_dwordx4 v[34:37], v[46:47], off offset:32
	;; [unrolled: 1-line block ×3, first 2 shown]
	v_mul_f64 v[42:43], v[24:25], -v[4:5]
	v_mul_f64 v[22:23], v[2:3], v[24:25]
	v_mul_f64 v[24:25], v[20:21], -v[4:5]
	v_mul_f64 v[44:45], v[2:3], v[20:21]
	;; [unrolled: 2-line block ×4, first 2 shown]
	v_fmac_f64_e32 v[42:43], v[2:3], v[16:17]
	v_fmac_f64_e32 v[22:23], v[4:5], v[16:17]
	;; [unrolled: 1-line block ×8, first 2 shown]
	s_waitcnt vmcnt(3)
	v_fmac_f64_e32 v[42:43], v[6:7], v[26:27]
	v_fmac_f64_e32 v[22:23], v[8:9], v[26:27]
	s_waitcnt vmcnt(2)
	v_fmac_f64_e32 v[24:25], v[6:7], v[30:31]
	v_fmac_f64_e32 v[44:45], v[8:9], v[30:31]
	;; [unrolled: 3-line block ×4, first 2 shown]
	v_fma_f64 v[20:21], -v[8:9], v[28:29], v[42:43]
	v_fmac_f64_e32 v[22:23], v[6:7], v[28:29]
	v_fma_f64 v[42:43], -v[8:9], v[32:33], v[24:25]
	v_fmac_f64_e32 v[44:45], v[6:7], v[32:33]
	;; [unrolled: 2-line block ×4, first 2 shown]
	global_store_dwordx4 v[46:47], v[20:23], off
	global_store_dwordx4 v[46:47], v[42:45], off offset:16
	global_store_dwordx4 v[46:47], v[16:19], off offset:32
	;; [unrolled: 1-line block ×3, first 2 shown]
.LBB129_21:
	s_endpgm
	.section	.rodata,"a",@progbits
	.p2align	6, 0x0
	.amdhsa_kernel _ZN9rocsparseL19gebsrmvn_4xn_kernelILj128ELj5ELj32E21rocsparse_complex_numIdEEEvi20rocsparse_direction_NS_24const_host_device_scalarIT2_EEPKiS8_PKS5_SA_S6_PS5_21rocsparse_index_base_b
		.amdhsa_group_segment_fixed_size 0
		.amdhsa_private_segment_fixed_size 0
		.amdhsa_kernarg_size 88
		.amdhsa_user_sgpr_count 2
		.amdhsa_user_sgpr_dispatch_ptr 0
		.amdhsa_user_sgpr_queue_ptr 0
		.amdhsa_user_sgpr_kernarg_segment_ptr 1
		.amdhsa_user_sgpr_dispatch_id 0
		.amdhsa_user_sgpr_kernarg_preload_length 0
		.amdhsa_user_sgpr_kernarg_preload_offset 0
		.amdhsa_user_sgpr_private_segment_size 0
		.amdhsa_uses_dynamic_stack 0
		.amdhsa_enable_private_segment 0
		.amdhsa_system_sgpr_workgroup_id_x 1
		.amdhsa_system_sgpr_workgroup_id_y 0
		.amdhsa_system_sgpr_workgroup_id_z 0
		.amdhsa_system_sgpr_workgroup_info 0
		.amdhsa_system_vgpr_workitem_id 0
		.amdhsa_next_free_vgpr 92
		.amdhsa_next_free_sgpr 16
		.amdhsa_accum_offset 92
		.amdhsa_reserve_vcc 1
		.amdhsa_float_round_mode_32 0
		.amdhsa_float_round_mode_16_64 0
		.amdhsa_float_denorm_mode_32 3
		.amdhsa_float_denorm_mode_16_64 3
		.amdhsa_dx10_clamp 1
		.amdhsa_ieee_mode 1
		.amdhsa_fp16_overflow 0
		.amdhsa_tg_split 0
		.amdhsa_exception_fp_ieee_invalid_op 0
		.amdhsa_exception_fp_denorm_src 0
		.amdhsa_exception_fp_ieee_div_zero 0
		.amdhsa_exception_fp_ieee_overflow 0
		.amdhsa_exception_fp_ieee_underflow 0
		.amdhsa_exception_fp_ieee_inexact 0
		.amdhsa_exception_int_div_zero 0
	.end_amdhsa_kernel
	.section	.text._ZN9rocsparseL19gebsrmvn_4xn_kernelILj128ELj5ELj32E21rocsparse_complex_numIdEEEvi20rocsparse_direction_NS_24const_host_device_scalarIT2_EEPKiS8_PKS5_SA_S6_PS5_21rocsparse_index_base_b,"axG",@progbits,_ZN9rocsparseL19gebsrmvn_4xn_kernelILj128ELj5ELj32E21rocsparse_complex_numIdEEEvi20rocsparse_direction_NS_24const_host_device_scalarIT2_EEPKiS8_PKS5_SA_S6_PS5_21rocsparse_index_base_b,comdat
.Lfunc_end129:
	.size	_ZN9rocsparseL19gebsrmvn_4xn_kernelILj128ELj5ELj32E21rocsparse_complex_numIdEEEvi20rocsparse_direction_NS_24const_host_device_scalarIT2_EEPKiS8_PKS5_SA_S6_PS5_21rocsparse_index_base_b, .Lfunc_end129-_ZN9rocsparseL19gebsrmvn_4xn_kernelILj128ELj5ELj32E21rocsparse_complex_numIdEEEvi20rocsparse_direction_NS_24const_host_device_scalarIT2_EEPKiS8_PKS5_SA_S6_PS5_21rocsparse_index_base_b
                                        ; -- End function
	.set _ZN9rocsparseL19gebsrmvn_4xn_kernelILj128ELj5ELj32E21rocsparse_complex_numIdEEEvi20rocsparse_direction_NS_24const_host_device_scalarIT2_EEPKiS8_PKS5_SA_S6_PS5_21rocsparse_index_base_b.num_vgpr, 92
	.set _ZN9rocsparseL19gebsrmvn_4xn_kernelILj128ELj5ELj32E21rocsparse_complex_numIdEEEvi20rocsparse_direction_NS_24const_host_device_scalarIT2_EEPKiS8_PKS5_SA_S6_PS5_21rocsparse_index_base_b.num_agpr, 0
	.set _ZN9rocsparseL19gebsrmvn_4xn_kernelILj128ELj5ELj32E21rocsparse_complex_numIdEEEvi20rocsparse_direction_NS_24const_host_device_scalarIT2_EEPKiS8_PKS5_SA_S6_PS5_21rocsparse_index_base_b.numbered_sgpr, 16
	.set _ZN9rocsparseL19gebsrmvn_4xn_kernelILj128ELj5ELj32E21rocsparse_complex_numIdEEEvi20rocsparse_direction_NS_24const_host_device_scalarIT2_EEPKiS8_PKS5_SA_S6_PS5_21rocsparse_index_base_b.num_named_barrier, 0
	.set _ZN9rocsparseL19gebsrmvn_4xn_kernelILj128ELj5ELj32E21rocsparse_complex_numIdEEEvi20rocsparse_direction_NS_24const_host_device_scalarIT2_EEPKiS8_PKS5_SA_S6_PS5_21rocsparse_index_base_b.private_seg_size, 0
	.set _ZN9rocsparseL19gebsrmvn_4xn_kernelILj128ELj5ELj32E21rocsparse_complex_numIdEEEvi20rocsparse_direction_NS_24const_host_device_scalarIT2_EEPKiS8_PKS5_SA_S6_PS5_21rocsparse_index_base_b.uses_vcc, 1
	.set _ZN9rocsparseL19gebsrmvn_4xn_kernelILj128ELj5ELj32E21rocsparse_complex_numIdEEEvi20rocsparse_direction_NS_24const_host_device_scalarIT2_EEPKiS8_PKS5_SA_S6_PS5_21rocsparse_index_base_b.uses_flat_scratch, 0
	.set _ZN9rocsparseL19gebsrmvn_4xn_kernelILj128ELj5ELj32E21rocsparse_complex_numIdEEEvi20rocsparse_direction_NS_24const_host_device_scalarIT2_EEPKiS8_PKS5_SA_S6_PS5_21rocsparse_index_base_b.has_dyn_sized_stack, 0
	.set _ZN9rocsparseL19gebsrmvn_4xn_kernelILj128ELj5ELj32E21rocsparse_complex_numIdEEEvi20rocsparse_direction_NS_24const_host_device_scalarIT2_EEPKiS8_PKS5_SA_S6_PS5_21rocsparse_index_base_b.has_recursion, 0
	.set _ZN9rocsparseL19gebsrmvn_4xn_kernelILj128ELj5ELj32E21rocsparse_complex_numIdEEEvi20rocsparse_direction_NS_24const_host_device_scalarIT2_EEPKiS8_PKS5_SA_S6_PS5_21rocsparse_index_base_b.has_indirect_call, 0
	.section	.AMDGPU.csdata,"",@progbits
; Kernel info:
; codeLenInByte = 3760
; TotalNumSgprs: 22
; NumVgprs: 92
; NumAgprs: 0
; TotalNumVgprs: 92
; ScratchSize: 0
; MemoryBound: 0
; FloatMode: 240
; IeeeMode: 1
; LDSByteSize: 0 bytes/workgroup (compile time only)
; SGPRBlocks: 2
; VGPRBlocks: 11
; NumSGPRsForWavesPerEU: 22
; NumVGPRsForWavesPerEU: 92
; AccumOffset: 92
; Occupancy: 5
; WaveLimiterHint : 1
; COMPUTE_PGM_RSRC2:SCRATCH_EN: 0
; COMPUTE_PGM_RSRC2:USER_SGPR: 2
; COMPUTE_PGM_RSRC2:TRAP_HANDLER: 0
; COMPUTE_PGM_RSRC2:TGID_X_EN: 1
; COMPUTE_PGM_RSRC2:TGID_Y_EN: 0
; COMPUTE_PGM_RSRC2:TGID_Z_EN: 0
; COMPUTE_PGM_RSRC2:TIDIG_COMP_CNT: 0
; COMPUTE_PGM_RSRC3_GFX90A:ACCUM_OFFSET: 22
; COMPUTE_PGM_RSRC3_GFX90A:TG_SPLIT: 0
	.section	.text._ZN9rocsparseL19gebsrmvn_4xn_kernelILj128ELj5ELj64E21rocsparse_complex_numIdEEEvi20rocsparse_direction_NS_24const_host_device_scalarIT2_EEPKiS8_PKS5_SA_S6_PS5_21rocsparse_index_base_b,"axG",@progbits,_ZN9rocsparseL19gebsrmvn_4xn_kernelILj128ELj5ELj64E21rocsparse_complex_numIdEEEvi20rocsparse_direction_NS_24const_host_device_scalarIT2_EEPKiS8_PKS5_SA_S6_PS5_21rocsparse_index_base_b,comdat
	.globl	_ZN9rocsparseL19gebsrmvn_4xn_kernelILj128ELj5ELj64E21rocsparse_complex_numIdEEEvi20rocsparse_direction_NS_24const_host_device_scalarIT2_EEPKiS8_PKS5_SA_S6_PS5_21rocsparse_index_base_b ; -- Begin function _ZN9rocsparseL19gebsrmvn_4xn_kernelILj128ELj5ELj64E21rocsparse_complex_numIdEEEvi20rocsparse_direction_NS_24const_host_device_scalarIT2_EEPKiS8_PKS5_SA_S6_PS5_21rocsparse_index_base_b
	.p2align	8
	.type	_ZN9rocsparseL19gebsrmvn_4xn_kernelILj128ELj5ELj64E21rocsparse_complex_numIdEEEvi20rocsparse_direction_NS_24const_host_device_scalarIT2_EEPKiS8_PKS5_SA_S6_PS5_21rocsparse_index_base_b,@function
_ZN9rocsparseL19gebsrmvn_4xn_kernelILj128ELj5ELj64E21rocsparse_complex_numIdEEEvi20rocsparse_direction_NS_24const_host_device_scalarIT2_EEPKiS8_PKS5_SA_S6_PS5_21rocsparse_index_base_b: ; @_ZN9rocsparseL19gebsrmvn_4xn_kernelILj128ELj5ELj64E21rocsparse_complex_numIdEEEvi20rocsparse_direction_NS_24const_host_device_scalarIT2_EEPKiS8_PKS5_SA_S6_PS5_21rocsparse_index_base_b
; %bb.0:
	s_load_dwordx2 s[4:5], s[0:1], 0x8
	s_load_dwordx2 s[6:7], s[0:1], 0x38
	;; [unrolled: 1-line block ×3, first 2 shown]
	s_add_u32 s3, s0, 8
	s_addc_u32 s8, s1, 0
	s_add_u32 s9, s0, 56
	s_addc_u32 s10, s1, 0
	s_waitcnt lgkmcnt(0)
	s_bitcmp1_b32 s13, 0
	s_cselect_b32 s5, s8, s5
	s_cselect_b32 s3, s3, s4
	v_mov_b32_e32 v2, s3
	v_mov_b32_e32 v3, s5
	flat_load_dwordx4 v[2:5], v[2:3]
	s_cselect_b32 s3, s10, s7
	s_cselect_b32 s4, s9, s6
	v_mov_b32_e32 v6, s4
	v_mov_b32_e32 v7, s3
	flat_load_dwordx4 v[6:9], v[6:7]
	s_waitcnt vmcnt(0) lgkmcnt(0)
	v_cmp_eq_f64_e32 vcc, 0, v[2:3]
	v_cmp_eq_f64_e64 s[4:5], 0, v[4:5]
	s_and_b64 s[8:9], vcc, s[4:5]
	s_mov_b64 s[4:5], -1
	s_and_saveexec_b64 s[6:7], s[8:9]
; %bb.1:
	v_cmp_neq_f64_e32 vcc, 1.0, v[6:7]
	v_cmp_neq_f64_e64 s[4:5], 0, v[8:9]
	s_or_b64 s[4:5], vcc, s[4:5]
	s_orn2_b64 s[4:5], s[4:5], exec
; %bb.2:
	s_or_b64 exec, exec, s[6:7]
	s_and_saveexec_b64 s[6:7], s[4:5]
	s_cbranch_execz .LBB130_21
; %bb.3:
	s_load_dwordx2 s[14:15], s[0:1], 0x0
	v_lshrrev_b32_e32 v1, 6, v0
	v_lshl_or_b32 v22, s2, 1, v1
	s_waitcnt lgkmcnt(0)
	v_cmp_gt_i32_e32 vcc, s14, v22
	s_and_b64 exec, exec, vcc
	s_cbranch_execz .LBB130_21
; %bb.4:
	s_load_dwordx8 s[4:11], s[0:1], 0x18
	v_ashrrev_i32_e32 v23, 31, v22
	s_cmp_lg_u32 s15, 0
	s_waitcnt lgkmcnt(0)
	v_lshl_add_u64 v[10:11], v[22:23], 2, s[4:5]
	global_load_dwordx2 v[10:11], v[10:11], off
	v_and_b32_e32 v23, 63, v0
	s_waitcnt vmcnt(0)
	v_subrev_u32_e32 v0, s12, v10
	v_subrev_u32_e32 v48, s12, v11
	v_add_u32_e32 v30, v0, v23
	v_cmp_lt_i32_e64 s[2:3], v30, v48
	s_cbranch_scc0 .LBB130_10
; %bb.5:
	v_mov_b64_e32 v[28:29], 0
	v_mov_b64_e32 v[38:39], 0
	;; [unrolled: 1-line block ×8, first 2 shown]
	s_and_saveexec_b64 s[4:5], s[2:3]
	s_cbranch_execz .LBB130_9
; %bb.6:
	v_mad_u64_u32 v[40:41], s[14:15], v30, 20, 16
	v_mov_b64_e32 v[28:29], 0
	s_mov_b64 s[14:15], 0
	v_mov_b32_e32 v43, 0
	v_mov_b32_e32 v44, v30
	v_mov_b64_e32 v[38:39], 0
	v_mov_b64_e32 v[32:33], 0
	;; [unrolled: 1-line block ×7, first 2 shown]
.LBB130_7:                              ; =>This Inner Loop Header: Depth=1
	v_ashrrev_i32_e32 v45, 31, v44
	v_add_u32_e32 v42, -16, v40
	v_lshl_add_u64 v[10:11], v[44:45], 2, s[6:7]
	v_lshl_add_u64 v[12:13], v[42:43], 4, s[8:9]
	global_load_dword v31, v[10:11], off
	global_load_dwordx4 v[50:53], v[12:13], off offset:48
	global_load_dwordx4 v[54:57], v[12:13], off offset:32
	;; [unrolled: 1-line block ×3, first 2 shown]
	global_load_dwordx4 v[62:65], v[12:13], off
	v_mov_b32_e32 v41, v43
	v_mov_b32_e32 v47, v43
	v_add_u32_e32 v42, -12, v40
	v_lshl_add_u64 v[82:83], v[40:41], 4, s[8:9]
	v_lshl_add_u64 v[86:87], v[42:43], 4, s[8:9]
	global_load_dwordx4 v[10:13], v[82:83], off offset:48
	global_load_dwordx4 v[14:17], v[82:83], off offset:32
	;; [unrolled: 1-line block ×3, first 2 shown]
	global_load_dwordx4 v[66:69], v[82:83], off
	global_load_dwordx4 v[70:73], v[86:87], off offset:48
	global_load_dwordx4 v[74:77], v[86:87], off offset:32
	;; [unrolled: 1-line block ×3, first 2 shown]
	v_add_u32_e32 v44, 64, v44
	v_cmp_ge_i32_e32 vcc, v44, v48
	s_or_b64 s[14:15], vcc, s[14:15]
	s_waitcnt vmcnt(11)
	v_subrev_u32_e32 v31, s12, v31
	v_lshl_add_u32 v46, v31, 2, v31
	v_lshl_add_u64 v[82:83], v[46:47], 4, s[10:11]
	global_load_dwordx4 v[82:85], v[82:83], off
	v_add_u32_e32 v42, 1, v46
	s_waitcnt vmcnt(0)
	v_fmac_f64_e32 v[38:39], v[62:63], v[82:83]
	v_fma_f64 v[88:89], -v[64:65], v[84:85], v[38:39]
	v_lshl_add_u64 v[38:39], v[42:43], 4, s[10:11]
	v_add_u32_e32 v42, -8, v40
	v_fmac_f64_e32 v[26:27], v[60:61], v[82:83]
	v_fmac_f64_e32 v[28:29], v[64:65], v[82:83]
	;; [unrolled: 1-line block ×4, first 2 shown]
	v_lshl_add_u64 v[58:59], v[42:43], 4, s[8:9]
	v_fmac_f64_e32 v[34:35], v[54:55], v[82:83]
	v_fmac_f64_e32 v[24:25], v[56:57], v[82:83]
	;; [unrolled: 1-line block ×3, first 2 shown]
	global_load_dwordx4 v[62:65], v[86:87], off
	v_fma_f64 v[90:91], -v[56:57], v[84:85], v[34:35]
	v_fmac_f64_e32 v[24:25], v[54:55], v[84:85]
	global_load_dwordx4 v[54:57], v[58:59], off offset:48
	v_fma_f64 v[86:87], -v[60:61], v[84:85], v[36:37]
	global_load_dwordx4 v[36:39], v[38:39], off
	v_add_u32_e32 v42, 2, v46
	v_fmac_f64_e32 v[32:33], v[50:51], v[82:83]
	v_fmac_f64_e32 v[0:1], v[52:53], v[82:83]
	v_fma_f64 v[82:83], -v[52:53], v[84:85], v[32:33]
	v_fmac_f64_e32 v[0:1], v[50:51], v[84:85]
	global_load_dwordx4 v[32:35], v[58:59], off offset:32
	global_load_dwordx4 v[50:53], v[58:59], off offset:16
	s_waitcnt vmcnt(2)
	v_fmac_f64_e32 v[28:29], v[64:65], v[36:37]
	v_fmac_f64_e32 v[88:89], v[62:63], v[36:37]
	;; [unrolled: 1-line block ×3, first 2 shown]
	v_lshl_add_u64 v[62:63], v[42:43], 4, s[10:11]
	v_fma_f64 v[84:85], -v[64:65], v[38:39], v[88:89]
	global_load_dwordx4 v[58:61], v[58:59], off
	v_add_u32_e32 v42, -4, v40
	global_load_dwordx4 v[62:65], v[62:63], off
	v_fmac_f64_e32 v[26:27], v[80:81], v[36:37]
	v_fmac_f64_e32 v[86:87], v[78:79], v[36:37]
	;; [unrolled: 1-line block ×3, first 2 shown]
	v_lshl_add_u64 v[78:79], v[42:43], 4, s[8:9]
	v_add_u32_e32 v42, 3, v46
	v_fmac_f64_e32 v[90:91], v[74:75], v[36:37]
	v_fmac_f64_e32 v[24:25], v[76:77], v[36:37]
	;; [unrolled: 1-line block ×4, first 2 shown]
	v_fma_f64 v[86:87], -v[80:81], v[38:39], v[86:87]
	v_fma_f64 v[88:89], -v[76:77], v[38:39], v[90:91]
	v_fmac_f64_e32 v[24:25], v[74:75], v[38:39]
	global_load_dwordx4 v[74:77], v[78:79], off offset:48
	v_fma_f64 v[82:83], -v[72:73], v[38:39], v[82:83]
	v_fmac_f64_e32 v[0:1], v[70:71], v[38:39]
	global_load_dwordx4 v[36:39], v[78:79], off offset:32
	global_load_dwordx4 v[70:73], v[78:79], off offset:16
	v_add_u32_e32 v40, 0x500, v40
	s_waitcnt vmcnt(3)
	v_fmac_f64_e32 v[84:85], v[58:59], v[62:63]
	v_fmac_f64_e32 v[28:29], v[60:61], v[62:63]
	v_fma_f64 v[84:85], -v[60:61], v[64:65], v[84:85]
	v_fmac_f64_e32 v[28:29], v[58:59], v[64:65]
	global_load_dwordx4 v[58:61], v[78:79], off
	v_lshl_add_u64 v[78:79], v[42:43], 4, s[10:11]
	v_add_u32_e32 v42, 4, v46
	global_load_dwordx4 v[78:81], v[78:79], off
	v_fmac_f64_e32 v[26:27], v[52:53], v[62:63]
	v_fmac_f64_e32 v[86:87], v[50:51], v[62:63]
	;; [unrolled: 1-line block ×3, first 2 shown]
	v_lshl_add_u64 v[50:51], v[42:43], 4, s[10:11]
	v_fma_f64 v[46:47], -v[52:53], v[64:65], v[86:87]
	global_load_dwordx4 v[50:53], v[50:51], off
	v_fmac_f64_e32 v[88:89], v[32:33], v[62:63]
	v_fmac_f64_e32 v[24:25], v[34:35], v[62:63]
	;; [unrolled: 1-line block ×4, first 2 shown]
	v_fma_f64 v[34:35], -v[34:35], v[64:65], v[88:89]
	v_fmac_f64_e32 v[24:25], v[32:33], v[64:65]
	v_fma_f64 v[32:33], -v[56:57], v[64:65], v[82:83]
	v_fmac_f64_e32 v[0:1], v[54:55], v[64:65]
	s_waitcnt vmcnt(1)
	v_fmac_f64_e32 v[84:85], v[58:59], v[78:79]
	v_fmac_f64_e32 v[28:29], v[60:61], v[78:79]
	;; [unrolled: 1-line block ×8, first 2 shown]
	v_fma_f64 v[54:55], -v[60:61], v[80:81], v[84:85]
	v_fmac_f64_e32 v[28:29], v[58:59], v[80:81]
	v_fma_f64 v[46:47], -v[72:73], v[80:81], v[46:47]
	v_fmac_f64_e32 v[26:27], v[70:71], v[80:81]
	;; [unrolled: 2-line block ×4, first 2 shown]
	s_waitcnt vmcnt(0)
	v_fmac_f64_e32 v[54:55], v[66:67], v[50:51]
	v_fmac_f64_e32 v[28:29], v[68:69], v[50:51]
	;; [unrolled: 1-line block ×8, first 2 shown]
	v_fma_f64 v[38:39], -v[68:69], v[52:53], v[54:55]
	v_fmac_f64_e32 v[28:29], v[66:67], v[52:53]
	v_fma_f64 v[36:37], -v[20:21], v[52:53], v[46:47]
	v_fmac_f64_e32 v[26:27], v[18:19], v[52:53]
	;; [unrolled: 2-line block ×4, first 2 shown]
	s_andn2_b64 exec, exec, s[14:15]
	s_cbranch_execnz .LBB130_7
; %bb.8:
	s_or_b64 exec, exec, s[14:15]
.LBB130_9:
	s_or_b64 exec, exec, s[4:5]
	s_cbranch_execz .LBB130_11
	s_branch .LBB130_16
.LBB130_10:
                                        ; implicit-def: $vgpr28_vgpr29
                                        ; implicit-def: $vgpr38_vgpr39
                                        ; implicit-def: $vgpr32_vgpr33
                                        ; implicit-def: $vgpr0_vgpr1
                                        ; implicit-def: $vgpr34_vgpr35
                                        ; implicit-def: $vgpr24_vgpr25
                                        ; implicit-def: $vgpr36_vgpr37
                                        ; implicit-def: $vgpr26_vgpr27
.LBB130_11:
	v_mov_b64_e32 v[28:29], 0
	v_mov_b64_e32 v[38:39], 0
	;; [unrolled: 1-line block ×8, first 2 shown]
	s_and_saveexec_b64 s[4:5], s[2:3]
	s_cbranch_execz .LBB130_15
; %bb.12:
	v_mad_u64_u32 v[10:11], s[2:3], v30, 20, 19
	v_mov_b64_e32 v[28:29], 0
	s_mov_b64 s[2:3], 0
	v_mov_b32_e32 v13, 0
	v_mov_b64_e32 v[38:39], 0
	v_mov_b64_e32 v[32:33], 0
	;; [unrolled: 1-line block ×7, first 2 shown]
.LBB130_13:                             ; =>This Inner Loop Header: Depth=1
	v_ashrrev_i32_e32 v31, 31, v30
	v_subrev_u32_e32 v12, 19, v10
	v_add_u32_e32 v20, -14, v10
	v_add_u32_e32 v18, -9, v10
	;; [unrolled: 1-line block ×3, first 2 shown]
	v_mov_b32_e32 v21, v13
	v_mov_b32_e32 v19, v13
	;; [unrolled: 1-line block ×4, first 2 shown]
	v_lshl_add_u64 v[70:71], v[30:31], 2, s[6:7]
	v_lshl_add_u64 v[72:73], v[12:13], 4, s[8:9]
	v_lshl_add_u64 v[20:21], v[20:21], 4, s[8:9]
	v_lshl_add_u64 v[74:75], v[18:19], 4, s[8:9]
	v_lshl_add_u64 v[76:77], v[16:17], 4, s[8:9]
	v_lshl_add_u64 v[78:79], v[10:11], 4, s[8:9]
	global_load_dword v11, v[70:71], off
	global_load_dwordx4 v[16:19], v[72:73], off offset:48
	global_load_dwordx4 v[40:43], v[72:73], off offset:32
	;; [unrolled: 1-line block ×3, first 2 shown]
	global_load_dwordx4 v[50:53], v[72:73], off
	global_load_dwordx4 v[54:57], v[20:21], off
	;; [unrolled: 1-line block ×5, first 2 shown]
	v_mov_b32_e32 v15, v13
	v_add_u32_e32 v30, 64, v30
	v_cmp_ge_i32_e32 vcc, v30, v48
	s_or_b64 s[2:3], vcc, s[2:3]
	s_waitcnt vmcnt(8)
	v_subrev_u32_e32 v11, s12, v11
	v_lshl_add_u32 v14, v11, 2, v11
	v_lshl_add_u64 v[20:21], v[14:15], 4, s[10:11]
	global_load_dwordx4 v[70:73], v[20:21], off
	v_add_u32_e32 v12, 1, v14
	v_lshl_add_u64 v[20:21], v[12:13], 4, s[10:11]
	v_add_u32_e32 v12, -13, v10
	global_load_dwordx4 v[74:77], v[20:21], off
	v_lshl_add_u64 v[20:21], v[12:13], 4, s[8:9]
	v_add_u32_e32 v12, -8, v10
	s_waitcnt vmcnt(1)
	v_fmac_f64_e32 v[38:39], v[50:51], v[70:71]
	v_fmac_f64_e32 v[28:29], v[52:53], v[70:71]
	v_fma_f64 v[78:79], -v[52:53], v[72:73], v[38:39]
	v_fmac_f64_e32 v[28:29], v[50:51], v[72:73]
	global_load_dwordx4 v[50:53], v[20:21], off
	v_lshl_add_u64 v[20:21], v[12:13], 4, s[8:9]
	v_add_u32_e32 v12, -3, v10
	v_fmac_f64_e32 v[36:37], v[54:55], v[70:71]
	v_fmac_f64_e32 v[26:27], v[56:57], v[70:71]
	v_fma_f64 v[80:81], -v[56:57], v[72:73], v[36:37]
	global_load_dwordx4 v[36:39], v[20:21], off
	v_lshl_add_u64 v[20:21], v[12:13], 4, s[8:9]
	v_fmac_f64_e32 v[26:27], v[54:55], v[72:73]
	v_add_u32_e32 v12, 2, v14
	global_load_dwordx4 v[54:57], v[20:21], off
	v_fmac_f64_e32 v[34:35], v[58:59], v[70:71]
	v_lshl_add_u64 v[20:21], v[12:13], 4, s[10:11]
	v_add_u32_e32 v12, -12, v10
	v_fmac_f64_e32 v[32:33], v[62:63], v[70:71]
	v_fmac_f64_e32 v[24:25], v[60:61], v[70:71]
	v_fma_f64 v[82:83], -v[60:61], v[72:73], v[34:35]
	v_fmac_f64_e32 v[0:1], v[64:65], v[70:71]
	v_fma_f64 v[64:65], -v[64:65], v[72:73], v[32:33]
	global_load_dwordx4 v[32:35], v[20:21], off
	v_lshl_add_u64 v[20:21], v[12:13], 4, s[8:9]
	v_add_u32_e32 v12, -7, v10
	v_fmac_f64_e32 v[24:25], v[58:59], v[72:73]
	global_load_dwordx4 v[58:61], v[20:21], off
	v_lshl_add_u64 v[20:21], v[12:13], 4, s[8:9]
	v_add_u32_e32 v12, -2, v10
	s_waitcnt vmcnt(5)
	v_fmac_f64_e32 v[78:79], v[44:45], v[74:75]
	v_fmac_f64_e32 v[28:29], v[46:47], v[74:75]
	v_fma_f64 v[70:71], -v[46:47], v[76:77], v[78:79]
	v_fmac_f64_e32 v[28:29], v[44:45], v[76:77]
	global_load_dwordx4 v[44:47], v[20:21], off
	v_lshl_add_u64 v[20:21], v[12:13], 4, s[8:9]
	v_add_u32_e32 v12, 3, v14
	v_fmac_f64_e32 v[0:1], v[62:63], v[72:73]
	s_waitcnt vmcnt(5)
	v_fmac_f64_e32 v[80:81], v[50:51], v[74:75]
	v_fmac_f64_e32 v[26:27], v[52:53], v[74:75]
	v_fma_f64 v[78:79], -v[52:53], v[76:77], v[80:81]
	v_fmac_f64_e32 v[26:27], v[50:51], v[76:77]
	global_load_dwordx4 v[50:53], v[20:21], off
	v_lshl_add_u64 v[20:21], v[12:13], 4, s[10:11]
	v_add_u32_e32 v12, -11, v10
	s_waitcnt vmcnt(5)
	v_fmac_f64_e32 v[82:83], v[36:37], v[74:75]
	v_fmac_f64_e32 v[24:25], v[38:39], v[74:75]
	v_fma_f64 v[80:81], -v[38:39], v[76:77], v[82:83]
	v_fmac_f64_e32 v[24:25], v[36:37], v[76:77]
	global_load_dwordx4 v[36:39], v[20:21], off
	v_lshl_add_u64 v[20:21], v[12:13], 4, s[8:9]
	v_add_u32_e32 v12, -6, v10
	;; [unrolled: 8-line block ×3, first 2 shown]
	v_lshl_add_u64 v[76:77], v[12:13], 4, s[8:9]
	v_add_u32_e32 v12, -15, v10
	v_lshl_add_u64 v[82:83], v[12:13], 4, s[8:9]
	v_add_u32_e32 v12, 4, v14
	s_waitcnt vmcnt(4)
	v_fmac_f64_e32 v[26:27], v[60:61], v[32:33]
	v_fmac_f64_e32 v[78:79], v[58:59], v[32:33]
	;; [unrolled: 1-line block ×3, first 2 shown]
	v_lshl_add_u64 v[58:59], v[12:13], 4, s[10:11]
	v_add_u32_e32 v12, -10, v10
	s_waitcnt vmcnt(3)
	v_fmac_f64_e32 v[24:25], v[46:47], v[32:33]
	global_load_dwordx4 v[62:65], v[20:21], off
	v_fmac_f64_e32 v[70:71], v[40:41], v[32:33]
	v_fmac_f64_e32 v[28:29], v[42:43], v[32:33]
	;; [unrolled: 1-line block ×4, first 2 shown]
	v_lshl_add_u64 v[44:45], v[12:13], 4, s[8:9]
	v_add_u32_e32 v12, -5, v10
	v_fma_f64 v[14:15], -v[42:43], v[34:35], v[70:71]
	v_fmac_f64_e32 v[28:29], v[40:41], v[34:35]
	global_load_dwordx4 v[40:43], v[76:77], off
	global_load_dwordx4 v[70:73], v[82:83], off
	v_fma_f64 v[20:21], -v[60:61], v[34:35], v[78:79]
	v_fma_f64 v[76:77], -v[46:47], v[34:35], v[80:81]
	global_load_dwordx4 v[58:61], v[58:59], off
	v_add_u32_e32 v10, 0x500, v10
	global_load_dwordx4 v[44:47], v[44:45], off
	s_waitcnt vmcnt(7)
	v_fmac_f64_e32 v[74:75], v[50:51], v[32:33]
	v_fmac_f64_e32 v[0:1], v[52:53], v[32:33]
	v_fma_f64 v[32:33], -v[52:53], v[34:35], v[74:75]
	v_fmac_f64_e32 v[0:1], v[50:51], v[34:35]
	v_lshl_add_u64 v[34:35], v[12:13], 4, s[8:9]
	global_load_dwordx4 v[50:53], v[34:35], off
	s_waitcnt vmcnt(7)
	v_fmac_f64_e32 v[14:15], v[16:17], v[36:37]
	v_fmac_f64_e32 v[28:29], v[18:19], v[36:37]
	v_fma_f64 v[14:15], -v[18:19], v[38:39], v[14:15]
	v_fmac_f64_e32 v[28:29], v[16:17], v[38:39]
	s_waitcnt vmcnt(6)
	v_fmac_f64_e32 v[20:21], v[54:55], v[36:37]
	v_fmac_f64_e32 v[26:27], v[56:57], v[36:37]
	v_fma_f64 v[16:17], -v[56:57], v[38:39], v[20:21]
	v_fmac_f64_e32 v[26:27], v[54:55], v[38:39]
	;; [unrolled: 5-line block ×4, first 2 shown]
	s_waitcnt vmcnt(2)
	v_fmac_f64_e32 v[14:15], v[70:71], v[58:59]
	v_fmac_f64_e32 v[28:29], v[72:73], v[58:59]
	;; [unrolled: 1-line block ×4, first 2 shown]
	s_waitcnt vmcnt(1)
	v_fmac_f64_e32 v[16:17], v[44:45], v[58:59]
	v_fmac_f64_e32 v[26:27], v[46:47], v[58:59]
	v_fma_f64 v[38:39], -v[72:73], v[60:61], v[14:15]
	v_fmac_f64_e32 v[28:29], v[70:71], v[60:61]
	v_fma_f64 v[32:33], -v[68:69], v[60:61], v[20:21]
	;; [unrolled: 2-line block ×3, first 2 shown]
	v_fmac_f64_e32 v[26:27], v[44:45], v[60:61]
	s_waitcnt vmcnt(0)
	v_fmac_f64_e32 v[18:19], v[50:51], v[58:59]
	v_fmac_f64_e32 v[24:25], v[52:53], v[58:59]
	v_fma_f64 v[34:35], -v[52:53], v[60:61], v[18:19]
	v_fmac_f64_e32 v[24:25], v[50:51], v[60:61]
	s_andn2_b64 exec, exec, s[2:3]
	s_cbranch_execnz .LBB130_13
; %bb.14:
	s_or_b64 exec, exec, s[2:3]
.LBB130_15:
	s_or_b64 exec, exec, s[4:5]
.LBB130_16:
	v_mov_b32_dpp v18, v36 row_shr:1 row_mask:0xf bank_mask:0xf
	v_mov_b32_dpp v19, v37 row_shr:1 row_mask:0xf bank_mask:0xf
	v_add_f64 v[18:19], v[36:37], v[18:19]
	v_mov_b32_dpp v10, v38 row_shr:1 row_mask:0xf bank_mask:0xf
	v_mov_b32_dpp v11, v39 row_shr:1 row_mask:0xf bank_mask:0xf
	;; [unrolled: 1-line block ×4, first 2 shown]
	v_add_f64 v[18:19], v[18:19], v[20:21]
	v_add_f64 v[10:11], v[38:39], v[10:11]
	v_mov_b32_dpp v14, v28 row_shr:1 row_mask:0xf bank_mask:0xf
	v_mov_b32_dpp v20, v18 row_shr:4 row_mask:0xf bank_mask:0xe
	v_mov_b32_dpp v21, v19 row_shr:4 row_mask:0xf bank_mask:0xe
	v_add_f64 v[18:19], v[18:19], v[20:21]
	v_mov_b32_dpp v15, v29 row_shr:1 row_mask:0xf bank_mask:0xf
	v_add_f64 v[14:15], v[28:29], v[14:15]
	v_mov_b32_dpp v20, v18 row_shr:8 row_mask:0xf bank_mask:0xc
	v_mov_b32_dpp v21, v19 row_shr:8 row_mask:0xf bank_mask:0xc
	v_add_f64 v[18:19], v[18:19], v[20:21]
	v_mov_b32_dpp v12, v10 row_shr:2 row_mask:0xf bank_mask:0xf
	v_mov_b32_dpp v13, v11 row_shr:2 row_mask:0xf bank_mask:0xf
	v_mov_b32_dpp v20, v18 row_bcast:15 row_mask:0xa bank_mask:0xf
	v_mov_b32_dpp v21, v19 row_bcast:15 row_mask:0xa bank_mask:0xf
	v_add_f64 v[20:21], v[18:19], v[20:21]
	v_mov_b32_dpp v18, v26 row_shr:1 row_mask:0xf bank_mask:0xf
	v_mov_b32_dpp v19, v27 row_shr:1 row_mask:0xf bank_mask:0xf
	v_add_f64 v[18:19], v[26:27], v[18:19]
	v_mov_b32_dpp v16, v14 row_shr:2 row_mask:0xf bank_mask:0xf
	v_mov_b32_dpp v17, v15 row_shr:2 row_mask:0xf bank_mask:0xf
	;; [unrolled: 1-line block ×4, first 2 shown]
	v_add_f64 v[18:19], v[18:19], v[26:27]
	v_add_f64 v[10:11], v[10:11], v[12:13]
	;; [unrolled: 1-line block ×3, first 2 shown]
	v_mov_b32_dpp v26, v18 row_shr:4 row_mask:0xf bank_mask:0xe
	v_mov_b32_dpp v27, v19 row_shr:4 row_mask:0xf bank_mask:0xe
	v_add_f64 v[18:19], v[18:19], v[26:27]
	v_mov_b32_dpp v12, v10 row_shr:4 row_mask:0xf bank_mask:0xe
	v_mov_b32_dpp v13, v11 row_shr:4 row_mask:0xf bank_mask:0xe
	;; [unrolled: 1-line block ×4, first 2 shown]
	v_add_f64 v[18:19], v[18:19], v[26:27]
	v_mov_b32_dpp v16, v14 row_shr:4 row_mask:0xf bank_mask:0xe
	v_mov_b32_dpp v17, v15 row_shr:4 row_mask:0xf bank_mask:0xe
	v_mov_b32_dpp v26, v18 row_bcast:15 row_mask:0xa bank_mask:0xf
	v_mov_b32_dpp v27, v19 row_bcast:15 row_mask:0xa bank_mask:0xf
	v_add_f64 v[26:27], v[18:19], v[26:27]
	v_mov_b32_dpp v18, v34 row_shr:1 row_mask:0xf bank_mask:0xf
	v_mov_b32_dpp v19, v35 row_shr:1 row_mask:0xf bank_mask:0xf
	v_add_f64 v[18:19], v[34:35], v[18:19]
	v_add_f64 v[10:11], v[10:11], v[12:13]
	;; [unrolled: 1-line block ×3, first 2 shown]
	v_mov_b32_dpp v34, v18 row_shr:2 row_mask:0xf bank_mask:0xf
	v_mov_b32_dpp v35, v19 row_shr:2 row_mask:0xf bank_mask:0xf
	v_add_f64 v[18:19], v[18:19], v[34:35]
	v_mov_b32_dpp v12, v10 row_shr:8 row_mask:0xf bank_mask:0xc
	v_mov_b32_dpp v13, v11 row_shr:8 row_mask:0xf bank_mask:0xc
	;; [unrolled: 1-line block ×4, first 2 shown]
	v_add_f64 v[18:19], v[18:19], v[34:35]
	v_mov_b32_dpp v16, v14 row_shr:8 row_mask:0xf bank_mask:0xc
	v_mov_b32_dpp v17, v15 row_shr:8 row_mask:0xf bank_mask:0xc
	;; [unrolled: 1-line block ×4, first 2 shown]
	v_add_f64 v[18:19], v[18:19], v[34:35]
	v_add_f64 v[10:11], v[10:11], v[12:13]
	;; [unrolled: 1-line block ×3, first 2 shown]
	v_mov_b32_dpp v34, v18 row_bcast:15 row_mask:0xa bank_mask:0xf
	v_mov_b32_dpp v35, v19 row_bcast:15 row_mask:0xa bank_mask:0xf
	v_add_f64 v[34:35], v[18:19], v[34:35]
	v_mov_b32_dpp v18, v24 row_shr:1 row_mask:0xf bank_mask:0xf
	v_mov_b32_dpp v19, v25 row_shr:1 row_mask:0xf bank_mask:0xf
	v_add_f64 v[18:19], v[24:25], v[18:19]
	v_mov_b32_dpp v12, v10 row_bcast:15 row_mask:0xa bank_mask:0xf
	v_mov_b32_dpp v13, v11 row_bcast:15 row_mask:0xa bank_mask:0xf
	v_mov_b32_dpp v24, v18 row_shr:2 row_mask:0xf bank_mask:0xf
	v_mov_b32_dpp v25, v19 row_shr:2 row_mask:0xf bank_mask:0xf
	v_add_f64 v[18:19], v[18:19], v[24:25]
	v_mov_b32_dpp v16, v14 row_bcast:15 row_mask:0xa bank_mask:0xf
	v_mov_b32_dpp v17, v15 row_bcast:15 row_mask:0xa bank_mask:0xf
	v_mov_b32_dpp v24, v18 row_shr:4 row_mask:0xf bank_mask:0xe
	v_mov_b32_dpp v25, v19 row_shr:4 row_mask:0xf bank_mask:0xe
	v_add_f64 v[18:19], v[18:19], v[24:25]
	v_add_f64 v[10:11], v[10:11], v[12:13]
	;; [unrolled: 1-line block ×3, first 2 shown]
	v_mov_b32_dpp v24, v18 row_shr:8 row_mask:0xf bank_mask:0xc
	v_mov_b32_dpp v25, v19 row_shr:8 row_mask:0xf bank_mask:0xc
	v_add_f64 v[18:19], v[18:19], v[24:25]
	v_mov_b32_dpp v12, v10 row_bcast:31 row_mask:0xc bank_mask:0xf
	v_mov_b32_dpp v13, v11 row_bcast:31 row_mask:0xc bank_mask:0xf
	;; [unrolled: 1-line block ×4, first 2 shown]
	v_add_f64 v[38:39], v[18:19], v[24:25]
	v_mov_b32_dpp v18, v32 row_shr:1 row_mask:0xf bank_mask:0xf
	v_mov_b32_dpp v19, v33 row_shr:1 row_mask:0xf bank_mask:0xf
	v_add_f64 v[18:19], v[32:33], v[18:19]
	v_mov_b32_dpp v16, v14 row_bcast:31 row_mask:0xc bank_mask:0xf
	v_mov_b32_dpp v17, v15 row_bcast:31 row_mask:0xc bank_mask:0xf
	v_mov_b32_dpp v24, v18 row_shr:2 row_mask:0xf bank_mask:0xf
	v_mov_b32_dpp v25, v19 row_shr:2 row_mask:0xf bank_mask:0xf
	v_add_f64 v[18:19], v[18:19], v[24:25]
	v_mov_b32_dpp v28, v20 row_bcast:31 row_mask:0xc bank_mask:0xf
	v_mov_b32_dpp v29, v21 row_bcast:31 row_mask:0xc bank_mask:0xf
	;; [unrolled: 5-line block ×4, first 2 shown]
	v_mov_b32_dpp v24, v18 row_bcast:15 row_mask:0xa bank_mask:0xf
	v_mov_b32_dpp v25, v19 row_bcast:15 row_mask:0xa bank_mask:0xf
	v_add_f64 v[32:33], v[18:19], v[24:25]
	v_mov_b32_dpp v18, v0 row_shr:1 row_mask:0xf bank_mask:0xf
	v_mov_b32_dpp v19, v1 row_shr:1 row_mask:0xf bank_mask:0xf
	v_add_f64 v[0:1], v[0:1], v[18:19]
	v_mov_b32_dpp v40, v38 row_bcast:31 row_mask:0xc bank_mask:0xf
	v_mov_b32_dpp v41, v39 row_bcast:31 row_mask:0xc bank_mask:0xf
	v_mov_b32_dpp v18, v0 row_shr:2 row_mask:0xf bank_mask:0xf
	v_mov_b32_dpp v19, v1 row_shr:2 row_mask:0xf bank_mask:0xf
	v_add_f64 v[0:1], v[0:1], v[18:19]
	v_mov_b32_dpp v42, v32 row_bcast:31 row_mask:0xc bank_mask:0xf
	v_mov_b32_dpp v43, v33 row_bcast:31 row_mask:0xc bank_mask:0xf
	v_mov_b32_dpp v18, v0 row_shr:4 row_mask:0xf bank_mask:0xe
	v_mov_b32_dpp v19, v1 row_shr:4 row_mask:0xf bank_mask:0xe
	v_add_f64 v[0:1], v[0:1], v[18:19]
	v_cmp_eq_u32_e32 vcc, 63, v23
	s_nop 0
	v_mov_b32_dpp v18, v0 row_shr:8 row_mask:0xf bank_mask:0xc
	v_mov_b32_dpp v19, v1 row_shr:8 row_mask:0xf bank_mask:0xc
	v_add_f64 v[0:1], v[0:1], v[18:19]
	s_nop 1
	v_mov_b32_dpp v18, v0 row_bcast:15 row_mask:0xa bank_mask:0xf
	v_mov_b32_dpp v19, v1 row_bcast:15 row_mask:0xa bank_mask:0xf
	v_add_f64 v[44:45], v[0:1], v[18:19]
	s_nop 1
	v_mov_b32_dpp v46, v44 row_bcast:31 row_mask:0xc bank_mask:0xf
	v_mov_b32_dpp v47, v45 row_bcast:31 row_mask:0xc bank_mask:0xf
	s_and_b64 exec, exec, vcc
	s_cbranch_execz .LBB130_21
; %bb.17:
	s_load_dwordx2 s[2:3], s[0:1], 0x48
	v_cmp_eq_f64_e32 vcc, 0, v[6:7]
	v_cmp_eq_f64_e64 s[0:1], 0, v[8:9]
	v_add_f64 v[18:19], v[10:11], v[12:13]
	v_add_f64 v[24:25], v[14:15], v[16:17]
	;; [unrolled: 1-line block ×8, first 2 shown]
	s_and_b64 s[0:1], vcc, s[0:1]
	s_and_saveexec_b64 s[4:5], s[0:1]
	s_xor_b64 s[0:1], exec, s[4:5]
	s_cbranch_execz .LBB130_19
; %bb.18:
	v_mul_f64 v[6:7], v[24:25], -v[4:5]
	v_mul_f64 v[8:9], v[2:3], v[24:25]
	v_fmac_f64_e32 v[6:7], v[2:3], v[18:19]
	v_fmac_f64_e32 v[8:9], v[4:5], v[18:19]
	v_lshlrev_b32_e32 v18, 2, v22
	v_ashrrev_i32_e32 v19, 31, v18
	s_waitcnt lgkmcnt(0)
	v_lshl_add_u64 v[18:19], v[18:19], 4, s[2:3]
	global_store_dwordx4 v[18:19], v[6:9], off
                                        ; implicit-def: $vgpr22
                                        ; implicit-def: $vgpr24_vgpr25
	s_nop 1
	v_mul_f64 v[6:7], v[20:21], -v[4:5]
	v_mul_f64 v[8:9], v[2:3], v[20:21]
	v_fmac_f64_e32 v[6:7], v[2:3], v[12:13]
	v_fmac_f64_e32 v[8:9], v[4:5], v[12:13]
	global_store_dwordx4 v[18:19], v[6:9], off offset:16
                                        ; implicit-def: $vgpr12_vgpr13
                                        ; implicit-def: $vgpr20_vgpr21
	s_nop 1
	v_mul_f64 v[6:7], v[16:17], -v[4:5]
	v_mul_f64 v[8:9], v[2:3], v[16:17]
	v_fmac_f64_e32 v[6:7], v[2:3], v[10:11]
	v_fmac_f64_e32 v[8:9], v[4:5], v[10:11]
	global_store_dwordx4 v[18:19], v[6:9], off offset:32
                                        ; implicit-def: $vgpr10_vgpr11
                                        ; implicit-def: $vgpr16_vgpr17
	s_nop 1
	v_mul_f64 v[6:7], v[14:15], -v[4:5]
	v_mul_f64 v[8:9], v[2:3], v[14:15]
	v_fmac_f64_e32 v[6:7], v[2:3], v[0:1]
	v_fmac_f64_e32 v[8:9], v[4:5], v[0:1]
	global_store_dwordx4 v[18:19], v[6:9], off offset:48
                                        ; implicit-def: $vgpr18_vgpr19
                                        ; implicit-def: $vgpr0_vgpr1
                                        ; implicit-def: $vgpr14_vgpr15
                                        ; implicit-def: $vgpr8_vgpr9
                                        ; implicit-def: $vgpr4_vgpr5
.LBB130_19:
	s_andn2_saveexec_b64 s[0:1], s[0:1]
	s_cbranch_execz .LBB130_21
; %bb.20:
	v_lshlrev_b32_e32 v22, 2, v22
	v_ashrrev_i32_e32 v23, 31, v22
	s_waitcnt lgkmcnt(0)
	v_lshl_add_u64 v[50:51], v[22:23], 4, s[2:3]
	global_load_dwordx4 v[26:29], v[50:51], off
	global_load_dwordx4 v[30:33], v[50:51], off offset:16
	global_load_dwordx4 v[34:37], v[50:51], off offset:32
	;; [unrolled: 1-line block ×3, first 2 shown]
	v_mul_f64 v[42:43], v[24:25], -v[4:5]
	v_mul_f64 v[22:23], v[2:3], v[24:25]
	v_mul_f64 v[24:25], v[20:21], -v[4:5]
	v_mul_f64 v[44:45], v[2:3], v[20:21]
	;; [unrolled: 2-line block ×4, first 2 shown]
	v_fmac_f64_e32 v[42:43], v[2:3], v[18:19]
	v_fmac_f64_e32 v[22:23], v[4:5], v[18:19]
	v_fmac_f64_e32 v[24:25], v[2:3], v[12:13]
	v_fmac_f64_e32 v[44:45], v[4:5], v[12:13]
	v_fmac_f64_e32 v[46:47], v[2:3], v[10:11]
	v_fmac_f64_e32 v[16:17], v[4:5], v[10:11]
	v_fmac_f64_e32 v[52:53], v[2:3], v[0:1]
	v_fmac_f64_e32 v[48:49], v[4:5], v[0:1]
	s_waitcnt vmcnt(3)
	v_fmac_f64_e32 v[42:43], v[6:7], v[26:27]
	v_fmac_f64_e32 v[22:23], v[8:9], v[26:27]
	s_waitcnt vmcnt(2)
	v_fmac_f64_e32 v[24:25], v[6:7], v[30:31]
	v_fmac_f64_e32 v[44:45], v[8:9], v[30:31]
	;; [unrolled: 3-line block ×4, first 2 shown]
	v_fma_f64 v[20:21], -v[8:9], v[28:29], v[42:43]
	v_fmac_f64_e32 v[22:23], v[6:7], v[28:29]
	v_fma_f64 v[42:43], -v[8:9], v[32:33], v[24:25]
	v_fmac_f64_e32 v[44:45], v[6:7], v[32:33]
	;; [unrolled: 2-line block ×4, first 2 shown]
	global_store_dwordx4 v[50:51], v[20:23], off
	global_store_dwordx4 v[50:51], v[42:45], off offset:16
	global_store_dwordx4 v[50:51], v[14:17], off offset:32
	;; [unrolled: 1-line block ×3, first 2 shown]
.LBB130_21:
	s_endpgm
	.section	.rodata,"a",@progbits
	.p2align	6, 0x0
	.amdhsa_kernel _ZN9rocsparseL19gebsrmvn_4xn_kernelILj128ELj5ELj64E21rocsparse_complex_numIdEEEvi20rocsparse_direction_NS_24const_host_device_scalarIT2_EEPKiS8_PKS5_SA_S6_PS5_21rocsparse_index_base_b
		.amdhsa_group_segment_fixed_size 0
		.amdhsa_private_segment_fixed_size 0
		.amdhsa_kernarg_size 88
		.amdhsa_user_sgpr_count 2
		.amdhsa_user_sgpr_dispatch_ptr 0
		.amdhsa_user_sgpr_queue_ptr 0
		.amdhsa_user_sgpr_kernarg_segment_ptr 1
		.amdhsa_user_sgpr_dispatch_id 0
		.amdhsa_user_sgpr_kernarg_preload_length 0
		.amdhsa_user_sgpr_kernarg_preload_offset 0
		.amdhsa_user_sgpr_private_segment_size 0
		.amdhsa_uses_dynamic_stack 0
		.amdhsa_enable_private_segment 0
		.amdhsa_system_sgpr_workgroup_id_x 1
		.amdhsa_system_sgpr_workgroup_id_y 0
		.amdhsa_system_sgpr_workgroup_id_z 0
		.amdhsa_system_sgpr_workgroup_info 0
		.amdhsa_system_vgpr_workitem_id 0
		.amdhsa_next_free_vgpr 92
		.amdhsa_next_free_sgpr 16
		.amdhsa_accum_offset 92
		.amdhsa_reserve_vcc 1
		.amdhsa_float_round_mode_32 0
		.amdhsa_float_round_mode_16_64 0
		.amdhsa_float_denorm_mode_32 3
		.amdhsa_float_denorm_mode_16_64 3
		.amdhsa_dx10_clamp 1
		.amdhsa_ieee_mode 1
		.amdhsa_fp16_overflow 0
		.amdhsa_tg_split 0
		.amdhsa_exception_fp_ieee_invalid_op 0
		.amdhsa_exception_fp_denorm_src 0
		.amdhsa_exception_fp_ieee_div_zero 0
		.amdhsa_exception_fp_ieee_overflow 0
		.amdhsa_exception_fp_ieee_underflow 0
		.amdhsa_exception_fp_ieee_inexact 0
		.amdhsa_exception_int_div_zero 0
	.end_amdhsa_kernel
	.section	.text._ZN9rocsparseL19gebsrmvn_4xn_kernelILj128ELj5ELj64E21rocsparse_complex_numIdEEEvi20rocsparse_direction_NS_24const_host_device_scalarIT2_EEPKiS8_PKS5_SA_S6_PS5_21rocsparse_index_base_b,"axG",@progbits,_ZN9rocsparseL19gebsrmvn_4xn_kernelILj128ELj5ELj64E21rocsparse_complex_numIdEEEvi20rocsparse_direction_NS_24const_host_device_scalarIT2_EEPKiS8_PKS5_SA_S6_PS5_21rocsparse_index_base_b,comdat
.Lfunc_end130:
	.size	_ZN9rocsparseL19gebsrmvn_4xn_kernelILj128ELj5ELj64E21rocsparse_complex_numIdEEEvi20rocsparse_direction_NS_24const_host_device_scalarIT2_EEPKiS8_PKS5_SA_S6_PS5_21rocsparse_index_base_b, .Lfunc_end130-_ZN9rocsparseL19gebsrmvn_4xn_kernelILj128ELj5ELj64E21rocsparse_complex_numIdEEEvi20rocsparse_direction_NS_24const_host_device_scalarIT2_EEPKiS8_PKS5_SA_S6_PS5_21rocsparse_index_base_b
                                        ; -- End function
	.set _ZN9rocsparseL19gebsrmvn_4xn_kernelILj128ELj5ELj64E21rocsparse_complex_numIdEEEvi20rocsparse_direction_NS_24const_host_device_scalarIT2_EEPKiS8_PKS5_SA_S6_PS5_21rocsparse_index_base_b.num_vgpr, 92
	.set _ZN9rocsparseL19gebsrmvn_4xn_kernelILj128ELj5ELj64E21rocsparse_complex_numIdEEEvi20rocsparse_direction_NS_24const_host_device_scalarIT2_EEPKiS8_PKS5_SA_S6_PS5_21rocsparse_index_base_b.num_agpr, 0
	.set _ZN9rocsparseL19gebsrmvn_4xn_kernelILj128ELj5ELj64E21rocsparse_complex_numIdEEEvi20rocsparse_direction_NS_24const_host_device_scalarIT2_EEPKiS8_PKS5_SA_S6_PS5_21rocsparse_index_base_b.numbered_sgpr, 16
	.set _ZN9rocsparseL19gebsrmvn_4xn_kernelILj128ELj5ELj64E21rocsparse_complex_numIdEEEvi20rocsparse_direction_NS_24const_host_device_scalarIT2_EEPKiS8_PKS5_SA_S6_PS5_21rocsparse_index_base_b.num_named_barrier, 0
	.set _ZN9rocsparseL19gebsrmvn_4xn_kernelILj128ELj5ELj64E21rocsparse_complex_numIdEEEvi20rocsparse_direction_NS_24const_host_device_scalarIT2_EEPKiS8_PKS5_SA_S6_PS5_21rocsparse_index_base_b.private_seg_size, 0
	.set _ZN9rocsparseL19gebsrmvn_4xn_kernelILj128ELj5ELj64E21rocsparse_complex_numIdEEEvi20rocsparse_direction_NS_24const_host_device_scalarIT2_EEPKiS8_PKS5_SA_S6_PS5_21rocsparse_index_base_b.uses_vcc, 1
	.set _ZN9rocsparseL19gebsrmvn_4xn_kernelILj128ELj5ELj64E21rocsparse_complex_numIdEEEvi20rocsparse_direction_NS_24const_host_device_scalarIT2_EEPKiS8_PKS5_SA_S6_PS5_21rocsparse_index_base_b.uses_flat_scratch, 0
	.set _ZN9rocsparseL19gebsrmvn_4xn_kernelILj128ELj5ELj64E21rocsparse_complex_numIdEEEvi20rocsparse_direction_NS_24const_host_device_scalarIT2_EEPKiS8_PKS5_SA_S6_PS5_21rocsparse_index_base_b.has_dyn_sized_stack, 0
	.set _ZN9rocsparseL19gebsrmvn_4xn_kernelILj128ELj5ELj64E21rocsparse_complex_numIdEEEvi20rocsparse_direction_NS_24const_host_device_scalarIT2_EEPKiS8_PKS5_SA_S6_PS5_21rocsparse_index_base_b.has_recursion, 0
	.set _ZN9rocsparseL19gebsrmvn_4xn_kernelILj128ELj5ELj64E21rocsparse_complex_numIdEEEvi20rocsparse_direction_NS_24const_host_device_scalarIT2_EEPKiS8_PKS5_SA_S6_PS5_21rocsparse_index_base_b.has_indirect_call, 0
	.section	.AMDGPU.csdata,"",@progbits
; Kernel info:
; codeLenInByte = 3928
; TotalNumSgprs: 22
; NumVgprs: 92
; NumAgprs: 0
; TotalNumVgprs: 92
; ScratchSize: 0
; MemoryBound: 0
; FloatMode: 240
; IeeeMode: 1
; LDSByteSize: 0 bytes/workgroup (compile time only)
; SGPRBlocks: 2
; VGPRBlocks: 11
; NumSGPRsForWavesPerEU: 22
; NumVGPRsForWavesPerEU: 92
; AccumOffset: 92
; Occupancy: 5
; WaveLimiterHint : 1
; COMPUTE_PGM_RSRC2:SCRATCH_EN: 0
; COMPUTE_PGM_RSRC2:USER_SGPR: 2
; COMPUTE_PGM_RSRC2:TRAP_HANDLER: 0
; COMPUTE_PGM_RSRC2:TGID_X_EN: 1
; COMPUTE_PGM_RSRC2:TGID_Y_EN: 0
; COMPUTE_PGM_RSRC2:TGID_Z_EN: 0
; COMPUTE_PGM_RSRC2:TIDIG_COMP_CNT: 0
; COMPUTE_PGM_RSRC3_GFX90A:ACCUM_OFFSET: 22
; COMPUTE_PGM_RSRC3_GFX90A:TG_SPLIT: 0
	.section	.text._ZN9rocsparseL19gebsrmvn_4xn_kernelILj128ELj6ELj4E21rocsparse_complex_numIdEEEvi20rocsparse_direction_NS_24const_host_device_scalarIT2_EEPKiS8_PKS5_SA_S6_PS5_21rocsparse_index_base_b,"axG",@progbits,_ZN9rocsparseL19gebsrmvn_4xn_kernelILj128ELj6ELj4E21rocsparse_complex_numIdEEEvi20rocsparse_direction_NS_24const_host_device_scalarIT2_EEPKiS8_PKS5_SA_S6_PS5_21rocsparse_index_base_b,comdat
	.globl	_ZN9rocsparseL19gebsrmvn_4xn_kernelILj128ELj6ELj4E21rocsparse_complex_numIdEEEvi20rocsparse_direction_NS_24const_host_device_scalarIT2_EEPKiS8_PKS5_SA_S6_PS5_21rocsparse_index_base_b ; -- Begin function _ZN9rocsparseL19gebsrmvn_4xn_kernelILj128ELj6ELj4E21rocsparse_complex_numIdEEEvi20rocsparse_direction_NS_24const_host_device_scalarIT2_EEPKiS8_PKS5_SA_S6_PS5_21rocsparse_index_base_b
	.p2align	8
	.type	_ZN9rocsparseL19gebsrmvn_4xn_kernelILj128ELj6ELj4E21rocsparse_complex_numIdEEEvi20rocsparse_direction_NS_24const_host_device_scalarIT2_EEPKiS8_PKS5_SA_S6_PS5_21rocsparse_index_base_b,@function
_ZN9rocsparseL19gebsrmvn_4xn_kernelILj128ELj6ELj4E21rocsparse_complex_numIdEEEvi20rocsparse_direction_NS_24const_host_device_scalarIT2_EEPKiS8_PKS5_SA_S6_PS5_21rocsparse_index_base_b: ; @_ZN9rocsparseL19gebsrmvn_4xn_kernelILj128ELj6ELj4E21rocsparse_complex_numIdEEEvi20rocsparse_direction_NS_24const_host_device_scalarIT2_EEPKiS8_PKS5_SA_S6_PS5_21rocsparse_index_base_b
; %bb.0:
	s_load_dwordx2 s[4:5], s[0:1], 0x8
	s_load_dwordx2 s[6:7], s[0:1], 0x38
	;; [unrolled: 1-line block ×3, first 2 shown]
	s_add_u32 s3, s0, 8
	s_addc_u32 s8, s1, 0
	s_add_u32 s9, s0, 56
	s_addc_u32 s10, s1, 0
	s_waitcnt lgkmcnt(0)
	s_bitcmp1_b32 s13, 0
	s_cselect_b32 s5, s8, s5
	s_cselect_b32 s3, s3, s4
	v_mov_b32_e32 v2, s3
	v_mov_b32_e32 v3, s5
	flat_load_dwordx4 v[2:5], v[2:3]
	s_cselect_b32 s3, s10, s7
	s_cselect_b32 s4, s9, s6
	v_mov_b32_e32 v6, s4
	v_mov_b32_e32 v7, s3
	flat_load_dwordx4 v[6:9], v[6:7]
	s_waitcnt vmcnt(0) lgkmcnt(0)
	v_cmp_eq_f64_e32 vcc, 0, v[2:3]
	v_cmp_eq_f64_e64 s[4:5], 0, v[4:5]
	s_and_b64 s[8:9], vcc, s[4:5]
	s_mov_b64 s[4:5], -1
	s_and_saveexec_b64 s[6:7], s[8:9]
; %bb.1:
	v_cmp_neq_f64_e32 vcc, 1.0, v[6:7]
	v_cmp_neq_f64_e64 s[4:5], 0, v[8:9]
	s_or_b64 s[4:5], vcc, s[4:5]
	s_orn2_b64 s[4:5], s[4:5], exec
; %bb.2:
	s_or_b64 exec, exec, s[6:7]
	s_and_saveexec_b64 s[6:7], s[4:5]
	s_cbranch_execz .LBB131_21
; %bb.3:
	s_load_dwordx2 s[14:15], s[0:1], 0x0
	v_lshrrev_b32_e32 v1, 2, v0
	v_lshl_or_b32 v22, s2, 5, v1
	s_waitcnt lgkmcnt(0)
	v_cmp_gt_i32_e32 vcc, s14, v22
	s_and_b64 exec, exec, vcc
	s_cbranch_execz .LBB131_21
; %bb.4:
	s_load_dwordx8 s[4:11], s[0:1], 0x18
	v_ashrrev_i32_e32 v23, 31, v22
	s_cmp_lg_u32 s15, 0
	s_waitcnt lgkmcnt(0)
	v_lshl_add_u64 v[10:11], v[22:23], 2, s[4:5]
	global_load_dwordx2 v[10:11], v[10:11], off
	v_and_b32_e32 v23, 3, v0
	s_waitcnt vmcnt(0)
	v_subrev_u32_e32 v0, s12, v10
	v_subrev_u32_e32 v46, s12, v11
	v_add_u32_e32 v30, v0, v23
	v_cmp_lt_i32_e64 s[2:3], v30, v46
	s_cbranch_scc0 .LBB131_10
; %bb.5:
	v_mov_b64_e32 v[24:25], 0
	v_mov_b64_e32 v[16:17], 0
	;; [unrolled: 1-line block ×8, first 2 shown]
	s_and_saveexec_b64 s[4:5], s[2:3]
	s_cbranch_execz .LBB131_9
; %bb.6:
	v_mad_u64_u32 v[38:39], s[14:15], v30, 24, 20
	v_mov_b64_e32 v[24:25], 0
	s_mov_b64 s[14:15], 0
	v_mov_b32_e32 v41, 0
	v_mov_b32_e32 v42, v30
	v_mov_b64_e32 v[16:17], 0
	v_mov_b64_e32 v[32:33], 0
	;; [unrolled: 1-line block ×7, first 2 shown]
.LBB131_7:                              ; =>This Inner Loop Header: Depth=1
	v_ashrrev_i32_e32 v43, 31, v42
	v_subrev_u32_e32 v40, 20, v38
	v_lshl_add_u64 v[10:11], v[42:43], 2, s[6:7]
	v_lshl_add_u64 v[12:13], v[40:41], 4, s[8:9]
	global_load_dword v14, v[10:11], off
	global_load_dwordx4 v[48:51], v[12:13], off offset:48
	global_load_dwordx4 v[52:55], v[12:13], off offset:32
	;; [unrolled: 1-line block ×3, first 2 shown]
	global_load_dwordx4 v[56:59], v[12:13], off
	global_load_dwordx4 v[60:63], v[12:13], off offset:112
	global_load_dwordx4 v[64:67], v[12:13], off offset:96
	;; [unrolled: 1-line block ×4, first 2 shown]
	v_mov_b32_e32 v45, v41
	v_mov_b32_e32 v39, v41
	v_lshl_add_u64 v[84:85], v[38:39], 4, s[8:9]
	global_load_dwordx4 v[10:13], v[84:85], off offset:16
	v_add_u32_e32 v40, -12, v38
	v_lshl_add_u64 v[86:87], v[40:41], 4, s[8:9]
	v_add_u32_e32 v42, 4, v42
	v_cmp_ge_i32_e32 vcc, v42, v46
	s_or_b64 s[14:15], vcc, s[14:15]
	s_waitcnt vmcnt(9)
	v_subrev_u32_e32 v14, s12, v14
	v_mul_lo_u32 v44, v14, 6
	v_lshl_add_u64 v[14:15], v[44:45], 4, s[10:11]
	global_load_dwordx4 v[76:79], v[14:15], off
	global_load_dwordx4 v[80:83], v[14:15], off offset:16
	v_add_u32_e32 v40, 2, v44
	s_waitcnt vmcnt(1)
	v_fmac_f64_e32 v[16:17], v[56:57], v[76:77]
	v_fmac_f64_e32 v[24:25], v[58:59], v[76:77]
	;; [unrolled: 1-line block ×4, first 2 shown]
	v_fma_f64 v[88:89], -v[58:59], v[78:79], v[16:17]
	v_fmac_f64_e32 v[24:25], v[56:57], v[78:79]
	v_fma_f64 v[90:91], -v[20:21], v[78:79], v[36:37]
	v_fmac_f64_e32 v[28:29], v[18:19], v[78:79]
	v_fmac_f64_e32 v[34:35], v[52:53], v[76:77]
	;; [unrolled: 1-line block ×5, first 2 shown]
	s_waitcnt vmcnt(0)
	v_fmac_f64_e32 v[88:89], v[72:73], v[80:81]
	v_fmac_f64_e32 v[24:25], v[74:75], v[80:81]
	v_lshl_add_u64 v[76:77], v[40:41], 4, s[10:11]
	v_fmac_f64_e32 v[90:91], v[68:69], v[80:81]
	v_fmac_f64_e32 v[28:29], v[70:71], v[80:81]
	global_load_dwordx4 v[14:17], v[84:85], off
	global_load_dwordx4 v[18:21], v[84:85], off offset:32
	global_load_dwordx4 v[56:59], v[84:85], off offset:48
	v_fma_f64 v[84:85], -v[54:55], v[78:79], v[34:35]
	v_fmac_f64_e32 v[26:27], v[52:53], v[78:79]
	global_load_dwordx4 v[34:37], v[86:87], off offset:32
	v_fma_f64 v[32:33], -v[50:51], v[78:79], v[32:33]
	v_fmac_f64_e32 v[0:1], v[48:49], v[78:79]
	global_load_dwordx4 v[48:51], v[86:87], off offset:16
	global_load_dwordx4 v[52:55], v[86:87], off
	v_fma_f64 v[88:89], -v[74:75], v[82:83], v[88:89]
	v_fmac_f64_e32 v[24:25], v[72:73], v[82:83]
	global_load_dwordx4 v[72:75], v[86:87], off offset:48
	v_fma_f64 v[86:87], -v[70:71], v[82:83], v[90:91]
	v_fmac_f64_e32 v[28:29], v[68:69], v[82:83]
	global_load_dwordx4 v[68:71], v[76:77], off
	v_add_u32_e32 v40, -8, v38
	v_fmac_f64_e32 v[84:85], v[64:65], v[80:81]
	v_fmac_f64_e32 v[26:27], v[66:67], v[80:81]
	v_lshl_add_u64 v[90:91], v[40:41], 4, s[8:9]
	v_fmac_f64_e32 v[32:33], v[60:61], v[80:81]
	v_fmac_f64_e32 v[0:1], v[62:63], v[80:81]
	v_fma_f64 v[84:85], -v[66:67], v[82:83], v[84:85]
	v_fmac_f64_e32 v[26:27], v[64:65], v[82:83]
	global_load_dwordx4 v[64:67], v[76:77], off offset:16
	v_fma_f64 v[80:81], -v[62:63], v[82:83], v[32:33]
	v_fmac_f64_e32 v[0:1], v[60:61], v[82:83]
	global_load_dwordx4 v[60:63], v[90:91], off
	global_load_dwordx4 v[76:79], v[90:91], off offset:16
	v_add_u32_e32 v40, -4, v38
	v_lshl_add_u64 v[92:93], v[40:41], 4, s[8:9]
	v_add_u32_e32 v40, 4, v44
	v_add_u32_e32 v38, 0x60, v38
	s_waitcnt vmcnt(3)
	v_fmac_f64_e32 v[88:89], v[52:53], v[68:69]
	v_fmac_f64_e32 v[24:25], v[54:55], v[68:69]
	v_fmac_f64_e32 v[86:87], v[48:49], v[68:69]
	v_fmac_f64_e32 v[28:29], v[50:51], v[68:69]
	v_fma_f64 v[44:45], -v[54:55], v[70:71], v[88:89]
	v_fmac_f64_e32 v[24:25], v[52:53], v[70:71]
	global_load_dwordx4 v[52:55], v[90:91], off offset:32
	v_fma_f64 v[86:87], -v[50:51], v[70:71], v[86:87]
	v_fmac_f64_e32 v[28:29], v[48:49], v[70:71]
	global_load_dwordx4 v[48:51], v[90:91], off offset:48
	v_fmac_f64_e32 v[84:85], v[34:35], v[68:69]
	v_fmac_f64_e32 v[26:27], v[36:37], v[68:69]
	;; [unrolled: 1-line block ×4, first 2 shown]
	v_fma_f64 v[36:37], -v[36:37], v[70:71], v[84:85]
	v_fmac_f64_e32 v[26:27], v[34:35], v[70:71]
	global_load_dwordx4 v[32:35], v[92:93], off offset:48
	v_fma_f64 v[84:85], -v[74:75], v[70:71], v[80:81]
	v_fmac_f64_e32 v[0:1], v[72:73], v[70:71]
	global_load_dwordx4 v[68:71], v[92:93], off offset:32
	global_load_dwordx4 v[72:75], v[92:93], off offset:16
	global_load_dwordx4 v[80:83], v[92:93], off
	s_waitcnt vmcnt(7)
	v_fmac_f64_e32 v[44:45], v[60:61], v[64:65]
	v_fmac_f64_e32 v[24:25], v[62:63], v[64:65]
	v_lshl_add_u64 v[88:89], v[40:41], 4, s[10:11]
	s_waitcnt vmcnt(6)
	v_fmac_f64_e32 v[86:87], v[76:77], v[64:65]
	v_fmac_f64_e32 v[28:29], v[78:79], v[64:65]
	v_fma_f64 v[44:45], -v[62:63], v[66:67], v[44:45]
	v_fmac_f64_e32 v[24:25], v[60:61], v[66:67]
	v_fma_f64 v[86:87], -v[78:79], v[66:67], v[86:87]
	v_fmac_f64_e32 v[28:29], v[76:77], v[66:67]
	global_load_dwordx4 v[60:63], v[88:89], off
	global_load_dwordx4 v[76:79], v[88:89], off offset:16
	s_waitcnt vmcnt(7)
	v_fmac_f64_e32 v[36:37], v[52:53], v[64:65]
	v_fmac_f64_e32 v[26:27], v[54:55], v[64:65]
	v_fma_f64 v[36:37], -v[54:55], v[66:67], v[36:37]
	s_waitcnt vmcnt(6)
	v_fmac_f64_e32 v[84:85], v[48:49], v[64:65]
	v_fmac_f64_e32 v[0:1], v[50:51], v[64:65]
	;; [unrolled: 1-line block ×3, first 2 shown]
	v_fma_f64 v[50:51], -v[50:51], v[66:67], v[84:85]
	v_fmac_f64_e32 v[0:1], v[48:49], v[66:67]
	s_waitcnt vmcnt(1)
	v_fmac_f64_e32 v[44:45], v[80:81], v[60:61]
	v_fmac_f64_e32 v[24:25], v[82:83], v[60:61]
	;; [unrolled: 1-line block ×8, first 2 shown]
	v_fma_f64 v[44:45], -v[82:83], v[62:63], v[44:45]
	v_fmac_f64_e32 v[24:25], v[80:81], v[62:63]
	v_fma_f64 v[48:49], -v[74:75], v[62:63], v[86:87]
	v_fmac_f64_e32 v[28:29], v[72:73], v[62:63]
	v_fma_f64 v[52:53], -v[70:71], v[62:63], v[36:37]
	v_fmac_f64_e32 v[26:27], v[68:69], v[62:63]
	v_fma_f64 v[50:51], -v[34:35], v[62:63], v[50:51]
	v_fmac_f64_e32 v[0:1], v[32:33], v[62:63]
	s_waitcnt vmcnt(0)
	v_fmac_f64_e32 v[44:45], v[14:15], v[76:77]
	v_fmac_f64_e32 v[24:25], v[16:17], v[76:77]
	v_fmac_f64_e32 v[48:49], v[10:11], v[76:77]
	v_fmac_f64_e32 v[28:29], v[12:13], v[76:77]
	v_fmac_f64_e32 v[52:53], v[18:19], v[76:77]
	v_fmac_f64_e32 v[26:27], v[20:21], v[76:77]
	v_fmac_f64_e32 v[50:51], v[56:57], v[76:77]
	v_fmac_f64_e32 v[0:1], v[58:59], v[76:77]
	v_fma_f64 v[16:17], -v[16:17], v[78:79], v[44:45]
	v_fmac_f64_e32 v[24:25], v[14:15], v[78:79]
	v_fma_f64 v[36:37], -v[12:13], v[78:79], v[48:49]
	v_fmac_f64_e32 v[28:29], v[10:11], v[78:79]
	;; [unrolled: 2-line block ×4, first 2 shown]
	s_andn2_b64 exec, exec, s[14:15]
	s_cbranch_execnz .LBB131_7
; %bb.8:
	s_or_b64 exec, exec, s[14:15]
.LBB131_9:
	s_or_b64 exec, exec, s[4:5]
	s_cbranch_execz .LBB131_11
	s_branch .LBB131_16
.LBB131_10:
                                        ; implicit-def: $vgpr24_vgpr25
                                        ; implicit-def: $vgpr16_vgpr17
                                        ; implicit-def: $vgpr32_vgpr33
                                        ; implicit-def: $vgpr0_vgpr1
                                        ; implicit-def: $vgpr34_vgpr35
                                        ; implicit-def: $vgpr26_vgpr27
                                        ; implicit-def: $vgpr36_vgpr37
                                        ; implicit-def: $vgpr28_vgpr29
.LBB131_11:
	v_mov_b64_e32 v[24:25], 0
	v_mov_b64_e32 v[16:17], 0
	;; [unrolled: 1-line block ×8, first 2 shown]
	s_and_saveexec_b64 s[4:5], s[2:3]
	s_cbranch_execz .LBB131_15
; %bb.12:
	v_mad_u64_u32 v[10:11], s[2:3], v30, 24, 23
	v_mov_b64_e32 v[24:25], 0
	s_mov_b64 s[2:3], 0
	v_mov_b32_e32 v13, 0
	v_mov_b64_e32 v[16:17], 0
	v_mov_b64_e32 v[32:33], 0
	;; [unrolled: 1-line block ×7, first 2 shown]
.LBB131_13:                             ; =>This Inner Loop Header: Depth=1
	v_ashrrev_i32_e32 v31, 31, v30
	v_subrev_u32_e32 v12, 23, v10
	v_add_u32_e32 v20, -11, v10
	v_add_u32_e32 v18, -5, v10
	v_mov_b32_e32 v21, v13
	v_mov_b32_e32 v19, v13
	;; [unrolled: 1-line block ×3, first 2 shown]
	v_lshl_add_u64 v[64:65], v[30:31], 2, s[6:7]
	v_lshl_add_u64 v[76:77], v[12:13], 4, s[8:9]
	;; [unrolled: 1-line block ×5, first 2 shown]
	global_load_dword v11, v[64:65], off
	global_load_dwordx4 v[18:21], v[76:77], off offset:16
	global_load_dwordx4 v[38:41], v[76:77], off
	global_load_dwordx4 v[42:45], v[76:77], off offset:112
	global_load_dwordx4 v[48:51], v[76:77], off offset:96
	global_load_dwordx4 v[52:55], v[66:67], off
	global_load_dwordx4 v[56:59], v[68:69], off
	global_load_dwordx4 v[60:63], v[76:77], off offset:48
	v_mov_b32_e32 v15, v13
	v_add_u32_e32 v12, -10, v10
	v_add_u32_e32 v30, 4, v30
	v_cmp_ge_i32_e32 vcc, v30, v46
	s_or_b64 s[2:3], vcc, s[2:3]
	s_waitcnt vmcnt(7)
	v_subrev_u32_e32 v11, s12, v11
	v_mul_lo_u32 v14, v11, 6
	v_lshl_add_u64 v[72:73], v[14:15], 4, s[10:11]
	global_load_dwordx4 v[64:67], v[72:73], off
	global_load_dwordx4 v[68:71], v[72:73], off offset:16
	s_waitcnt vmcnt(1)
	v_fmac_f64_e32 v[16:17], v[38:39], v[64:65]
	v_fmac_f64_e32 v[24:25], v[40:41], v[64:65]
	;; [unrolled: 1-line block ×5, first 2 shown]
	v_fma_f64 v[16:17], -v[40:41], v[66:67], v[16:17]
	v_fmac_f64_e32 v[24:25], v[38:39], v[66:67]
	global_load_dwordx4 v[38:41], v[76:77], off offset:32
	v_fma_f64 v[80:81], -v[50:51], v[66:67], v[36:37]
	v_fmac_f64_e32 v[28:29], v[48:49], v[66:67]
	global_load_dwordx4 v[48:51], v[76:77], off offset:80
	global_load_dwordx4 v[72:75], v[76:77], off offset:64
	v_fma_f64 v[76:77], -v[54:55], v[66:67], v[34:35]
	v_lshl_add_u64 v[34:35], v[12:13], 4, s[8:9]
	v_add_u32_e32 v12, -4, v10
	v_fmac_f64_e32 v[32:33], v[56:57], v[64:65]
	v_fmac_f64_e32 v[26:27], v[54:55], v[64:65]
	global_load_dwordx4 v[34:37], v[34:35], off
	v_fmac_f64_e32 v[0:1], v[58:59], v[64:65]
	v_fma_f64 v[64:65], -v[58:59], v[66:67], v[32:33]
	v_lshl_add_u64 v[32:33], v[12:13], 4, s[8:9]
	v_fmac_f64_e32 v[26:27], v[52:53], v[66:67]
	global_load_dwordx4 v[52:55], v[32:33], off
	v_add_u32_e32 v12, 2, v14
	v_lshl_add_u64 v[32:33], v[12:13], 4, s[10:11]
	v_add_u32_e32 v12, -15, v10
	s_waitcnt vmcnt(5)
	v_fmac_f64_e32 v[16:17], v[18:19], v[68:69]
	v_fmac_f64_e32 v[24:25], v[20:21], v[68:69]
	;; [unrolled: 1-line block ×3, first 2 shown]
	v_fma_f64 v[20:21], -v[20:21], v[70:71], v[16:17]
	v_fmac_f64_e32 v[24:25], v[18:19], v[70:71]
	global_load_dwordx4 v[16:19], v[32:33], off
	global_load_dwordx4 v[56:59], v[32:33], off offset:16
	v_fmac_f64_e32 v[80:81], v[42:43], v[68:69]
	v_fmac_f64_e32 v[28:29], v[44:45], v[68:69]
	v_lshl_add_u64 v[32:33], v[12:13], 4, s[8:9]
	v_fma_f64 v[80:81], -v[44:45], v[70:71], v[80:81]
	v_fmac_f64_e32 v[28:29], v[42:43], v[70:71]
	global_load_dwordx4 v[42:45], v[32:33], off
	v_add_u32_e32 v12, -9, v10
	v_lshl_add_u64 v[32:33], v[12:13], 4, s[8:9]
	v_add_u32_e32 v12, -3, v10
	s_waitcnt vmcnt(4)
	v_fmac_f64_e32 v[76:77], v[34:35], v[68:69]
	v_fmac_f64_e32 v[26:27], v[36:37], v[68:69]
	v_fma_f64 v[76:77], -v[36:37], v[70:71], v[76:77]
	v_lshl_add_u64 v[36:37], v[12:13], 4, s[8:9]
	v_fmac_f64_e32 v[26:27], v[34:35], v[70:71]
	s_waitcnt vmcnt(3)
	v_fmac_f64_e32 v[64:65], v[52:53], v[68:69]
	v_fmac_f64_e32 v[0:1], v[54:55], v[68:69]
	global_load_dwordx4 v[32:35], v[32:33], off
	v_fma_f64 v[68:69], -v[54:55], v[70:71], v[64:65]
	v_fmac_f64_e32 v[0:1], v[52:53], v[70:71]
	global_load_dwordx4 v[52:55], v[36:37], off
	v_add_u32_e32 v12, -14, v10
	v_lshl_add_u64 v[36:37], v[12:13], 4, s[8:9]
	v_add_u32_e32 v12, -8, v10
	s_waitcnt vmcnt(4)
	v_fmac_f64_e32 v[20:21], v[38:39], v[16:17]
	global_load_dwordx4 v[64:67], v[36:37], off
	v_fmac_f64_e32 v[24:25], v[40:41], v[16:17]
	v_fma_f64 v[70:71], -v[40:41], v[18:19], v[20:21]
	v_lshl_add_u64 v[20:21], v[12:13], 4, s[8:9]
	v_add_u32_e32 v12, -2, v10
	v_fmac_f64_e32 v[24:25], v[38:39], v[18:19]
	v_lshl_add_u64 v[40:41], v[12:13], 4, s[8:9]
	global_load_dwordx4 v[36:39], v[20:21], off
	s_waitcnt vmcnt(4)
	v_fmac_f64_e32 v[28:29], v[44:45], v[16:17]
	v_fmac_f64_e32 v[80:81], v[42:43], v[16:17]
	;; [unrolled: 1-line block ×3, first 2 shown]
	global_load_dwordx4 v[40:43], v[40:41], off
	v_add_u32_e32 v12, 4, v14
	v_lshl_add_u64 v[14:15], v[12:13], 4, s[10:11]
	v_add_u32_e32 v12, -13, v10
	v_fma_f64 v[44:45], -v[44:45], v[18:19], v[80:81]
	v_fmac_f64_e32 v[24:25], v[62:63], v[56:57]
	v_fmac_f64_e32 v[70:71], v[60:61], v[56:57]
	;; [unrolled: 1-line block ×3, first 2 shown]
	v_fma_f64 v[70:71], -v[62:63], v[58:59], v[70:71]
	s_waitcnt vmcnt(4)
	v_fmac_f64_e32 v[76:77], v[32:33], v[16:17]
	v_fmac_f64_e32 v[26:27], v[34:35], v[16:17]
	v_fma_f64 v[76:77], -v[34:35], v[18:19], v[76:77]
	s_waitcnt vmcnt(3)
	v_fmac_f64_e32 v[68:69], v[52:53], v[16:17]
	v_fmac_f64_e32 v[0:1], v[54:55], v[16:17]
	;; [unrolled: 1-line block ×3, first 2 shown]
	global_load_dwordx4 v[32:35], v[14:15], off
	v_fma_f64 v[68:69], -v[54:55], v[18:19], v[68:69]
	v_fmac_f64_e32 v[0:1], v[52:53], v[18:19]
	global_load_dwordx4 v[18:21], v[14:15], off offset:16
	v_lshl_add_u64 v[14:15], v[12:13], 4, s[8:9]
	v_add_u32_e32 v12, -7, v10
	v_lshl_add_u64 v[52:53], v[12:13], 4, s[8:9]
	v_add_u32_e32 v12, -1, v10
	;; [unrolled: 2-line block ×3, first 2 shown]
	s_waitcnt vmcnt(4)
	v_fmac_f64_e32 v[44:45], v[64:65], v[56:57]
	global_load_dwordx4 v[14:17], v[14:15], off
	v_fma_f64 v[80:81], -v[66:67], v[58:59], v[44:45]
	global_load_dwordx4 v[52:55], v[52:53], off
	v_lshl_add_u64 v[44:45], v[12:13], 4, s[8:9]
	global_load_dwordx4 v[60:63], v[60:61], off
	v_add_u32_e32 v12, -6, v10
	s_waitcnt vmcnt(6)
	v_fmac_f64_e32 v[26:27], v[38:39], v[56:57]
	v_fmac_f64_e32 v[28:29], v[66:67], v[56:57]
	;; [unrolled: 1-line block ×4, first 2 shown]
	v_lshl_add_u64 v[36:37], v[12:13], 4, s[8:9]
	s_waitcnt vmcnt(5)
	v_fmac_f64_e32 v[68:69], v[40:41], v[56:57]
	v_fmac_f64_e32 v[0:1], v[42:43], v[56:57]
	;; [unrolled: 1-line block ×3, first 2 shown]
	v_fma_f64 v[76:77], -v[38:39], v[58:59], v[76:77]
	global_load_dwordx4 v[64:67], v[44:45], off
	v_fma_f64 v[56:57], -v[42:43], v[58:59], v[68:69]
	v_fmac_f64_e32 v[0:1], v[40:41], v[58:59]
	global_load_dwordx4 v[38:41], v[36:37], off
	global_load_dwordx4 v[42:45], v[78:79], off
	v_add_u32_e32 v10, 0x60, v10
	s_waitcnt vmcnt(7)
	v_fmac_f64_e32 v[70:71], v[72:73], v[32:33]
	v_fmac_f64_e32 v[24:25], v[74:75], v[32:33]
	v_fma_f64 v[36:37], -v[74:75], v[34:35], v[70:71]
	v_fmac_f64_e32 v[24:25], v[72:73], v[34:35]
	s_waitcnt vmcnt(6)
	v_fmac_f64_e32 v[36:37], v[48:49], v[18:19]
	v_fmac_f64_e32 v[24:25], v[50:51], v[18:19]
	;; [unrolled: 1-line block ×3, first 2 shown]
	s_waitcnt vmcnt(5)
	v_fmac_f64_e32 v[80:81], v[14:15], v[32:33]
	v_fmac_f64_e32 v[28:29], v[16:17], v[32:33]
	s_waitcnt vmcnt(4)
	v_fmac_f64_e32 v[76:77], v[52:53], v[32:33]
	v_fmac_f64_e32 v[26:27], v[54:55], v[32:33]
	s_waitcnt vmcnt(3)
	v_fmac_f64_e32 v[56:57], v[60:61], v[32:33]
	v_fmac_f64_e32 v[0:1], v[62:63], v[32:33]
	v_fma_f64 v[58:59], -v[16:17], v[34:35], v[80:81]
	v_fmac_f64_e32 v[28:29], v[14:15], v[34:35]
	v_fma_f64 v[14:15], -v[54:55], v[34:35], v[76:77]
	v_fmac_f64_e32 v[26:27], v[52:53], v[34:35]
	;; [unrolled: 2-line block ×3, first 2 shown]
	v_fma_f64 v[16:17], -v[50:51], v[20:21], v[36:37]
	s_waitcnt vmcnt(2)
	v_fmac_f64_e32 v[58:59], v[64:65], v[18:19]
	v_fmac_f64_e32 v[28:29], v[66:67], v[18:19]
	s_waitcnt vmcnt(1)
	v_fmac_f64_e32 v[14:15], v[38:39], v[18:19]
	v_fmac_f64_e32 v[26:27], v[40:41], v[18:19]
	;; [unrolled: 3-line block ×3, first 2 shown]
	v_fma_f64 v[36:37], -v[66:67], v[20:21], v[58:59]
	v_fmac_f64_e32 v[28:29], v[64:65], v[20:21]
	v_fma_f64 v[34:35], -v[40:41], v[20:21], v[14:15]
	v_fmac_f64_e32 v[26:27], v[38:39], v[20:21]
	;; [unrolled: 2-line block ×3, first 2 shown]
	s_andn2_b64 exec, exec, s[2:3]
	s_cbranch_execnz .LBB131_13
; %bb.14:
	s_or_b64 exec, exec, s[2:3]
.LBB131_15:
	s_or_b64 exec, exec, s[4:5]
.LBB131_16:
	v_mov_b32_dpp v10, v16 row_shr:1 row_mask:0xf bank_mask:0xf
	v_mov_b32_dpp v11, v17 row_shr:1 row_mask:0xf bank_mask:0xf
	v_add_f64 v[10:11], v[16:17], v[10:11]
	v_mov_b32_dpp v16, v36 row_shr:1 row_mask:0xf bank_mask:0xf
	v_mov_b32_dpp v17, v37 row_shr:1 row_mask:0xf bank_mask:0xf
	v_add_f64 v[20:21], v[36:37], v[16:17]
	;; [unrolled: 3-line block ×5, first 2 shown]
	v_mov_b32_dpp v16, v32 row_shr:1 row_mask:0xf bank_mask:0xf
	v_mov_b32_dpp v17, v33 row_shr:1 row_mask:0xf bank_mask:0xf
	;; [unrolled: 1-line block ×4, first 2 shown]
	v_add_f64 v[32:33], v[32:33], v[16:17]
	v_mov_b32_dpp v16, v0 row_shr:1 row_mask:0xf bank_mask:0xf
	v_mov_b32_dpp v17, v1 row_shr:1 row_mask:0xf bank_mask:0xf
	v_add_f64 v[14:15], v[24:25], v[14:15]
	v_add_f64 v[44:45], v[0:1], v[16:17]
	v_mov_b32_dpp v12, v10 row_shr:2 row_mask:0xf bank_mask:0xf
	v_mov_b32_dpp v13, v11 row_shr:2 row_mask:0xf bank_mask:0xf
	;; [unrolled: 1-line block ×16, first 2 shown]
	v_cmp_eq_u32_e32 vcc, 3, v23
	s_and_b64 exec, exec, vcc
	s_cbranch_execz .LBB131_21
; %bb.17:
	s_load_dwordx2 s[2:3], s[0:1], 0x48
	v_cmp_eq_f64_e32 vcc, 0, v[6:7]
	v_cmp_eq_f64_e64 s[0:1], 0, v[8:9]
	v_add_f64 v[16:17], v[10:11], v[12:13]
	v_add_f64 v[24:25], v[14:15], v[18:19]
	;; [unrolled: 1-line block ×8, first 2 shown]
	s_and_b64 s[0:1], vcc, s[0:1]
	s_and_saveexec_b64 s[4:5], s[0:1]
	s_xor_b64 s[0:1], exec, s[4:5]
	s_cbranch_execz .LBB131_19
; %bb.18:
	v_mul_f64 v[6:7], v[24:25], -v[4:5]
	v_mul_f64 v[8:9], v[2:3], v[24:25]
	v_fmac_f64_e32 v[6:7], v[2:3], v[16:17]
	v_fmac_f64_e32 v[8:9], v[4:5], v[16:17]
	v_lshlrev_b32_e32 v16, 2, v22
	v_ashrrev_i32_e32 v17, 31, v16
	s_waitcnt lgkmcnt(0)
	v_lshl_add_u64 v[16:17], v[16:17], 4, s[2:3]
	global_store_dwordx4 v[16:17], v[6:9], off
                                        ; implicit-def: $vgpr22
                                        ; implicit-def: $vgpr24_vgpr25
	s_nop 1
	v_mul_f64 v[6:7], v[20:21], -v[4:5]
	v_mul_f64 v[8:9], v[2:3], v[20:21]
	v_fmac_f64_e32 v[6:7], v[2:3], v[12:13]
	v_fmac_f64_e32 v[8:9], v[4:5], v[12:13]
	global_store_dwordx4 v[16:17], v[6:9], off offset:16
                                        ; implicit-def: $vgpr12_vgpr13
                                        ; implicit-def: $vgpr20_vgpr21
	s_nop 1
	v_mul_f64 v[6:7], v[18:19], -v[4:5]
	v_mul_f64 v[8:9], v[2:3], v[18:19]
	v_fmac_f64_e32 v[6:7], v[2:3], v[10:11]
	v_fmac_f64_e32 v[8:9], v[4:5], v[10:11]
	global_store_dwordx4 v[16:17], v[6:9], off offset:32
                                        ; implicit-def: $vgpr10_vgpr11
                                        ; implicit-def: $vgpr18_vgpr19
	s_nop 1
	v_mul_f64 v[6:7], v[14:15], -v[4:5]
	v_mul_f64 v[8:9], v[2:3], v[14:15]
	v_fmac_f64_e32 v[6:7], v[2:3], v[0:1]
	v_fmac_f64_e32 v[8:9], v[4:5], v[0:1]
	global_store_dwordx4 v[16:17], v[6:9], off offset:48
                                        ; implicit-def: $vgpr16_vgpr17
                                        ; implicit-def: $vgpr0_vgpr1
                                        ; implicit-def: $vgpr14_vgpr15
                                        ; implicit-def: $vgpr8_vgpr9
                                        ; implicit-def: $vgpr4_vgpr5
.LBB131_19:
	s_andn2_saveexec_b64 s[0:1], s[0:1]
	s_cbranch_execz .LBB131_21
; %bb.20:
	v_lshlrev_b32_e32 v22, 2, v22
	v_ashrrev_i32_e32 v23, 31, v22
	s_waitcnt lgkmcnt(0)
	v_lshl_add_u64 v[46:47], v[22:23], 4, s[2:3]
	global_load_dwordx4 v[26:29], v[46:47], off
	global_load_dwordx4 v[30:33], v[46:47], off offset:16
	global_load_dwordx4 v[34:37], v[46:47], off offset:32
	;; [unrolled: 1-line block ×3, first 2 shown]
	v_mul_f64 v[42:43], v[24:25], -v[4:5]
	v_mul_f64 v[22:23], v[2:3], v[24:25]
	v_mul_f64 v[24:25], v[20:21], -v[4:5]
	v_mul_f64 v[44:45], v[2:3], v[20:21]
	v_mul_f64 v[48:49], v[18:19], -v[4:5]
	v_mul_f64 v[18:19], v[2:3], v[18:19]
	v_mul_f64 v[50:51], v[14:15], -v[4:5]
	v_mul_f64 v[14:15], v[2:3], v[14:15]
	v_fmac_f64_e32 v[42:43], v[2:3], v[16:17]
	v_fmac_f64_e32 v[22:23], v[4:5], v[16:17]
	;; [unrolled: 1-line block ×8, first 2 shown]
	s_waitcnt vmcnt(3)
	v_fmac_f64_e32 v[42:43], v[6:7], v[26:27]
	v_fmac_f64_e32 v[22:23], v[8:9], v[26:27]
	s_waitcnt vmcnt(2)
	v_fmac_f64_e32 v[24:25], v[6:7], v[30:31]
	v_fmac_f64_e32 v[44:45], v[8:9], v[30:31]
	;; [unrolled: 3-line block ×4, first 2 shown]
	v_fma_f64 v[20:21], -v[8:9], v[28:29], v[42:43]
	v_fmac_f64_e32 v[22:23], v[6:7], v[28:29]
	v_fma_f64 v[42:43], -v[8:9], v[32:33], v[24:25]
	v_fmac_f64_e32 v[44:45], v[6:7], v[32:33]
	;; [unrolled: 2-line block ×4, first 2 shown]
	global_store_dwordx4 v[46:47], v[20:23], off
	global_store_dwordx4 v[46:47], v[42:45], off offset:16
	global_store_dwordx4 v[46:47], v[16:19], off offset:32
	;; [unrolled: 1-line block ×3, first 2 shown]
.LBB131_21:
	s_endpgm
	.section	.rodata,"a",@progbits
	.p2align	6, 0x0
	.amdhsa_kernel _ZN9rocsparseL19gebsrmvn_4xn_kernelILj128ELj6ELj4E21rocsparse_complex_numIdEEEvi20rocsparse_direction_NS_24const_host_device_scalarIT2_EEPKiS8_PKS5_SA_S6_PS5_21rocsparse_index_base_b
		.amdhsa_group_segment_fixed_size 0
		.amdhsa_private_segment_fixed_size 0
		.amdhsa_kernarg_size 88
		.amdhsa_user_sgpr_count 2
		.amdhsa_user_sgpr_dispatch_ptr 0
		.amdhsa_user_sgpr_queue_ptr 0
		.amdhsa_user_sgpr_kernarg_segment_ptr 1
		.amdhsa_user_sgpr_dispatch_id 0
		.amdhsa_user_sgpr_kernarg_preload_length 0
		.amdhsa_user_sgpr_kernarg_preload_offset 0
		.amdhsa_user_sgpr_private_segment_size 0
		.amdhsa_uses_dynamic_stack 0
		.amdhsa_enable_private_segment 0
		.amdhsa_system_sgpr_workgroup_id_x 1
		.amdhsa_system_sgpr_workgroup_id_y 0
		.amdhsa_system_sgpr_workgroup_id_z 0
		.amdhsa_system_sgpr_workgroup_info 0
		.amdhsa_system_vgpr_workitem_id 0
		.amdhsa_next_free_vgpr 94
		.amdhsa_next_free_sgpr 16
		.amdhsa_accum_offset 96
		.amdhsa_reserve_vcc 1
		.amdhsa_float_round_mode_32 0
		.amdhsa_float_round_mode_16_64 0
		.amdhsa_float_denorm_mode_32 3
		.amdhsa_float_denorm_mode_16_64 3
		.amdhsa_dx10_clamp 1
		.amdhsa_ieee_mode 1
		.amdhsa_fp16_overflow 0
		.amdhsa_tg_split 0
		.amdhsa_exception_fp_ieee_invalid_op 0
		.amdhsa_exception_fp_denorm_src 0
		.amdhsa_exception_fp_ieee_div_zero 0
		.amdhsa_exception_fp_ieee_overflow 0
		.amdhsa_exception_fp_ieee_underflow 0
		.amdhsa_exception_fp_ieee_inexact 0
		.amdhsa_exception_int_div_zero 0
	.end_amdhsa_kernel
	.section	.text._ZN9rocsparseL19gebsrmvn_4xn_kernelILj128ELj6ELj4E21rocsparse_complex_numIdEEEvi20rocsparse_direction_NS_24const_host_device_scalarIT2_EEPKiS8_PKS5_SA_S6_PS5_21rocsparse_index_base_b,"axG",@progbits,_ZN9rocsparseL19gebsrmvn_4xn_kernelILj128ELj6ELj4E21rocsparse_complex_numIdEEEvi20rocsparse_direction_NS_24const_host_device_scalarIT2_EEPKiS8_PKS5_SA_S6_PS5_21rocsparse_index_base_b,comdat
.Lfunc_end131:
	.size	_ZN9rocsparseL19gebsrmvn_4xn_kernelILj128ELj6ELj4E21rocsparse_complex_numIdEEEvi20rocsparse_direction_NS_24const_host_device_scalarIT2_EEPKiS8_PKS5_SA_S6_PS5_21rocsparse_index_base_b, .Lfunc_end131-_ZN9rocsparseL19gebsrmvn_4xn_kernelILj128ELj6ELj4E21rocsparse_complex_numIdEEEvi20rocsparse_direction_NS_24const_host_device_scalarIT2_EEPKiS8_PKS5_SA_S6_PS5_21rocsparse_index_base_b
                                        ; -- End function
	.set _ZN9rocsparseL19gebsrmvn_4xn_kernelILj128ELj6ELj4E21rocsparse_complex_numIdEEEvi20rocsparse_direction_NS_24const_host_device_scalarIT2_EEPKiS8_PKS5_SA_S6_PS5_21rocsparse_index_base_b.num_vgpr, 94
	.set _ZN9rocsparseL19gebsrmvn_4xn_kernelILj128ELj6ELj4E21rocsparse_complex_numIdEEEvi20rocsparse_direction_NS_24const_host_device_scalarIT2_EEPKiS8_PKS5_SA_S6_PS5_21rocsparse_index_base_b.num_agpr, 0
	.set _ZN9rocsparseL19gebsrmvn_4xn_kernelILj128ELj6ELj4E21rocsparse_complex_numIdEEEvi20rocsparse_direction_NS_24const_host_device_scalarIT2_EEPKiS8_PKS5_SA_S6_PS5_21rocsparse_index_base_b.numbered_sgpr, 16
	.set _ZN9rocsparseL19gebsrmvn_4xn_kernelILj128ELj6ELj4E21rocsparse_complex_numIdEEEvi20rocsparse_direction_NS_24const_host_device_scalarIT2_EEPKiS8_PKS5_SA_S6_PS5_21rocsparse_index_base_b.num_named_barrier, 0
	.set _ZN9rocsparseL19gebsrmvn_4xn_kernelILj128ELj6ELj4E21rocsparse_complex_numIdEEEvi20rocsparse_direction_NS_24const_host_device_scalarIT2_EEPKiS8_PKS5_SA_S6_PS5_21rocsparse_index_base_b.private_seg_size, 0
	.set _ZN9rocsparseL19gebsrmvn_4xn_kernelILj128ELj6ELj4E21rocsparse_complex_numIdEEEvi20rocsparse_direction_NS_24const_host_device_scalarIT2_EEPKiS8_PKS5_SA_S6_PS5_21rocsparse_index_base_b.uses_vcc, 1
	.set _ZN9rocsparseL19gebsrmvn_4xn_kernelILj128ELj6ELj4E21rocsparse_complex_numIdEEEvi20rocsparse_direction_NS_24const_host_device_scalarIT2_EEPKiS8_PKS5_SA_S6_PS5_21rocsparse_index_base_b.uses_flat_scratch, 0
	.set _ZN9rocsparseL19gebsrmvn_4xn_kernelILj128ELj6ELj4E21rocsparse_complex_numIdEEEvi20rocsparse_direction_NS_24const_host_device_scalarIT2_EEPKiS8_PKS5_SA_S6_PS5_21rocsparse_index_base_b.has_dyn_sized_stack, 0
	.set _ZN9rocsparseL19gebsrmvn_4xn_kernelILj128ELj6ELj4E21rocsparse_complex_numIdEEEvi20rocsparse_direction_NS_24const_host_device_scalarIT2_EEPKiS8_PKS5_SA_S6_PS5_21rocsparse_index_base_b.has_recursion, 0
	.set _ZN9rocsparseL19gebsrmvn_4xn_kernelILj128ELj6ELj4E21rocsparse_complex_numIdEEEvi20rocsparse_direction_NS_24const_host_device_scalarIT2_EEPKiS8_PKS5_SA_S6_PS5_21rocsparse_index_base_b.has_indirect_call, 0
	.section	.AMDGPU.csdata,"",@progbits
; Kernel info:
; codeLenInByte = 3368
; TotalNumSgprs: 22
; NumVgprs: 94
; NumAgprs: 0
; TotalNumVgprs: 94
; ScratchSize: 0
; MemoryBound: 1
; FloatMode: 240
; IeeeMode: 1
; LDSByteSize: 0 bytes/workgroup (compile time only)
; SGPRBlocks: 2
; VGPRBlocks: 11
; NumSGPRsForWavesPerEU: 22
; NumVGPRsForWavesPerEU: 94
; AccumOffset: 96
; Occupancy: 5
; WaveLimiterHint : 1
; COMPUTE_PGM_RSRC2:SCRATCH_EN: 0
; COMPUTE_PGM_RSRC2:USER_SGPR: 2
; COMPUTE_PGM_RSRC2:TRAP_HANDLER: 0
; COMPUTE_PGM_RSRC2:TGID_X_EN: 1
; COMPUTE_PGM_RSRC2:TGID_Y_EN: 0
; COMPUTE_PGM_RSRC2:TGID_Z_EN: 0
; COMPUTE_PGM_RSRC2:TIDIG_COMP_CNT: 0
; COMPUTE_PGM_RSRC3_GFX90A:ACCUM_OFFSET: 23
; COMPUTE_PGM_RSRC3_GFX90A:TG_SPLIT: 0
	.section	.text._ZN9rocsparseL19gebsrmvn_4xn_kernelILj128ELj6ELj8E21rocsparse_complex_numIdEEEvi20rocsparse_direction_NS_24const_host_device_scalarIT2_EEPKiS8_PKS5_SA_S6_PS5_21rocsparse_index_base_b,"axG",@progbits,_ZN9rocsparseL19gebsrmvn_4xn_kernelILj128ELj6ELj8E21rocsparse_complex_numIdEEEvi20rocsparse_direction_NS_24const_host_device_scalarIT2_EEPKiS8_PKS5_SA_S6_PS5_21rocsparse_index_base_b,comdat
	.globl	_ZN9rocsparseL19gebsrmvn_4xn_kernelILj128ELj6ELj8E21rocsparse_complex_numIdEEEvi20rocsparse_direction_NS_24const_host_device_scalarIT2_EEPKiS8_PKS5_SA_S6_PS5_21rocsparse_index_base_b ; -- Begin function _ZN9rocsparseL19gebsrmvn_4xn_kernelILj128ELj6ELj8E21rocsparse_complex_numIdEEEvi20rocsparse_direction_NS_24const_host_device_scalarIT2_EEPKiS8_PKS5_SA_S6_PS5_21rocsparse_index_base_b
	.p2align	8
	.type	_ZN9rocsparseL19gebsrmvn_4xn_kernelILj128ELj6ELj8E21rocsparse_complex_numIdEEEvi20rocsparse_direction_NS_24const_host_device_scalarIT2_EEPKiS8_PKS5_SA_S6_PS5_21rocsparse_index_base_b,@function
_ZN9rocsparseL19gebsrmvn_4xn_kernelILj128ELj6ELj8E21rocsparse_complex_numIdEEEvi20rocsparse_direction_NS_24const_host_device_scalarIT2_EEPKiS8_PKS5_SA_S6_PS5_21rocsparse_index_base_b: ; @_ZN9rocsparseL19gebsrmvn_4xn_kernelILj128ELj6ELj8E21rocsparse_complex_numIdEEEvi20rocsparse_direction_NS_24const_host_device_scalarIT2_EEPKiS8_PKS5_SA_S6_PS5_21rocsparse_index_base_b
; %bb.0:
	s_load_dwordx2 s[4:5], s[0:1], 0x8
	s_load_dwordx2 s[6:7], s[0:1], 0x38
	;; [unrolled: 1-line block ×3, first 2 shown]
	s_add_u32 s3, s0, 8
	s_addc_u32 s8, s1, 0
	s_add_u32 s9, s0, 56
	s_addc_u32 s10, s1, 0
	s_waitcnt lgkmcnt(0)
	s_bitcmp1_b32 s13, 0
	s_cselect_b32 s5, s8, s5
	s_cselect_b32 s3, s3, s4
	v_mov_b32_e32 v2, s3
	v_mov_b32_e32 v3, s5
	flat_load_dwordx4 v[2:5], v[2:3]
	s_cselect_b32 s3, s10, s7
	s_cselect_b32 s4, s9, s6
	v_mov_b32_e32 v6, s4
	v_mov_b32_e32 v7, s3
	flat_load_dwordx4 v[6:9], v[6:7]
	s_waitcnt vmcnt(0) lgkmcnt(0)
	v_cmp_eq_f64_e32 vcc, 0, v[2:3]
	v_cmp_eq_f64_e64 s[4:5], 0, v[4:5]
	s_and_b64 s[8:9], vcc, s[4:5]
	s_mov_b64 s[4:5], -1
	s_and_saveexec_b64 s[6:7], s[8:9]
; %bb.1:
	v_cmp_neq_f64_e32 vcc, 1.0, v[6:7]
	v_cmp_neq_f64_e64 s[4:5], 0, v[8:9]
	s_or_b64 s[4:5], vcc, s[4:5]
	s_orn2_b64 s[4:5], s[4:5], exec
; %bb.2:
	s_or_b64 exec, exec, s[6:7]
	s_and_saveexec_b64 s[6:7], s[4:5]
	s_cbranch_execz .LBB132_21
; %bb.3:
	s_load_dwordx2 s[14:15], s[0:1], 0x0
	v_lshrrev_b32_e32 v1, 3, v0
	v_lshl_or_b32 v22, s2, 4, v1
	s_waitcnt lgkmcnt(0)
	v_cmp_gt_i32_e32 vcc, s14, v22
	s_and_b64 exec, exec, vcc
	s_cbranch_execz .LBB132_21
; %bb.4:
	s_load_dwordx8 s[4:11], s[0:1], 0x18
	v_ashrrev_i32_e32 v23, 31, v22
	s_cmp_lg_u32 s15, 0
	s_waitcnt lgkmcnt(0)
	v_lshl_add_u64 v[10:11], v[22:23], 2, s[4:5]
	global_load_dwordx2 v[10:11], v[10:11], off
	v_and_b32_e32 v23, 7, v0
	s_waitcnt vmcnt(0)
	v_subrev_u32_e32 v0, s12, v10
	v_subrev_u32_e32 v46, s12, v11
	v_add_u32_e32 v30, v0, v23
	v_cmp_lt_i32_e64 s[2:3], v30, v46
	s_cbranch_scc0 .LBB132_10
; %bb.5:
	v_mov_b64_e32 v[26:27], 0
	v_mov_b64_e32 v[16:17], 0
	;; [unrolled: 1-line block ×8, first 2 shown]
	s_and_saveexec_b64 s[4:5], s[2:3]
	s_cbranch_execz .LBB132_9
; %bb.6:
	v_mad_u64_u32 v[38:39], s[14:15], v30, 24, 20
	v_mov_b64_e32 v[26:27], 0
	s_mov_b64 s[14:15], 0
	v_mov_b32_e32 v41, 0
	v_mov_b32_e32 v42, v30
	v_mov_b64_e32 v[16:17], 0
	v_mov_b64_e32 v[32:33], 0
	;; [unrolled: 1-line block ×7, first 2 shown]
.LBB132_7:                              ; =>This Inner Loop Header: Depth=1
	v_ashrrev_i32_e32 v43, 31, v42
	v_subrev_u32_e32 v40, 20, v38
	v_lshl_add_u64 v[10:11], v[42:43], 2, s[6:7]
	v_lshl_add_u64 v[12:13], v[40:41], 4, s[8:9]
	global_load_dword v14, v[10:11], off
	global_load_dwordx4 v[48:51], v[12:13], off offset:48
	global_load_dwordx4 v[52:55], v[12:13], off offset:32
	global_load_dwordx4 v[18:21], v[12:13], off offset:16
	global_load_dwordx4 v[56:59], v[12:13], off
	global_load_dwordx4 v[60:63], v[12:13], off offset:112
	global_load_dwordx4 v[64:67], v[12:13], off offset:96
	global_load_dwordx4 v[68:71], v[12:13], off offset:80
	global_load_dwordx4 v[72:75], v[12:13], off offset:64
	v_mov_b32_e32 v45, v41
	v_mov_b32_e32 v39, v41
	v_lshl_add_u64 v[84:85], v[38:39], 4, s[8:9]
	global_load_dwordx4 v[10:13], v[84:85], off offset:16
	v_add_u32_e32 v40, -12, v38
	v_lshl_add_u64 v[86:87], v[40:41], 4, s[8:9]
	v_add_u32_e32 v42, 8, v42
	v_cmp_ge_i32_e32 vcc, v42, v46
	s_or_b64 s[14:15], vcc, s[14:15]
	s_waitcnt vmcnt(9)
	v_subrev_u32_e32 v14, s12, v14
	v_mul_lo_u32 v44, v14, 6
	v_lshl_add_u64 v[14:15], v[44:45], 4, s[10:11]
	global_load_dwordx4 v[76:79], v[14:15], off
	global_load_dwordx4 v[80:83], v[14:15], off offset:16
	v_add_u32_e32 v40, 2, v44
	s_waitcnt vmcnt(1)
	v_fmac_f64_e32 v[16:17], v[56:57], v[76:77]
	v_fmac_f64_e32 v[26:27], v[58:59], v[76:77]
	;; [unrolled: 1-line block ×4, first 2 shown]
	v_fma_f64 v[88:89], -v[58:59], v[78:79], v[16:17]
	v_fmac_f64_e32 v[26:27], v[56:57], v[78:79]
	v_fma_f64 v[90:91], -v[20:21], v[78:79], v[36:37]
	v_fmac_f64_e32 v[28:29], v[18:19], v[78:79]
	v_fmac_f64_e32 v[34:35], v[52:53], v[76:77]
	;; [unrolled: 1-line block ×5, first 2 shown]
	s_waitcnt vmcnt(0)
	v_fmac_f64_e32 v[88:89], v[72:73], v[80:81]
	v_fmac_f64_e32 v[26:27], v[74:75], v[80:81]
	v_lshl_add_u64 v[76:77], v[40:41], 4, s[10:11]
	v_fmac_f64_e32 v[90:91], v[68:69], v[80:81]
	v_fmac_f64_e32 v[28:29], v[70:71], v[80:81]
	global_load_dwordx4 v[14:17], v[84:85], off
	global_load_dwordx4 v[18:21], v[84:85], off offset:32
	global_load_dwordx4 v[56:59], v[84:85], off offset:48
	v_fma_f64 v[84:85], -v[54:55], v[78:79], v[34:35]
	v_fmac_f64_e32 v[24:25], v[52:53], v[78:79]
	global_load_dwordx4 v[34:37], v[86:87], off offset:32
	v_fma_f64 v[32:33], -v[50:51], v[78:79], v[32:33]
	v_fmac_f64_e32 v[0:1], v[48:49], v[78:79]
	global_load_dwordx4 v[48:51], v[86:87], off offset:16
	global_load_dwordx4 v[52:55], v[86:87], off
	v_fma_f64 v[88:89], -v[74:75], v[82:83], v[88:89]
	v_fmac_f64_e32 v[26:27], v[72:73], v[82:83]
	global_load_dwordx4 v[72:75], v[86:87], off offset:48
	v_fma_f64 v[86:87], -v[70:71], v[82:83], v[90:91]
	v_fmac_f64_e32 v[28:29], v[68:69], v[82:83]
	global_load_dwordx4 v[68:71], v[76:77], off
	v_add_u32_e32 v40, -8, v38
	v_fmac_f64_e32 v[84:85], v[64:65], v[80:81]
	v_fmac_f64_e32 v[24:25], v[66:67], v[80:81]
	v_lshl_add_u64 v[90:91], v[40:41], 4, s[8:9]
	v_fmac_f64_e32 v[32:33], v[60:61], v[80:81]
	v_fmac_f64_e32 v[0:1], v[62:63], v[80:81]
	v_fma_f64 v[84:85], -v[66:67], v[82:83], v[84:85]
	v_fmac_f64_e32 v[24:25], v[64:65], v[82:83]
	global_load_dwordx4 v[64:67], v[76:77], off offset:16
	v_fma_f64 v[80:81], -v[62:63], v[82:83], v[32:33]
	v_fmac_f64_e32 v[0:1], v[60:61], v[82:83]
	global_load_dwordx4 v[60:63], v[90:91], off
	global_load_dwordx4 v[76:79], v[90:91], off offset:16
	v_add_u32_e32 v40, -4, v38
	v_lshl_add_u64 v[92:93], v[40:41], 4, s[8:9]
	v_add_u32_e32 v40, 4, v44
	v_add_u32_e32 v38, 0xc0, v38
	s_waitcnt vmcnt(3)
	v_fmac_f64_e32 v[88:89], v[52:53], v[68:69]
	v_fmac_f64_e32 v[26:27], v[54:55], v[68:69]
	;; [unrolled: 1-line block ×4, first 2 shown]
	v_fma_f64 v[44:45], -v[54:55], v[70:71], v[88:89]
	v_fmac_f64_e32 v[26:27], v[52:53], v[70:71]
	global_load_dwordx4 v[52:55], v[90:91], off offset:32
	v_fma_f64 v[86:87], -v[50:51], v[70:71], v[86:87]
	v_fmac_f64_e32 v[28:29], v[48:49], v[70:71]
	global_load_dwordx4 v[48:51], v[90:91], off offset:48
	v_fmac_f64_e32 v[84:85], v[34:35], v[68:69]
	v_fmac_f64_e32 v[24:25], v[36:37], v[68:69]
	;; [unrolled: 1-line block ×4, first 2 shown]
	v_fma_f64 v[36:37], -v[36:37], v[70:71], v[84:85]
	v_fmac_f64_e32 v[24:25], v[34:35], v[70:71]
	global_load_dwordx4 v[32:35], v[92:93], off offset:48
	v_fma_f64 v[84:85], -v[74:75], v[70:71], v[80:81]
	v_fmac_f64_e32 v[0:1], v[72:73], v[70:71]
	global_load_dwordx4 v[68:71], v[92:93], off offset:32
	global_load_dwordx4 v[72:75], v[92:93], off offset:16
	global_load_dwordx4 v[80:83], v[92:93], off
	s_waitcnt vmcnt(7)
	v_fmac_f64_e32 v[44:45], v[60:61], v[64:65]
	v_fmac_f64_e32 v[26:27], v[62:63], v[64:65]
	v_lshl_add_u64 v[88:89], v[40:41], 4, s[10:11]
	s_waitcnt vmcnt(6)
	v_fmac_f64_e32 v[86:87], v[76:77], v[64:65]
	v_fmac_f64_e32 v[28:29], v[78:79], v[64:65]
	v_fma_f64 v[44:45], -v[62:63], v[66:67], v[44:45]
	v_fmac_f64_e32 v[26:27], v[60:61], v[66:67]
	v_fma_f64 v[86:87], -v[78:79], v[66:67], v[86:87]
	v_fmac_f64_e32 v[28:29], v[76:77], v[66:67]
	global_load_dwordx4 v[60:63], v[88:89], off
	global_load_dwordx4 v[76:79], v[88:89], off offset:16
	s_waitcnt vmcnt(7)
	v_fmac_f64_e32 v[36:37], v[52:53], v[64:65]
	v_fmac_f64_e32 v[24:25], v[54:55], v[64:65]
	v_fma_f64 v[36:37], -v[54:55], v[66:67], v[36:37]
	s_waitcnt vmcnt(6)
	v_fmac_f64_e32 v[84:85], v[48:49], v[64:65]
	v_fmac_f64_e32 v[0:1], v[50:51], v[64:65]
	;; [unrolled: 1-line block ×3, first 2 shown]
	v_fma_f64 v[50:51], -v[50:51], v[66:67], v[84:85]
	v_fmac_f64_e32 v[0:1], v[48:49], v[66:67]
	s_waitcnt vmcnt(1)
	v_fmac_f64_e32 v[44:45], v[80:81], v[60:61]
	v_fmac_f64_e32 v[26:27], v[82:83], v[60:61]
	;; [unrolled: 1-line block ×8, first 2 shown]
	v_fma_f64 v[44:45], -v[82:83], v[62:63], v[44:45]
	v_fmac_f64_e32 v[26:27], v[80:81], v[62:63]
	v_fma_f64 v[48:49], -v[74:75], v[62:63], v[86:87]
	v_fmac_f64_e32 v[28:29], v[72:73], v[62:63]
	v_fma_f64 v[52:53], -v[70:71], v[62:63], v[36:37]
	v_fmac_f64_e32 v[24:25], v[68:69], v[62:63]
	v_fma_f64 v[50:51], -v[34:35], v[62:63], v[50:51]
	v_fmac_f64_e32 v[0:1], v[32:33], v[62:63]
	s_waitcnt vmcnt(0)
	v_fmac_f64_e32 v[44:45], v[14:15], v[76:77]
	v_fmac_f64_e32 v[26:27], v[16:17], v[76:77]
	;; [unrolled: 1-line block ×8, first 2 shown]
	v_fma_f64 v[16:17], -v[16:17], v[78:79], v[44:45]
	v_fmac_f64_e32 v[26:27], v[14:15], v[78:79]
	v_fma_f64 v[36:37], -v[12:13], v[78:79], v[48:49]
	v_fmac_f64_e32 v[28:29], v[10:11], v[78:79]
	v_fma_f64 v[34:35], -v[20:21], v[78:79], v[52:53]
	v_fmac_f64_e32 v[24:25], v[18:19], v[78:79]
	v_fma_f64 v[32:33], -v[58:59], v[78:79], v[50:51]
	v_fmac_f64_e32 v[0:1], v[56:57], v[78:79]
	s_andn2_b64 exec, exec, s[14:15]
	s_cbranch_execnz .LBB132_7
; %bb.8:
	s_or_b64 exec, exec, s[14:15]
.LBB132_9:
	s_or_b64 exec, exec, s[4:5]
	s_cbranch_execz .LBB132_11
	s_branch .LBB132_16
.LBB132_10:
                                        ; implicit-def: $vgpr26_vgpr27
                                        ; implicit-def: $vgpr16_vgpr17
                                        ; implicit-def: $vgpr32_vgpr33
                                        ; implicit-def: $vgpr0_vgpr1
                                        ; implicit-def: $vgpr34_vgpr35
                                        ; implicit-def: $vgpr24_vgpr25
                                        ; implicit-def: $vgpr36_vgpr37
                                        ; implicit-def: $vgpr28_vgpr29
.LBB132_11:
	v_mov_b64_e32 v[26:27], 0
	v_mov_b64_e32 v[16:17], 0
	;; [unrolled: 1-line block ×8, first 2 shown]
	s_and_saveexec_b64 s[4:5], s[2:3]
	s_cbranch_execz .LBB132_15
; %bb.12:
	v_mad_u64_u32 v[10:11], s[2:3], v30, 24, 23
	v_mov_b64_e32 v[26:27], 0
	s_mov_b64 s[2:3], 0
	v_mov_b32_e32 v13, 0
	v_mov_b64_e32 v[16:17], 0
	v_mov_b64_e32 v[32:33], 0
	;; [unrolled: 1-line block ×7, first 2 shown]
.LBB132_13:                             ; =>This Inner Loop Header: Depth=1
	v_ashrrev_i32_e32 v31, 31, v30
	v_subrev_u32_e32 v12, 23, v10
	v_add_u32_e32 v20, -11, v10
	v_add_u32_e32 v18, -5, v10
	v_mov_b32_e32 v21, v13
	v_mov_b32_e32 v19, v13
	;; [unrolled: 1-line block ×3, first 2 shown]
	v_lshl_add_u64 v[64:65], v[30:31], 2, s[6:7]
	v_lshl_add_u64 v[76:77], v[12:13], 4, s[8:9]
	;; [unrolled: 1-line block ×5, first 2 shown]
	global_load_dword v11, v[64:65], off
	global_load_dwordx4 v[18:21], v[76:77], off offset:16
	global_load_dwordx4 v[38:41], v[76:77], off
	global_load_dwordx4 v[42:45], v[76:77], off offset:112
	global_load_dwordx4 v[48:51], v[76:77], off offset:96
	global_load_dwordx4 v[52:55], v[66:67], off
	global_load_dwordx4 v[56:59], v[68:69], off
	global_load_dwordx4 v[60:63], v[76:77], off offset:48
	v_mov_b32_e32 v15, v13
	v_add_u32_e32 v12, -10, v10
	v_add_u32_e32 v30, 8, v30
	v_cmp_ge_i32_e32 vcc, v30, v46
	s_or_b64 s[2:3], vcc, s[2:3]
	s_waitcnt vmcnt(7)
	v_subrev_u32_e32 v11, s12, v11
	v_mul_lo_u32 v14, v11, 6
	v_lshl_add_u64 v[72:73], v[14:15], 4, s[10:11]
	global_load_dwordx4 v[64:67], v[72:73], off
	global_load_dwordx4 v[68:71], v[72:73], off offset:16
	s_waitcnt vmcnt(1)
	v_fmac_f64_e32 v[16:17], v[38:39], v[64:65]
	v_fmac_f64_e32 v[26:27], v[40:41], v[64:65]
	;; [unrolled: 1-line block ×5, first 2 shown]
	v_fma_f64 v[16:17], -v[40:41], v[66:67], v[16:17]
	v_fmac_f64_e32 v[26:27], v[38:39], v[66:67]
	global_load_dwordx4 v[38:41], v[76:77], off offset:32
	v_fma_f64 v[80:81], -v[50:51], v[66:67], v[36:37]
	v_fmac_f64_e32 v[28:29], v[48:49], v[66:67]
	global_load_dwordx4 v[48:51], v[76:77], off offset:80
	global_load_dwordx4 v[72:75], v[76:77], off offset:64
	v_fma_f64 v[76:77], -v[54:55], v[66:67], v[34:35]
	v_lshl_add_u64 v[34:35], v[12:13], 4, s[8:9]
	v_add_u32_e32 v12, -4, v10
	v_fmac_f64_e32 v[32:33], v[56:57], v[64:65]
	v_fmac_f64_e32 v[24:25], v[54:55], v[64:65]
	global_load_dwordx4 v[34:37], v[34:35], off
	v_fmac_f64_e32 v[0:1], v[58:59], v[64:65]
	v_fma_f64 v[64:65], -v[58:59], v[66:67], v[32:33]
	v_lshl_add_u64 v[32:33], v[12:13], 4, s[8:9]
	v_fmac_f64_e32 v[24:25], v[52:53], v[66:67]
	global_load_dwordx4 v[52:55], v[32:33], off
	v_add_u32_e32 v12, 2, v14
	v_lshl_add_u64 v[32:33], v[12:13], 4, s[10:11]
	v_add_u32_e32 v12, -15, v10
	s_waitcnt vmcnt(5)
	v_fmac_f64_e32 v[16:17], v[18:19], v[68:69]
	v_fmac_f64_e32 v[26:27], v[20:21], v[68:69]
	;; [unrolled: 1-line block ×3, first 2 shown]
	v_fma_f64 v[20:21], -v[20:21], v[70:71], v[16:17]
	v_fmac_f64_e32 v[26:27], v[18:19], v[70:71]
	global_load_dwordx4 v[16:19], v[32:33], off
	global_load_dwordx4 v[56:59], v[32:33], off offset:16
	v_fmac_f64_e32 v[80:81], v[42:43], v[68:69]
	v_fmac_f64_e32 v[28:29], v[44:45], v[68:69]
	v_lshl_add_u64 v[32:33], v[12:13], 4, s[8:9]
	v_fma_f64 v[80:81], -v[44:45], v[70:71], v[80:81]
	v_fmac_f64_e32 v[28:29], v[42:43], v[70:71]
	global_load_dwordx4 v[42:45], v[32:33], off
	v_add_u32_e32 v12, -9, v10
	v_lshl_add_u64 v[32:33], v[12:13], 4, s[8:9]
	v_add_u32_e32 v12, -3, v10
	s_waitcnt vmcnt(4)
	v_fmac_f64_e32 v[76:77], v[34:35], v[68:69]
	v_fmac_f64_e32 v[24:25], v[36:37], v[68:69]
	v_fma_f64 v[76:77], -v[36:37], v[70:71], v[76:77]
	v_lshl_add_u64 v[36:37], v[12:13], 4, s[8:9]
	v_fmac_f64_e32 v[24:25], v[34:35], v[70:71]
	s_waitcnt vmcnt(3)
	v_fmac_f64_e32 v[64:65], v[52:53], v[68:69]
	v_fmac_f64_e32 v[0:1], v[54:55], v[68:69]
	global_load_dwordx4 v[32:35], v[32:33], off
	v_fma_f64 v[68:69], -v[54:55], v[70:71], v[64:65]
	v_fmac_f64_e32 v[0:1], v[52:53], v[70:71]
	global_load_dwordx4 v[52:55], v[36:37], off
	v_add_u32_e32 v12, -14, v10
	v_lshl_add_u64 v[36:37], v[12:13], 4, s[8:9]
	v_add_u32_e32 v12, -8, v10
	s_waitcnt vmcnt(4)
	v_fmac_f64_e32 v[20:21], v[38:39], v[16:17]
	global_load_dwordx4 v[64:67], v[36:37], off
	v_fmac_f64_e32 v[26:27], v[40:41], v[16:17]
	v_fma_f64 v[70:71], -v[40:41], v[18:19], v[20:21]
	v_lshl_add_u64 v[20:21], v[12:13], 4, s[8:9]
	v_add_u32_e32 v12, -2, v10
	v_fmac_f64_e32 v[26:27], v[38:39], v[18:19]
	v_lshl_add_u64 v[40:41], v[12:13], 4, s[8:9]
	global_load_dwordx4 v[36:39], v[20:21], off
	s_waitcnt vmcnt(4)
	v_fmac_f64_e32 v[28:29], v[44:45], v[16:17]
	v_fmac_f64_e32 v[80:81], v[42:43], v[16:17]
	;; [unrolled: 1-line block ×3, first 2 shown]
	global_load_dwordx4 v[40:43], v[40:41], off
	v_add_u32_e32 v12, 4, v14
	v_lshl_add_u64 v[14:15], v[12:13], 4, s[10:11]
	v_add_u32_e32 v12, -13, v10
	v_fma_f64 v[44:45], -v[44:45], v[18:19], v[80:81]
	v_fmac_f64_e32 v[26:27], v[62:63], v[56:57]
	v_fmac_f64_e32 v[70:71], v[60:61], v[56:57]
	;; [unrolled: 1-line block ×3, first 2 shown]
	v_fma_f64 v[70:71], -v[62:63], v[58:59], v[70:71]
	s_waitcnt vmcnt(4)
	v_fmac_f64_e32 v[76:77], v[32:33], v[16:17]
	v_fmac_f64_e32 v[24:25], v[34:35], v[16:17]
	v_fma_f64 v[76:77], -v[34:35], v[18:19], v[76:77]
	s_waitcnt vmcnt(3)
	v_fmac_f64_e32 v[68:69], v[52:53], v[16:17]
	v_fmac_f64_e32 v[0:1], v[54:55], v[16:17]
	;; [unrolled: 1-line block ×3, first 2 shown]
	global_load_dwordx4 v[32:35], v[14:15], off
	v_fma_f64 v[68:69], -v[54:55], v[18:19], v[68:69]
	v_fmac_f64_e32 v[0:1], v[52:53], v[18:19]
	global_load_dwordx4 v[18:21], v[14:15], off offset:16
	v_lshl_add_u64 v[14:15], v[12:13], 4, s[8:9]
	v_add_u32_e32 v12, -7, v10
	v_lshl_add_u64 v[52:53], v[12:13], 4, s[8:9]
	v_add_u32_e32 v12, -1, v10
	;; [unrolled: 2-line block ×3, first 2 shown]
	s_waitcnt vmcnt(4)
	v_fmac_f64_e32 v[44:45], v[64:65], v[56:57]
	global_load_dwordx4 v[14:17], v[14:15], off
	v_fma_f64 v[80:81], -v[66:67], v[58:59], v[44:45]
	global_load_dwordx4 v[52:55], v[52:53], off
	v_lshl_add_u64 v[44:45], v[12:13], 4, s[8:9]
	global_load_dwordx4 v[60:63], v[60:61], off
	v_add_u32_e32 v12, -6, v10
	s_waitcnt vmcnt(6)
	v_fmac_f64_e32 v[24:25], v[38:39], v[56:57]
	v_fmac_f64_e32 v[28:29], v[66:67], v[56:57]
	;; [unrolled: 1-line block ×4, first 2 shown]
	v_lshl_add_u64 v[36:37], v[12:13], 4, s[8:9]
	s_waitcnt vmcnt(5)
	v_fmac_f64_e32 v[68:69], v[40:41], v[56:57]
	v_fmac_f64_e32 v[0:1], v[42:43], v[56:57]
	;; [unrolled: 1-line block ×3, first 2 shown]
	v_fma_f64 v[76:77], -v[38:39], v[58:59], v[76:77]
	global_load_dwordx4 v[64:67], v[44:45], off
	v_fma_f64 v[56:57], -v[42:43], v[58:59], v[68:69]
	v_fmac_f64_e32 v[0:1], v[40:41], v[58:59]
	global_load_dwordx4 v[38:41], v[36:37], off
	global_load_dwordx4 v[42:45], v[78:79], off
	v_add_u32_e32 v10, 0xc0, v10
	s_waitcnt vmcnt(7)
	v_fmac_f64_e32 v[70:71], v[72:73], v[32:33]
	v_fmac_f64_e32 v[26:27], v[74:75], v[32:33]
	v_fma_f64 v[36:37], -v[74:75], v[34:35], v[70:71]
	v_fmac_f64_e32 v[26:27], v[72:73], v[34:35]
	s_waitcnt vmcnt(6)
	v_fmac_f64_e32 v[36:37], v[48:49], v[18:19]
	v_fmac_f64_e32 v[26:27], v[50:51], v[18:19]
	;; [unrolled: 1-line block ×3, first 2 shown]
	s_waitcnt vmcnt(5)
	v_fmac_f64_e32 v[80:81], v[14:15], v[32:33]
	v_fmac_f64_e32 v[28:29], v[16:17], v[32:33]
	s_waitcnt vmcnt(4)
	v_fmac_f64_e32 v[76:77], v[52:53], v[32:33]
	v_fmac_f64_e32 v[24:25], v[54:55], v[32:33]
	;; [unrolled: 3-line block ×3, first 2 shown]
	v_fma_f64 v[58:59], -v[16:17], v[34:35], v[80:81]
	v_fmac_f64_e32 v[28:29], v[14:15], v[34:35]
	v_fma_f64 v[14:15], -v[54:55], v[34:35], v[76:77]
	v_fmac_f64_e32 v[24:25], v[52:53], v[34:35]
	;; [unrolled: 2-line block ×3, first 2 shown]
	v_fma_f64 v[16:17], -v[50:51], v[20:21], v[36:37]
	s_waitcnt vmcnt(2)
	v_fmac_f64_e32 v[58:59], v[64:65], v[18:19]
	v_fmac_f64_e32 v[28:29], v[66:67], v[18:19]
	s_waitcnt vmcnt(1)
	v_fmac_f64_e32 v[14:15], v[38:39], v[18:19]
	v_fmac_f64_e32 v[24:25], v[40:41], v[18:19]
	;; [unrolled: 3-line block ×3, first 2 shown]
	v_fma_f64 v[36:37], -v[66:67], v[20:21], v[58:59]
	v_fmac_f64_e32 v[28:29], v[64:65], v[20:21]
	v_fma_f64 v[34:35], -v[40:41], v[20:21], v[14:15]
	v_fmac_f64_e32 v[24:25], v[38:39], v[20:21]
	;; [unrolled: 2-line block ×3, first 2 shown]
	s_andn2_b64 exec, exec, s[2:3]
	s_cbranch_execnz .LBB132_13
; %bb.14:
	s_or_b64 exec, exec, s[2:3]
.LBB132_15:
	s_or_b64 exec, exec, s[4:5]
.LBB132_16:
	v_mov_b32_dpp v14, v26 row_shr:1 row_mask:0xf bank_mask:0xf
	v_mov_b32_dpp v15, v27 row_shr:1 row_mask:0xf bank_mask:0xf
	;; [unrolled: 1-line block ×4, first 2 shown]
	v_add_f64 v[14:15], v[26:27], v[14:15]
	v_add_f64 v[10:11], v[16:17], v[10:11]
	v_cmp_eq_u32_e32 vcc, 7, v23
	v_mov_b32_dpp v16, v14 row_shr:2 row_mask:0xf bank_mask:0xf
	v_mov_b32_dpp v17, v15 row_shr:2 row_mask:0xf bank_mask:0xf
	v_add_f64 v[14:15], v[14:15], v[16:17]
	v_mov_b32_dpp v16, v36 row_shr:1 row_mask:0xf bank_mask:0xf
	v_mov_b32_dpp v17, v37 row_shr:1 row_mask:0xf bank_mask:0xf
	v_add_f64 v[16:17], v[36:37], v[16:17]
	v_mov_b32_dpp v12, v10 row_shr:2 row_mask:0xf bank_mask:0xf
	v_mov_b32_dpp v13, v11 row_shr:2 row_mask:0xf bank_mask:0xf
	;; [unrolled: 1-line block ×4, first 2 shown]
	v_add_f64 v[20:21], v[16:17], v[20:21]
	v_mov_b32_dpp v16, v28 row_shr:1 row_mask:0xf bank_mask:0xf
	v_mov_b32_dpp v17, v29 row_shr:1 row_mask:0xf bank_mask:0xf
	v_add_f64 v[16:17], v[28:29], v[16:17]
	v_add_f64 v[10:11], v[10:11], v[12:13]
	v_mov_b32_dpp v18, v14 row_shr:4 row_mask:0xf bank_mask:0xe
	v_mov_b32_dpp v28, v16 row_shr:2 row_mask:0xf bank_mask:0xf
	v_mov_b32_dpp v29, v17 row_shr:2 row_mask:0xf bank_mask:0xf
	v_add_f64 v[28:29], v[16:17], v[28:29]
	v_mov_b32_dpp v16, v34 row_shr:1 row_mask:0xf bank_mask:0xf
	v_mov_b32_dpp v17, v35 row_shr:1 row_mask:0xf bank_mask:0xf
	v_add_f64 v[16:17], v[34:35], v[16:17]
	v_mov_b32_dpp v12, v10 row_shr:4 row_mask:0xf bank_mask:0xe
	v_mov_b32_dpp v13, v11 row_shr:4 row_mask:0xf bank_mask:0xe
	v_mov_b32_dpp v34, v16 row_shr:2 row_mask:0xf bank_mask:0xf
	v_mov_b32_dpp v35, v17 row_shr:2 row_mask:0xf bank_mask:0xf
	v_add_f64 v[34:35], v[16:17], v[34:35]
	v_mov_b32_dpp v16, v24 row_shr:1 row_mask:0xf bank_mask:0xf
	v_mov_b32_dpp v17, v25 row_shr:1 row_mask:0xf bank_mask:0xf
	v_add_f64 v[16:17], v[24:25], v[16:17]
	v_mov_b32_dpp v19, v15 row_shr:4 row_mask:0xf bank_mask:0xe
	;; [unrolled: 8-line block ×4, first 2 shown]
	v_mov_b32_dpp v36, v34 row_shr:4 row_mask:0xf bank_mask:0xe
	v_mov_b32_dpp v16, v0 row_shr:2 row_mask:0xf bank_mask:0xf
	;; [unrolled: 1-line block ×3, first 2 shown]
	v_add_f64 v[44:45], v[0:1], v[16:17]
	v_mov_b32_dpp v37, v35 row_shr:4 row_mask:0xf bank_mask:0xe
	v_mov_b32_dpp v40, v38 row_shr:4 row_mask:0xf bank_mask:0xe
	;; [unrolled: 1-line block ×7, first 2 shown]
	s_and_b64 exec, exec, vcc
	s_cbranch_execz .LBB132_21
; %bb.17:
	s_load_dwordx2 s[2:3], s[0:1], 0x48
	v_cmp_eq_f64_e32 vcc, 0, v[6:7]
	v_cmp_eq_f64_e64 s[0:1], 0, v[8:9]
	v_add_f64 v[16:17], v[10:11], v[12:13]
	v_add_f64 v[24:25], v[14:15], v[18:19]
	;; [unrolled: 1-line block ×8, first 2 shown]
	s_and_b64 s[0:1], vcc, s[0:1]
	s_and_saveexec_b64 s[4:5], s[0:1]
	s_xor_b64 s[0:1], exec, s[4:5]
	s_cbranch_execz .LBB132_19
; %bb.18:
	v_mul_f64 v[6:7], v[24:25], -v[4:5]
	v_mul_f64 v[8:9], v[2:3], v[24:25]
	v_fmac_f64_e32 v[6:7], v[2:3], v[16:17]
	v_fmac_f64_e32 v[8:9], v[4:5], v[16:17]
	v_lshlrev_b32_e32 v16, 2, v22
	v_ashrrev_i32_e32 v17, 31, v16
	s_waitcnt lgkmcnt(0)
	v_lshl_add_u64 v[16:17], v[16:17], 4, s[2:3]
	global_store_dwordx4 v[16:17], v[6:9], off
                                        ; implicit-def: $vgpr22
                                        ; implicit-def: $vgpr24_vgpr25
	s_nop 1
	v_mul_f64 v[6:7], v[20:21], -v[4:5]
	v_mul_f64 v[8:9], v[2:3], v[20:21]
	v_fmac_f64_e32 v[6:7], v[2:3], v[12:13]
	v_fmac_f64_e32 v[8:9], v[4:5], v[12:13]
	global_store_dwordx4 v[16:17], v[6:9], off offset:16
                                        ; implicit-def: $vgpr12_vgpr13
                                        ; implicit-def: $vgpr20_vgpr21
	s_nop 1
	v_mul_f64 v[6:7], v[18:19], -v[4:5]
	v_mul_f64 v[8:9], v[2:3], v[18:19]
	v_fmac_f64_e32 v[6:7], v[2:3], v[10:11]
	v_fmac_f64_e32 v[8:9], v[4:5], v[10:11]
	global_store_dwordx4 v[16:17], v[6:9], off offset:32
                                        ; implicit-def: $vgpr10_vgpr11
                                        ; implicit-def: $vgpr18_vgpr19
	s_nop 1
	v_mul_f64 v[6:7], v[14:15], -v[4:5]
	v_mul_f64 v[8:9], v[2:3], v[14:15]
	v_fmac_f64_e32 v[6:7], v[2:3], v[0:1]
	v_fmac_f64_e32 v[8:9], v[4:5], v[0:1]
	global_store_dwordx4 v[16:17], v[6:9], off offset:48
                                        ; implicit-def: $vgpr16_vgpr17
                                        ; implicit-def: $vgpr0_vgpr1
                                        ; implicit-def: $vgpr14_vgpr15
                                        ; implicit-def: $vgpr8_vgpr9
                                        ; implicit-def: $vgpr4_vgpr5
.LBB132_19:
	s_andn2_saveexec_b64 s[0:1], s[0:1]
	s_cbranch_execz .LBB132_21
; %bb.20:
	v_lshlrev_b32_e32 v22, 2, v22
	v_ashrrev_i32_e32 v23, 31, v22
	s_waitcnt lgkmcnt(0)
	v_lshl_add_u64 v[46:47], v[22:23], 4, s[2:3]
	global_load_dwordx4 v[26:29], v[46:47], off
	global_load_dwordx4 v[30:33], v[46:47], off offset:16
	global_load_dwordx4 v[34:37], v[46:47], off offset:32
	;; [unrolled: 1-line block ×3, first 2 shown]
	v_mul_f64 v[42:43], v[24:25], -v[4:5]
	v_mul_f64 v[22:23], v[2:3], v[24:25]
	v_mul_f64 v[24:25], v[20:21], -v[4:5]
	v_mul_f64 v[44:45], v[2:3], v[20:21]
	;; [unrolled: 2-line block ×4, first 2 shown]
	v_fmac_f64_e32 v[42:43], v[2:3], v[16:17]
	v_fmac_f64_e32 v[22:23], v[4:5], v[16:17]
	;; [unrolled: 1-line block ×8, first 2 shown]
	s_waitcnt vmcnt(3)
	v_fmac_f64_e32 v[42:43], v[6:7], v[26:27]
	v_fmac_f64_e32 v[22:23], v[8:9], v[26:27]
	s_waitcnt vmcnt(2)
	v_fmac_f64_e32 v[24:25], v[6:7], v[30:31]
	v_fmac_f64_e32 v[44:45], v[8:9], v[30:31]
	;; [unrolled: 3-line block ×4, first 2 shown]
	v_fma_f64 v[20:21], -v[8:9], v[28:29], v[42:43]
	v_fmac_f64_e32 v[22:23], v[6:7], v[28:29]
	v_fma_f64 v[42:43], -v[8:9], v[32:33], v[24:25]
	v_fmac_f64_e32 v[44:45], v[6:7], v[32:33]
	;; [unrolled: 2-line block ×4, first 2 shown]
	global_store_dwordx4 v[46:47], v[20:23], off
	global_store_dwordx4 v[46:47], v[42:45], off offset:16
	global_store_dwordx4 v[46:47], v[16:19], off offset:32
	;; [unrolled: 1-line block ×3, first 2 shown]
.LBB132_21:
	s_endpgm
	.section	.rodata,"a",@progbits
	.p2align	6, 0x0
	.amdhsa_kernel _ZN9rocsparseL19gebsrmvn_4xn_kernelILj128ELj6ELj8E21rocsparse_complex_numIdEEEvi20rocsparse_direction_NS_24const_host_device_scalarIT2_EEPKiS8_PKS5_SA_S6_PS5_21rocsparse_index_base_b
		.amdhsa_group_segment_fixed_size 0
		.amdhsa_private_segment_fixed_size 0
		.amdhsa_kernarg_size 88
		.amdhsa_user_sgpr_count 2
		.amdhsa_user_sgpr_dispatch_ptr 0
		.amdhsa_user_sgpr_queue_ptr 0
		.amdhsa_user_sgpr_kernarg_segment_ptr 1
		.amdhsa_user_sgpr_dispatch_id 0
		.amdhsa_user_sgpr_kernarg_preload_length 0
		.amdhsa_user_sgpr_kernarg_preload_offset 0
		.amdhsa_user_sgpr_private_segment_size 0
		.amdhsa_uses_dynamic_stack 0
		.amdhsa_enable_private_segment 0
		.amdhsa_system_sgpr_workgroup_id_x 1
		.amdhsa_system_sgpr_workgroup_id_y 0
		.amdhsa_system_sgpr_workgroup_id_z 0
		.amdhsa_system_sgpr_workgroup_info 0
		.amdhsa_system_vgpr_workitem_id 0
		.amdhsa_next_free_vgpr 94
		.amdhsa_next_free_sgpr 16
		.amdhsa_accum_offset 96
		.amdhsa_reserve_vcc 1
		.amdhsa_float_round_mode_32 0
		.amdhsa_float_round_mode_16_64 0
		.amdhsa_float_denorm_mode_32 3
		.amdhsa_float_denorm_mode_16_64 3
		.amdhsa_dx10_clamp 1
		.amdhsa_ieee_mode 1
		.amdhsa_fp16_overflow 0
		.amdhsa_tg_split 0
		.amdhsa_exception_fp_ieee_invalid_op 0
		.amdhsa_exception_fp_denorm_src 0
		.amdhsa_exception_fp_ieee_div_zero 0
		.amdhsa_exception_fp_ieee_overflow 0
		.amdhsa_exception_fp_ieee_underflow 0
		.amdhsa_exception_fp_ieee_inexact 0
		.amdhsa_exception_int_div_zero 0
	.end_amdhsa_kernel
	.section	.text._ZN9rocsparseL19gebsrmvn_4xn_kernelILj128ELj6ELj8E21rocsparse_complex_numIdEEEvi20rocsparse_direction_NS_24const_host_device_scalarIT2_EEPKiS8_PKS5_SA_S6_PS5_21rocsparse_index_base_b,"axG",@progbits,_ZN9rocsparseL19gebsrmvn_4xn_kernelILj128ELj6ELj8E21rocsparse_complex_numIdEEEvi20rocsparse_direction_NS_24const_host_device_scalarIT2_EEPKiS8_PKS5_SA_S6_PS5_21rocsparse_index_base_b,comdat
.Lfunc_end132:
	.size	_ZN9rocsparseL19gebsrmvn_4xn_kernelILj128ELj6ELj8E21rocsparse_complex_numIdEEEvi20rocsparse_direction_NS_24const_host_device_scalarIT2_EEPKiS8_PKS5_SA_S6_PS5_21rocsparse_index_base_b, .Lfunc_end132-_ZN9rocsparseL19gebsrmvn_4xn_kernelILj128ELj6ELj8E21rocsparse_complex_numIdEEEvi20rocsparse_direction_NS_24const_host_device_scalarIT2_EEPKiS8_PKS5_SA_S6_PS5_21rocsparse_index_base_b
                                        ; -- End function
	.set _ZN9rocsparseL19gebsrmvn_4xn_kernelILj128ELj6ELj8E21rocsparse_complex_numIdEEEvi20rocsparse_direction_NS_24const_host_device_scalarIT2_EEPKiS8_PKS5_SA_S6_PS5_21rocsparse_index_base_b.num_vgpr, 94
	.set _ZN9rocsparseL19gebsrmvn_4xn_kernelILj128ELj6ELj8E21rocsparse_complex_numIdEEEvi20rocsparse_direction_NS_24const_host_device_scalarIT2_EEPKiS8_PKS5_SA_S6_PS5_21rocsparse_index_base_b.num_agpr, 0
	.set _ZN9rocsparseL19gebsrmvn_4xn_kernelILj128ELj6ELj8E21rocsparse_complex_numIdEEEvi20rocsparse_direction_NS_24const_host_device_scalarIT2_EEPKiS8_PKS5_SA_S6_PS5_21rocsparse_index_base_b.numbered_sgpr, 16
	.set _ZN9rocsparseL19gebsrmvn_4xn_kernelILj128ELj6ELj8E21rocsparse_complex_numIdEEEvi20rocsparse_direction_NS_24const_host_device_scalarIT2_EEPKiS8_PKS5_SA_S6_PS5_21rocsparse_index_base_b.num_named_barrier, 0
	.set _ZN9rocsparseL19gebsrmvn_4xn_kernelILj128ELj6ELj8E21rocsparse_complex_numIdEEEvi20rocsparse_direction_NS_24const_host_device_scalarIT2_EEPKiS8_PKS5_SA_S6_PS5_21rocsparse_index_base_b.private_seg_size, 0
	.set _ZN9rocsparseL19gebsrmvn_4xn_kernelILj128ELj6ELj8E21rocsparse_complex_numIdEEEvi20rocsparse_direction_NS_24const_host_device_scalarIT2_EEPKiS8_PKS5_SA_S6_PS5_21rocsparse_index_base_b.uses_vcc, 1
	.set _ZN9rocsparseL19gebsrmvn_4xn_kernelILj128ELj6ELj8E21rocsparse_complex_numIdEEEvi20rocsparse_direction_NS_24const_host_device_scalarIT2_EEPKiS8_PKS5_SA_S6_PS5_21rocsparse_index_base_b.uses_flat_scratch, 0
	.set _ZN9rocsparseL19gebsrmvn_4xn_kernelILj128ELj6ELj8E21rocsparse_complex_numIdEEEvi20rocsparse_direction_NS_24const_host_device_scalarIT2_EEPKiS8_PKS5_SA_S6_PS5_21rocsparse_index_base_b.has_dyn_sized_stack, 0
	.set _ZN9rocsparseL19gebsrmvn_4xn_kernelILj128ELj6ELj8E21rocsparse_complex_numIdEEEvi20rocsparse_direction_NS_24const_host_device_scalarIT2_EEPKiS8_PKS5_SA_S6_PS5_21rocsparse_index_base_b.has_recursion, 0
	.set _ZN9rocsparseL19gebsrmvn_4xn_kernelILj128ELj6ELj8E21rocsparse_complex_numIdEEEvi20rocsparse_direction_NS_24const_host_device_scalarIT2_EEPKiS8_PKS5_SA_S6_PS5_21rocsparse_index_base_b.has_indirect_call, 0
	.section	.AMDGPU.csdata,"",@progbits
; Kernel info:
; codeLenInByte = 3560
; TotalNumSgprs: 22
; NumVgprs: 94
; NumAgprs: 0
; TotalNumVgprs: 94
; ScratchSize: 0
; MemoryBound: 1
; FloatMode: 240
; IeeeMode: 1
; LDSByteSize: 0 bytes/workgroup (compile time only)
; SGPRBlocks: 2
; VGPRBlocks: 11
; NumSGPRsForWavesPerEU: 22
; NumVGPRsForWavesPerEU: 94
; AccumOffset: 96
; Occupancy: 5
; WaveLimiterHint : 1
; COMPUTE_PGM_RSRC2:SCRATCH_EN: 0
; COMPUTE_PGM_RSRC2:USER_SGPR: 2
; COMPUTE_PGM_RSRC2:TRAP_HANDLER: 0
; COMPUTE_PGM_RSRC2:TGID_X_EN: 1
; COMPUTE_PGM_RSRC2:TGID_Y_EN: 0
; COMPUTE_PGM_RSRC2:TGID_Z_EN: 0
; COMPUTE_PGM_RSRC2:TIDIG_COMP_CNT: 0
; COMPUTE_PGM_RSRC3_GFX90A:ACCUM_OFFSET: 23
; COMPUTE_PGM_RSRC3_GFX90A:TG_SPLIT: 0
	.section	.text._ZN9rocsparseL19gebsrmvn_4xn_kernelILj128ELj6ELj16E21rocsparse_complex_numIdEEEvi20rocsparse_direction_NS_24const_host_device_scalarIT2_EEPKiS8_PKS5_SA_S6_PS5_21rocsparse_index_base_b,"axG",@progbits,_ZN9rocsparseL19gebsrmvn_4xn_kernelILj128ELj6ELj16E21rocsparse_complex_numIdEEEvi20rocsparse_direction_NS_24const_host_device_scalarIT2_EEPKiS8_PKS5_SA_S6_PS5_21rocsparse_index_base_b,comdat
	.globl	_ZN9rocsparseL19gebsrmvn_4xn_kernelILj128ELj6ELj16E21rocsparse_complex_numIdEEEvi20rocsparse_direction_NS_24const_host_device_scalarIT2_EEPKiS8_PKS5_SA_S6_PS5_21rocsparse_index_base_b ; -- Begin function _ZN9rocsparseL19gebsrmvn_4xn_kernelILj128ELj6ELj16E21rocsparse_complex_numIdEEEvi20rocsparse_direction_NS_24const_host_device_scalarIT2_EEPKiS8_PKS5_SA_S6_PS5_21rocsparse_index_base_b
	.p2align	8
	.type	_ZN9rocsparseL19gebsrmvn_4xn_kernelILj128ELj6ELj16E21rocsparse_complex_numIdEEEvi20rocsparse_direction_NS_24const_host_device_scalarIT2_EEPKiS8_PKS5_SA_S6_PS5_21rocsparse_index_base_b,@function
_ZN9rocsparseL19gebsrmvn_4xn_kernelILj128ELj6ELj16E21rocsparse_complex_numIdEEEvi20rocsparse_direction_NS_24const_host_device_scalarIT2_EEPKiS8_PKS5_SA_S6_PS5_21rocsparse_index_base_b: ; @_ZN9rocsparseL19gebsrmvn_4xn_kernelILj128ELj6ELj16E21rocsparse_complex_numIdEEEvi20rocsparse_direction_NS_24const_host_device_scalarIT2_EEPKiS8_PKS5_SA_S6_PS5_21rocsparse_index_base_b
; %bb.0:
	s_load_dwordx2 s[4:5], s[0:1], 0x8
	s_load_dwordx2 s[6:7], s[0:1], 0x38
	;; [unrolled: 1-line block ×3, first 2 shown]
	s_add_u32 s3, s0, 8
	s_addc_u32 s8, s1, 0
	s_add_u32 s9, s0, 56
	s_addc_u32 s10, s1, 0
	s_waitcnt lgkmcnt(0)
	s_bitcmp1_b32 s13, 0
	s_cselect_b32 s5, s8, s5
	s_cselect_b32 s3, s3, s4
	v_mov_b32_e32 v2, s3
	v_mov_b32_e32 v3, s5
	flat_load_dwordx4 v[2:5], v[2:3]
	s_cselect_b32 s3, s10, s7
	s_cselect_b32 s4, s9, s6
	v_mov_b32_e32 v6, s4
	v_mov_b32_e32 v7, s3
	flat_load_dwordx4 v[6:9], v[6:7]
	s_waitcnt vmcnt(0) lgkmcnt(0)
	v_cmp_eq_f64_e32 vcc, 0, v[2:3]
	v_cmp_eq_f64_e64 s[4:5], 0, v[4:5]
	s_and_b64 s[8:9], vcc, s[4:5]
	s_mov_b64 s[4:5], -1
	s_and_saveexec_b64 s[6:7], s[8:9]
; %bb.1:
	v_cmp_neq_f64_e32 vcc, 1.0, v[6:7]
	v_cmp_neq_f64_e64 s[4:5], 0, v[8:9]
	s_or_b64 s[4:5], vcc, s[4:5]
	s_orn2_b64 s[4:5], s[4:5], exec
; %bb.2:
	s_or_b64 exec, exec, s[6:7]
	s_and_saveexec_b64 s[6:7], s[4:5]
	s_cbranch_execz .LBB133_21
; %bb.3:
	s_load_dwordx2 s[14:15], s[0:1], 0x0
	v_lshrrev_b32_e32 v1, 4, v0
	v_lshl_or_b32 v22, s2, 3, v1
	s_waitcnt lgkmcnt(0)
	v_cmp_gt_i32_e32 vcc, s14, v22
	s_and_b64 exec, exec, vcc
	s_cbranch_execz .LBB133_21
; %bb.4:
	s_load_dwordx8 s[4:11], s[0:1], 0x18
	v_ashrrev_i32_e32 v23, 31, v22
	s_cmp_lg_u32 s15, 0
	s_waitcnt lgkmcnt(0)
	v_lshl_add_u64 v[10:11], v[22:23], 2, s[4:5]
	global_load_dwordx2 v[10:11], v[10:11], off
	v_and_b32_e32 v23, 15, v0
	s_waitcnt vmcnt(0)
	v_subrev_u32_e32 v0, s12, v10
	v_subrev_u32_e32 v46, s12, v11
	v_add_u32_e32 v30, v0, v23
	v_cmp_lt_i32_e64 s[2:3], v30, v46
	s_cbranch_scc0 .LBB133_10
; %bb.5:
	v_mov_b64_e32 v[26:27], 0
	v_mov_b64_e32 v[16:17], 0
	;; [unrolled: 1-line block ×8, first 2 shown]
	s_and_saveexec_b64 s[4:5], s[2:3]
	s_cbranch_execz .LBB133_9
; %bb.6:
	v_mad_u64_u32 v[38:39], s[14:15], v30, 24, 20
	v_mov_b64_e32 v[26:27], 0
	s_mov_b64 s[14:15], 0
	v_mov_b32_e32 v41, 0
	v_mov_b32_e32 v42, v30
	v_mov_b64_e32 v[16:17], 0
	v_mov_b64_e32 v[32:33], 0
	;; [unrolled: 1-line block ×7, first 2 shown]
.LBB133_7:                              ; =>This Inner Loop Header: Depth=1
	v_ashrrev_i32_e32 v43, 31, v42
	v_subrev_u32_e32 v40, 20, v38
	v_lshl_add_u64 v[10:11], v[42:43], 2, s[6:7]
	v_lshl_add_u64 v[12:13], v[40:41], 4, s[8:9]
	global_load_dword v14, v[10:11], off
	global_load_dwordx4 v[48:51], v[12:13], off offset:48
	global_load_dwordx4 v[52:55], v[12:13], off offset:32
	;; [unrolled: 1-line block ×3, first 2 shown]
	global_load_dwordx4 v[56:59], v[12:13], off
	global_load_dwordx4 v[60:63], v[12:13], off offset:112
	global_load_dwordx4 v[64:67], v[12:13], off offset:96
	;; [unrolled: 1-line block ×4, first 2 shown]
	v_mov_b32_e32 v45, v41
	v_mov_b32_e32 v39, v41
	v_lshl_add_u64 v[84:85], v[38:39], 4, s[8:9]
	global_load_dwordx4 v[10:13], v[84:85], off offset:16
	v_add_u32_e32 v40, -12, v38
	v_lshl_add_u64 v[86:87], v[40:41], 4, s[8:9]
	v_add_u32_e32 v42, 16, v42
	v_cmp_ge_i32_e32 vcc, v42, v46
	s_or_b64 s[14:15], vcc, s[14:15]
	s_waitcnt vmcnt(9)
	v_subrev_u32_e32 v14, s12, v14
	v_mul_lo_u32 v44, v14, 6
	v_lshl_add_u64 v[14:15], v[44:45], 4, s[10:11]
	global_load_dwordx4 v[76:79], v[14:15], off
	global_load_dwordx4 v[80:83], v[14:15], off offset:16
	v_add_u32_e32 v40, 2, v44
	s_waitcnt vmcnt(1)
	v_fmac_f64_e32 v[16:17], v[56:57], v[76:77]
	v_fmac_f64_e32 v[26:27], v[58:59], v[76:77]
	;; [unrolled: 1-line block ×4, first 2 shown]
	v_fma_f64 v[88:89], -v[58:59], v[78:79], v[16:17]
	v_fmac_f64_e32 v[26:27], v[56:57], v[78:79]
	v_fma_f64 v[90:91], -v[20:21], v[78:79], v[36:37]
	v_fmac_f64_e32 v[28:29], v[18:19], v[78:79]
	v_fmac_f64_e32 v[34:35], v[52:53], v[76:77]
	;; [unrolled: 1-line block ×5, first 2 shown]
	s_waitcnt vmcnt(0)
	v_fmac_f64_e32 v[88:89], v[72:73], v[80:81]
	v_fmac_f64_e32 v[26:27], v[74:75], v[80:81]
	v_lshl_add_u64 v[76:77], v[40:41], 4, s[10:11]
	v_fmac_f64_e32 v[90:91], v[68:69], v[80:81]
	v_fmac_f64_e32 v[28:29], v[70:71], v[80:81]
	global_load_dwordx4 v[14:17], v[84:85], off
	global_load_dwordx4 v[18:21], v[84:85], off offset:32
	global_load_dwordx4 v[56:59], v[84:85], off offset:48
	v_fma_f64 v[84:85], -v[54:55], v[78:79], v[34:35]
	v_fmac_f64_e32 v[24:25], v[52:53], v[78:79]
	global_load_dwordx4 v[34:37], v[86:87], off offset:32
	v_fma_f64 v[32:33], -v[50:51], v[78:79], v[32:33]
	v_fmac_f64_e32 v[0:1], v[48:49], v[78:79]
	global_load_dwordx4 v[48:51], v[86:87], off offset:16
	global_load_dwordx4 v[52:55], v[86:87], off
	v_fma_f64 v[88:89], -v[74:75], v[82:83], v[88:89]
	v_fmac_f64_e32 v[26:27], v[72:73], v[82:83]
	global_load_dwordx4 v[72:75], v[86:87], off offset:48
	v_fma_f64 v[86:87], -v[70:71], v[82:83], v[90:91]
	v_fmac_f64_e32 v[28:29], v[68:69], v[82:83]
	global_load_dwordx4 v[68:71], v[76:77], off
	v_add_u32_e32 v40, -8, v38
	v_fmac_f64_e32 v[84:85], v[64:65], v[80:81]
	v_fmac_f64_e32 v[24:25], v[66:67], v[80:81]
	v_lshl_add_u64 v[90:91], v[40:41], 4, s[8:9]
	v_fmac_f64_e32 v[32:33], v[60:61], v[80:81]
	v_fmac_f64_e32 v[0:1], v[62:63], v[80:81]
	v_fma_f64 v[84:85], -v[66:67], v[82:83], v[84:85]
	v_fmac_f64_e32 v[24:25], v[64:65], v[82:83]
	global_load_dwordx4 v[64:67], v[76:77], off offset:16
	v_fma_f64 v[80:81], -v[62:63], v[82:83], v[32:33]
	v_fmac_f64_e32 v[0:1], v[60:61], v[82:83]
	global_load_dwordx4 v[60:63], v[90:91], off
	global_load_dwordx4 v[76:79], v[90:91], off offset:16
	v_add_u32_e32 v40, -4, v38
	v_lshl_add_u64 v[92:93], v[40:41], 4, s[8:9]
	v_add_u32_e32 v40, 4, v44
	v_add_u32_e32 v38, 0x180, v38
	s_waitcnt vmcnt(3)
	v_fmac_f64_e32 v[88:89], v[52:53], v[68:69]
	v_fmac_f64_e32 v[26:27], v[54:55], v[68:69]
	;; [unrolled: 1-line block ×4, first 2 shown]
	v_fma_f64 v[44:45], -v[54:55], v[70:71], v[88:89]
	v_fmac_f64_e32 v[26:27], v[52:53], v[70:71]
	global_load_dwordx4 v[52:55], v[90:91], off offset:32
	v_fma_f64 v[86:87], -v[50:51], v[70:71], v[86:87]
	v_fmac_f64_e32 v[28:29], v[48:49], v[70:71]
	global_load_dwordx4 v[48:51], v[90:91], off offset:48
	v_fmac_f64_e32 v[84:85], v[34:35], v[68:69]
	v_fmac_f64_e32 v[24:25], v[36:37], v[68:69]
	;; [unrolled: 1-line block ×4, first 2 shown]
	v_fma_f64 v[36:37], -v[36:37], v[70:71], v[84:85]
	v_fmac_f64_e32 v[24:25], v[34:35], v[70:71]
	global_load_dwordx4 v[32:35], v[92:93], off offset:48
	v_fma_f64 v[84:85], -v[74:75], v[70:71], v[80:81]
	v_fmac_f64_e32 v[0:1], v[72:73], v[70:71]
	global_load_dwordx4 v[68:71], v[92:93], off offset:32
	global_load_dwordx4 v[72:75], v[92:93], off offset:16
	global_load_dwordx4 v[80:83], v[92:93], off
	s_waitcnt vmcnt(7)
	v_fmac_f64_e32 v[44:45], v[60:61], v[64:65]
	v_fmac_f64_e32 v[26:27], v[62:63], v[64:65]
	v_lshl_add_u64 v[88:89], v[40:41], 4, s[10:11]
	s_waitcnt vmcnt(6)
	v_fmac_f64_e32 v[86:87], v[76:77], v[64:65]
	v_fmac_f64_e32 v[28:29], v[78:79], v[64:65]
	v_fma_f64 v[44:45], -v[62:63], v[66:67], v[44:45]
	v_fmac_f64_e32 v[26:27], v[60:61], v[66:67]
	v_fma_f64 v[86:87], -v[78:79], v[66:67], v[86:87]
	v_fmac_f64_e32 v[28:29], v[76:77], v[66:67]
	global_load_dwordx4 v[60:63], v[88:89], off
	global_load_dwordx4 v[76:79], v[88:89], off offset:16
	s_waitcnt vmcnt(7)
	v_fmac_f64_e32 v[36:37], v[52:53], v[64:65]
	v_fmac_f64_e32 v[24:25], v[54:55], v[64:65]
	v_fma_f64 v[36:37], -v[54:55], v[66:67], v[36:37]
	s_waitcnt vmcnt(6)
	v_fmac_f64_e32 v[84:85], v[48:49], v[64:65]
	v_fmac_f64_e32 v[0:1], v[50:51], v[64:65]
	;; [unrolled: 1-line block ×3, first 2 shown]
	v_fma_f64 v[50:51], -v[50:51], v[66:67], v[84:85]
	v_fmac_f64_e32 v[0:1], v[48:49], v[66:67]
	s_waitcnt vmcnt(1)
	v_fmac_f64_e32 v[44:45], v[80:81], v[60:61]
	v_fmac_f64_e32 v[26:27], v[82:83], v[60:61]
	;; [unrolled: 1-line block ×8, first 2 shown]
	v_fma_f64 v[44:45], -v[82:83], v[62:63], v[44:45]
	v_fmac_f64_e32 v[26:27], v[80:81], v[62:63]
	v_fma_f64 v[48:49], -v[74:75], v[62:63], v[86:87]
	v_fmac_f64_e32 v[28:29], v[72:73], v[62:63]
	;; [unrolled: 2-line block ×4, first 2 shown]
	s_waitcnt vmcnt(0)
	v_fmac_f64_e32 v[44:45], v[14:15], v[76:77]
	v_fmac_f64_e32 v[26:27], v[16:17], v[76:77]
	;; [unrolled: 1-line block ×8, first 2 shown]
	v_fma_f64 v[16:17], -v[16:17], v[78:79], v[44:45]
	v_fmac_f64_e32 v[26:27], v[14:15], v[78:79]
	v_fma_f64 v[36:37], -v[12:13], v[78:79], v[48:49]
	v_fmac_f64_e32 v[28:29], v[10:11], v[78:79]
	;; [unrolled: 2-line block ×4, first 2 shown]
	s_andn2_b64 exec, exec, s[14:15]
	s_cbranch_execnz .LBB133_7
; %bb.8:
	s_or_b64 exec, exec, s[14:15]
.LBB133_9:
	s_or_b64 exec, exec, s[4:5]
	s_cbranch_execz .LBB133_11
	s_branch .LBB133_16
.LBB133_10:
                                        ; implicit-def: $vgpr26_vgpr27
                                        ; implicit-def: $vgpr16_vgpr17
                                        ; implicit-def: $vgpr32_vgpr33
                                        ; implicit-def: $vgpr0_vgpr1
                                        ; implicit-def: $vgpr34_vgpr35
                                        ; implicit-def: $vgpr24_vgpr25
                                        ; implicit-def: $vgpr36_vgpr37
                                        ; implicit-def: $vgpr28_vgpr29
.LBB133_11:
	v_mov_b64_e32 v[26:27], 0
	v_mov_b64_e32 v[16:17], 0
	;; [unrolled: 1-line block ×8, first 2 shown]
	s_and_saveexec_b64 s[4:5], s[2:3]
	s_cbranch_execz .LBB133_15
; %bb.12:
	v_mad_u64_u32 v[10:11], s[2:3], v30, 24, 23
	v_mov_b64_e32 v[26:27], 0
	s_mov_b64 s[2:3], 0
	v_mov_b32_e32 v13, 0
	v_mov_b64_e32 v[16:17], 0
	v_mov_b64_e32 v[32:33], 0
	;; [unrolled: 1-line block ×7, first 2 shown]
.LBB133_13:                             ; =>This Inner Loop Header: Depth=1
	v_ashrrev_i32_e32 v31, 31, v30
	v_subrev_u32_e32 v12, 23, v10
	v_add_u32_e32 v20, -11, v10
	v_add_u32_e32 v18, -5, v10
	v_mov_b32_e32 v21, v13
	v_mov_b32_e32 v19, v13
	;; [unrolled: 1-line block ×3, first 2 shown]
	v_lshl_add_u64 v[64:65], v[30:31], 2, s[6:7]
	v_lshl_add_u64 v[76:77], v[12:13], 4, s[8:9]
	;; [unrolled: 1-line block ×5, first 2 shown]
	global_load_dword v11, v[64:65], off
	global_load_dwordx4 v[18:21], v[76:77], off offset:16
	global_load_dwordx4 v[38:41], v[76:77], off
	global_load_dwordx4 v[42:45], v[76:77], off offset:112
	global_load_dwordx4 v[48:51], v[76:77], off offset:96
	global_load_dwordx4 v[52:55], v[66:67], off
	global_load_dwordx4 v[56:59], v[68:69], off
	global_load_dwordx4 v[60:63], v[76:77], off offset:48
	v_mov_b32_e32 v15, v13
	v_add_u32_e32 v12, -10, v10
	v_add_u32_e32 v30, 16, v30
	v_cmp_ge_i32_e32 vcc, v30, v46
	s_or_b64 s[2:3], vcc, s[2:3]
	s_waitcnt vmcnt(7)
	v_subrev_u32_e32 v11, s12, v11
	v_mul_lo_u32 v14, v11, 6
	v_lshl_add_u64 v[72:73], v[14:15], 4, s[10:11]
	global_load_dwordx4 v[64:67], v[72:73], off
	global_load_dwordx4 v[68:71], v[72:73], off offset:16
	s_waitcnt vmcnt(1)
	v_fmac_f64_e32 v[16:17], v[38:39], v[64:65]
	v_fmac_f64_e32 v[26:27], v[40:41], v[64:65]
	;; [unrolled: 1-line block ×5, first 2 shown]
	v_fma_f64 v[16:17], -v[40:41], v[66:67], v[16:17]
	v_fmac_f64_e32 v[26:27], v[38:39], v[66:67]
	global_load_dwordx4 v[38:41], v[76:77], off offset:32
	v_fma_f64 v[80:81], -v[50:51], v[66:67], v[36:37]
	v_fmac_f64_e32 v[28:29], v[48:49], v[66:67]
	global_load_dwordx4 v[48:51], v[76:77], off offset:80
	global_load_dwordx4 v[72:75], v[76:77], off offset:64
	v_fma_f64 v[76:77], -v[54:55], v[66:67], v[34:35]
	v_lshl_add_u64 v[34:35], v[12:13], 4, s[8:9]
	v_add_u32_e32 v12, -4, v10
	v_fmac_f64_e32 v[32:33], v[56:57], v[64:65]
	v_fmac_f64_e32 v[24:25], v[54:55], v[64:65]
	global_load_dwordx4 v[34:37], v[34:35], off
	v_fmac_f64_e32 v[0:1], v[58:59], v[64:65]
	v_fma_f64 v[64:65], -v[58:59], v[66:67], v[32:33]
	v_lshl_add_u64 v[32:33], v[12:13], 4, s[8:9]
	v_fmac_f64_e32 v[24:25], v[52:53], v[66:67]
	global_load_dwordx4 v[52:55], v[32:33], off
	v_add_u32_e32 v12, 2, v14
	v_lshl_add_u64 v[32:33], v[12:13], 4, s[10:11]
	v_add_u32_e32 v12, -15, v10
	s_waitcnt vmcnt(5)
	v_fmac_f64_e32 v[16:17], v[18:19], v[68:69]
	v_fmac_f64_e32 v[26:27], v[20:21], v[68:69]
	;; [unrolled: 1-line block ×3, first 2 shown]
	v_fma_f64 v[20:21], -v[20:21], v[70:71], v[16:17]
	v_fmac_f64_e32 v[26:27], v[18:19], v[70:71]
	global_load_dwordx4 v[16:19], v[32:33], off
	global_load_dwordx4 v[56:59], v[32:33], off offset:16
	v_fmac_f64_e32 v[80:81], v[42:43], v[68:69]
	v_fmac_f64_e32 v[28:29], v[44:45], v[68:69]
	v_lshl_add_u64 v[32:33], v[12:13], 4, s[8:9]
	v_fma_f64 v[80:81], -v[44:45], v[70:71], v[80:81]
	v_fmac_f64_e32 v[28:29], v[42:43], v[70:71]
	global_load_dwordx4 v[42:45], v[32:33], off
	v_add_u32_e32 v12, -9, v10
	v_lshl_add_u64 v[32:33], v[12:13], 4, s[8:9]
	v_add_u32_e32 v12, -3, v10
	s_waitcnt vmcnt(4)
	v_fmac_f64_e32 v[76:77], v[34:35], v[68:69]
	v_fmac_f64_e32 v[24:25], v[36:37], v[68:69]
	v_fma_f64 v[76:77], -v[36:37], v[70:71], v[76:77]
	v_lshl_add_u64 v[36:37], v[12:13], 4, s[8:9]
	v_fmac_f64_e32 v[24:25], v[34:35], v[70:71]
	s_waitcnt vmcnt(3)
	v_fmac_f64_e32 v[64:65], v[52:53], v[68:69]
	v_fmac_f64_e32 v[0:1], v[54:55], v[68:69]
	global_load_dwordx4 v[32:35], v[32:33], off
	v_fma_f64 v[68:69], -v[54:55], v[70:71], v[64:65]
	v_fmac_f64_e32 v[0:1], v[52:53], v[70:71]
	global_load_dwordx4 v[52:55], v[36:37], off
	v_add_u32_e32 v12, -14, v10
	v_lshl_add_u64 v[36:37], v[12:13], 4, s[8:9]
	v_add_u32_e32 v12, -8, v10
	s_waitcnt vmcnt(4)
	v_fmac_f64_e32 v[20:21], v[38:39], v[16:17]
	global_load_dwordx4 v[64:67], v[36:37], off
	v_fmac_f64_e32 v[26:27], v[40:41], v[16:17]
	v_fma_f64 v[70:71], -v[40:41], v[18:19], v[20:21]
	v_lshl_add_u64 v[20:21], v[12:13], 4, s[8:9]
	v_add_u32_e32 v12, -2, v10
	v_fmac_f64_e32 v[26:27], v[38:39], v[18:19]
	v_lshl_add_u64 v[40:41], v[12:13], 4, s[8:9]
	global_load_dwordx4 v[36:39], v[20:21], off
	s_waitcnt vmcnt(4)
	v_fmac_f64_e32 v[28:29], v[44:45], v[16:17]
	v_fmac_f64_e32 v[80:81], v[42:43], v[16:17]
	v_fmac_f64_e32 v[28:29], v[42:43], v[18:19]
	global_load_dwordx4 v[40:43], v[40:41], off
	v_add_u32_e32 v12, 4, v14
	v_lshl_add_u64 v[14:15], v[12:13], 4, s[10:11]
	v_add_u32_e32 v12, -13, v10
	v_fma_f64 v[44:45], -v[44:45], v[18:19], v[80:81]
	v_fmac_f64_e32 v[26:27], v[62:63], v[56:57]
	v_fmac_f64_e32 v[70:71], v[60:61], v[56:57]
	;; [unrolled: 1-line block ×3, first 2 shown]
	v_fma_f64 v[70:71], -v[62:63], v[58:59], v[70:71]
	s_waitcnt vmcnt(4)
	v_fmac_f64_e32 v[76:77], v[32:33], v[16:17]
	v_fmac_f64_e32 v[24:25], v[34:35], v[16:17]
	v_fma_f64 v[76:77], -v[34:35], v[18:19], v[76:77]
	s_waitcnt vmcnt(3)
	v_fmac_f64_e32 v[68:69], v[52:53], v[16:17]
	v_fmac_f64_e32 v[0:1], v[54:55], v[16:17]
	;; [unrolled: 1-line block ×3, first 2 shown]
	global_load_dwordx4 v[32:35], v[14:15], off
	v_fma_f64 v[68:69], -v[54:55], v[18:19], v[68:69]
	v_fmac_f64_e32 v[0:1], v[52:53], v[18:19]
	global_load_dwordx4 v[18:21], v[14:15], off offset:16
	v_lshl_add_u64 v[14:15], v[12:13], 4, s[8:9]
	v_add_u32_e32 v12, -7, v10
	v_lshl_add_u64 v[52:53], v[12:13], 4, s[8:9]
	v_add_u32_e32 v12, -1, v10
	;; [unrolled: 2-line block ×3, first 2 shown]
	s_waitcnt vmcnt(4)
	v_fmac_f64_e32 v[44:45], v[64:65], v[56:57]
	global_load_dwordx4 v[14:17], v[14:15], off
	v_fma_f64 v[80:81], -v[66:67], v[58:59], v[44:45]
	global_load_dwordx4 v[52:55], v[52:53], off
	v_lshl_add_u64 v[44:45], v[12:13], 4, s[8:9]
	global_load_dwordx4 v[60:63], v[60:61], off
	v_add_u32_e32 v12, -6, v10
	s_waitcnt vmcnt(6)
	v_fmac_f64_e32 v[24:25], v[38:39], v[56:57]
	v_fmac_f64_e32 v[28:29], v[66:67], v[56:57]
	;; [unrolled: 1-line block ×4, first 2 shown]
	v_lshl_add_u64 v[36:37], v[12:13], 4, s[8:9]
	s_waitcnt vmcnt(5)
	v_fmac_f64_e32 v[68:69], v[40:41], v[56:57]
	v_fmac_f64_e32 v[0:1], v[42:43], v[56:57]
	;; [unrolled: 1-line block ×3, first 2 shown]
	v_fma_f64 v[76:77], -v[38:39], v[58:59], v[76:77]
	global_load_dwordx4 v[64:67], v[44:45], off
	v_fma_f64 v[56:57], -v[42:43], v[58:59], v[68:69]
	v_fmac_f64_e32 v[0:1], v[40:41], v[58:59]
	global_load_dwordx4 v[38:41], v[36:37], off
	global_load_dwordx4 v[42:45], v[78:79], off
	v_add_u32_e32 v10, 0x180, v10
	s_waitcnt vmcnt(7)
	v_fmac_f64_e32 v[70:71], v[72:73], v[32:33]
	v_fmac_f64_e32 v[26:27], v[74:75], v[32:33]
	v_fma_f64 v[36:37], -v[74:75], v[34:35], v[70:71]
	v_fmac_f64_e32 v[26:27], v[72:73], v[34:35]
	s_waitcnt vmcnt(6)
	v_fmac_f64_e32 v[36:37], v[48:49], v[18:19]
	v_fmac_f64_e32 v[26:27], v[50:51], v[18:19]
	;; [unrolled: 1-line block ×3, first 2 shown]
	s_waitcnt vmcnt(5)
	v_fmac_f64_e32 v[80:81], v[14:15], v[32:33]
	v_fmac_f64_e32 v[28:29], v[16:17], v[32:33]
	s_waitcnt vmcnt(4)
	v_fmac_f64_e32 v[76:77], v[52:53], v[32:33]
	v_fmac_f64_e32 v[24:25], v[54:55], v[32:33]
	;; [unrolled: 3-line block ×3, first 2 shown]
	v_fma_f64 v[58:59], -v[16:17], v[34:35], v[80:81]
	v_fmac_f64_e32 v[28:29], v[14:15], v[34:35]
	v_fma_f64 v[14:15], -v[54:55], v[34:35], v[76:77]
	v_fmac_f64_e32 v[24:25], v[52:53], v[34:35]
	v_fma_f64 v[32:33], -v[62:63], v[34:35], v[56:57]
	v_fmac_f64_e32 v[0:1], v[60:61], v[34:35]
	v_fma_f64 v[16:17], -v[50:51], v[20:21], v[36:37]
	s_waitcnt vmcnt(2)
	v_fmac_f64_e32 v[58:59], v[64:65], v[18:19]
	v_fmac_f64_e32 v[28:29], v[66:67], v[18:19]
	s_waitcnt vmcnt(1)
	v_fmac_f64_e32 v[14:15], v[38:39], v[18:19]
	v_fmac_f64_e32 v[24:25], v[40:41], v[18:19]
	;; [unrolled: 3-line block ×3, first 2 shown]
	v_fma_f64 v[36:37], -v[66:67], v[20:21], v[58:59]
	v_fmac_f64_e32 v[28:29], v[64:65], v[20:21]
	v_fma_f64 v[34:35], -v[40:41], v[20:21], v[14:15]
	v_fmac_f64_e32 v[24:25], v[38:39], v[20:21]
	;; [unrolled: 2-line block ×3, first 2 shown]
	s_andn2_b64 exec, exec, s[2:3]
	s_cbranch_execnz .LBB133_13
; %bb.14:
	s_or_b64 exec, exec, s[2:3]
.LBB133_15:
	s_or_b64 exec, exec, s[4:5]
.LBB133_16:
	v_mov_b32_dpp v14, v26 row_shr:1 row_mask:0xf bank_mask:0xf
	v_mov_b32_dpp v15, v27 row_shr:1 row_mask:0xf bank_mask:0xf
	;; [unrolled: 1-line block ×4, first 2 shown]
	v_add_f64 v[14:15], v[26:27], v[14:15]
	v_add_f64 v[10:11], v[16:17], v[10:11]
	v_cmp_eq_u32_e32 vcc, 15, v23
	v_mov_b32_dpp v16, v14 row_shr:2 row_mask:0xf bank_mask:0xf
	v_mov_b32_dpp v17, v15 row_shr:2 row_mask:0xf bank_mask:0xf
	v_add_f64 v[14:15], v[14:15], v[16:17]
	v_mov_b32_dpp v12, v10 row_shr:2 row_mask:0xf bank_mask:0xf
	v_mov_b32_dpp v13, v11 row_shr:2 row_mask:0xf bank_mask:0xf
	;; [unrolled: 1-line block ×4, first 2 shown]
	v_add_f64 v[14:15], v[14:15], v[16:17]
	v_mov_b32_dpp v16, v36 row_shr:1 row_mask:0xf bank_mask:0xf
	v_mov_b32_dpp v17, v37 row_shr:1 row_mask:0xf bank_mask:0xf
	v_add_f64 v[16:17], v[36:37], v[16:17]
	v_add_f64 v[10:11], v[10:11], v[12:13]
	v_mov_b32_dpp v18, v14 row_shr:8 row_mask:0xf bank_mask:0xc
	v_mov_b32_dpp v20, v16 row_shr:2 row_mask:0xf bank_mask:0xf
	;; [unrolled: 1-line block ×3, first 2 shown]
	v_add_f64 v[16:17], v[16:17], v[20:21]
	v_mov_b32_dpp v12, v10 row_shr:4 row_mask:0xf bank_mask:0xe
	v_mov_b32_dpp v13, v11 row_shr:4 row_mask:0xf bank_mask:0xe
	;; [unrolled: 1-line block ×4, first 2 shown]
	v_add_f64 v[20:21], v[16:17], v[20:21]
	v_mov_b32_dpp v16, v28 row_shr:1 row_mask:0xf bank_mask:0xf
	v_mov_b32_dpp v17, v29 row_shr:1 row_mask:0xf bank_mask:0xf
	v_add_f64 v[16:17], v[28:29], v[16:17]
	v_add_f64 v[10:11], v[10:11], v[12:13]
	v_mov_b32_dpp v19, v15 row_shr:8 row_mask:0xf bank_mask:0xc
	v_mov_b32_dpp v28, v16 row_shr:2 row_mask:0xf bank_mask:0xf
	;; [unrolled: 1-line block ×3, first 2 shown]
	v_add_f64 v[16:17], v[16:17], v[28:29]
	v_mov_b32_dpp v12, v10 row_shr:8 row_mask:0xf bank_mask:0xc
	v_mov_b32_dpp v13, v11 row_shr:8 row_mask:0xf bank_mask:0xc
	;; [unrolled: 1-line block ×4, first 2 shown]
	v_add_f64 v[28:29], v[16:17], v[28:29]
	v_mov_b32_dpp v16, v34 row_shr:1 row_mask:0xf bank_mask:0xf
	v_mov_b32_dpp v17, v35 row_shr:1 row_mask:0xf bank_mask:0xf
	v_add_f64 v[16:17], v[34:35], v[16:17]
	v_mov_b32_dpp v26, v20 row_shr:8 row_mask:0xf bank_mask:0xc
	v_mov_b32_dpp v27, v21 row_shr:8 row_mask:0xf bank_mask:0xc
	v_mov_b32_dpp v34, v16 row_shr:2 row_mask:0xf bank_mask:0xf
	v_mov_b32_dpp v35, v17 row_shr:2 row_mask:0xf bank_mask:0xf
	v_add_f64 v[16:17], v[16:17], v[34:35]
	v_mov_b32_dpp v30, v28 row_shr:8 row_mask:0xf bank_mask:0xc
	v_mov_b32_dpp v31, v29 row_shr:8 row_mask:0xf bank_mask:0xc
	;; [unrolled: 5-line block ×3, first 2 shown]
	v_add_f64 v[16:17], v[24:25], v[16:17]
	v_mov_b32_dpp v36, v34 row_shr:8 row_mask:0xf bank_mask:0xc
	v_mov_b32_dpp v37, v35 row_shr:8 row_mask:0xf bank_mask:0xc
	;; [unrolled: 1-line block ×4, first 2 shown]
	v_add_f64 v[16:17], v[16:17], v[24:25]
	s_nop 1
	v_mov_b32_dpp v24, v16 row_shr:4 row_mask:0xf bank_mask:0xe
	v_mov_b32_dpp v25, v17 row_shr:4 row_mask:0xf bank_mask:0xe
	v_add_f64 v[38:39], v[16:17], v[24:25]
	v_mov_b32_dpp v16, v32 row_shr:1 row_mask:0xf bank_mask:0xf
	v_mov_b32_dpp v17, v33 row_shr:1 row_mask:0xf bank_mask:0xf
	v_add_f64 v[16:17], v[32:33], v[16:17]
	v_mov_b32_dpp v40, v38 row_shr:8 row_mask:0xf bank_mask:0xc
	v_mov_b32_dpp v41, v39 row_shr:8 row_mask:0xf bank_mask:0xc
	;; [unrolled: 1-line block ×4, first 2 shown]
	v_add_f64 v[16:17], v[16:17], v[24:25]
	s_nop 1
	v_mov_b32_dpp v24, v16 row_shr:4 row_mask:0xf bank_mask:0xe
	v_mov_b32_dpp v25, v17 row_shr:4 row_mask:0xf bank_mask:0xe
	v_add_f64 v[32:33], v[16:17], v[24:25]
	v_mov_b32_dpp v16, v0 row_shr:1 row_mask:0xf bank_mask:0xf
	v_mov_b32_dpp v17, v1 row_shr:1 row_mask:0xf bank_mask:0xf
	v_add_f64 v[0:1], v[0:1], v[16:17]
	v_mov_b32_dpp v42, v32 row_shr:8 row_mask:0xf bank_mask:0xc
	v_mov_b32_dpp v43, v33 row_shr:8 row_mask:0xf bank_mask:0xc
	;; [unrolled: 1-line block ×4, first 2 shown]
	v_add_f64 v[0:1], v[0:1], v[16:17]
	s_nop 1
	v_mov_b32_dpp v16, v0 row_shr:4 row_mask:0xf bank_mask:0xe
	v_mov_b32_dpp v17, v1 row_shr:4 row_mask:0xf bank_mask:0xe
	v_add_f64 v[44:45], v[0:1], v[16:17]
	s_nop 1
	v_mov_b32_dpp v46, v44 row_shr:8 row_mask:0xf bank_mask:0xc
	v_mov_b32_dpp v47, v45 row_shr:8 row_mask:0xf bank_mask:0xc
	s_and_b64 exec, exec, vcc
	s_cbranch_execz .LBB133_21
; %bb.17:
	s_load_dwordx2 s[2:3], s[0:1], 0x48
	v_cmp_eq_f64_e32 vcc, 0, v[6:7]
	v_cmp_eq_f64_e64 s[0:1], 0, v[8:9]
	v_add_f64 v[16:17], v[10:11], v[12:13]
	v_add_f64 v[24:25], v[14:15], v[18:19]
	;; [unrolled: 1-line block ×8, first 2 shown]
	s_and_b64 s[0:1], vcc, s[0:1]
	s_and_saveexec_b64 s[4:5], s[0:1]
	s_xor_b64 s[0:1], exec, s[4:5]
	s_cbranch_execz .LBB133_19
; %bb.18:
	v_mul_f64 v[6:7], v[24:25], -v[4:5]
	v_mul_f64 v[8:9], v[2:3], v[24:25]
	v_fmac_f64_e32 v[6:7], v[2:3], v[16:17]
	v_fmac_f64_e32 v[8:9], v[4:5], v[16:17]
	v_lshlrev_b32_e32 v16, 2, v22
	v_ashrrev_i32_e32 v17, 31, v16
	s_waitcnt lgkmcnt(0)
	v_lshl_add_u64 v[16:17], v[16:17], 4, s[2:3]
	global_store_dwordx4 v[16:17], v[6:9], off
                                        ; implicit-def: $vgpr22
                                        ; implicit-def: $vgpr24_vgpr25
	s_nop 1
	v_mul_f64 v[6:7], v[20:21], -v[4:5]
	v_mul_f64 v[8:9], v[2:3], v[20:21]
	v_fmac_f64_e32 v[6:7], v[2:3], v[12:13]
	v_fmac_f64_e32 v[8:9], v[4:5], v[12:13]
	global_store_dwordx4 v[16:17], v[6:9], off offset:16
                                        ; implicit-def: $vgpr12_vgpr13
                                        ; implicit-def: $vgpr20_vgpr21
	s_nop 1
	v_mul_f64 v[6:7], v[18:19], -v[4:5]
	v_mul_f64 v[8:9], v[2:3], v[18:19]
	v_fmac_f64_e32 v[6:7], v[2:3], v[10:11]
	v_fmac_f64_e32 v[8:9], v[4:5], v[10:11]
	global_store_dwordx4 v[16:17], v[6:9], off offset:32
                                        ; implicit-def: $vgpr10_vgpr11
                                        ; implicit-def: $vgpr18_vgpr19
	s_nop 1
	v_mul_f64 v[6:7], v[14:15], -v[4:5]
	v_mul_f64 v[8:9], v[2:3], v[14:15]
	v_fmac_f64_e32 v[6:7], v[2:3], v[0:1]
	v_fmac_f64_e32 v[8:9], v[4:5], v[0:1]
	global_store_dwordx4 v[16:17], v[6:9], off offset:48
                                        ; implicit-def: $vgpr16_vgpr17
                                        ; implicit-def: $vgpr0_vgpr1
                                        ; implicit-def: $vgpr14_vgpr15
                                        ; implicit-def: $vgpr8_vgpr9
                                        ; implicit-def: $vgpr4_vgpr5
.LBB133_19:
	s_andn2_saveexec_b64 s[0:1], s[0:1]
	s_cbranch_execz .LBB133_21
; %bb.20:
	v_lshlrev_b32_e32 v22, 2, v22
	v_ashrrev_i32_e32 v23, 31, v22
	s_waitcnt lgkmcnt(0)
	v_lshl_add_u64 v[46:47], v[22:23], 4, s[2:3]
	global_load_dwordx4 v[26:29], v[46:47], off
	global_load_dwordx4 v[30:33], v[46:47], off offset:16
	global_load_dwordx4 v[34:37], v[46:47], off offset:32
	;; [unrolled: 1-line block ×3, first 2 shown]
	v_mul_f64 v[42:43], v[24:25], -v[4:5]
	v_mul_f64 v[22:23], v[2:3], v[24:25]
	v_mul_f64 v[24:25], v[20:21], -v[4:5]
	v_mul_f64 v[44:45], v[2:3], v[20:21]
	;; [unrolled: 2-line block ×4, first 2 shown]
	v_fmac_f64_e32 v[42:43], v[2:3], v[16:17]
	v_fmac_f64_e32 v[22:23], v[4:5], v[16:17]
	;; [unrolled: 1-line block ×8, first 2 shown]
	s_waitcnt vmcnt(3)
	v_fmac_f64_e32 v[42:43], v[6:7], v[26:27]
	v_fmac_f64_e32 v[22:23], v[8:9], v[26:27]
	s_waitcnt vmcnt(2)
	v_fmac_f64_e32 v[24:25], v[6:7], v[30:31]
	v_fmac_f64_e32 v[44:45], v[8:9], v[30:31]
	;; [unrolled: 3-line block ×4, first 2 shown]
	v_fma_f64 v[20:21], -v[8:9], v[28:29], v[42:43]
	v_fmac_f64_e32 v[22:23], v[6:7], v[28:29]
	v_fma_f64 v[42:43], -v[8:9], v[32:33], v[24:25]
	v_fmac_f64_e32 v[44:45], v[6:7], v[32:33]
	;; [unrolled: 2-line block ×4, first 2 shown]
	global_store_dwordx4 v[46:47], v[20:23], off
	global_store_dwordx4 v[46:47], v[42:45], off offset:16
	global_store_dwordx4 v[46:47], v[16:19], off offset:32
	;; [unrolled: 1-line block ×3, first 2 shown]
.LBB133_21:
	s_endpgm
	.section	.rodata,"a",@progbits
	.p2align	6, 0x0
	.amdhsa_kernel _ZN9rocsparseL19gebsrmvn_4xn_kernelILj128ELj6ELj16E21rocsparse_complex_numIdEEEvi20rocsparse_direction_NS_24const_host_device_scalarIT2_EEPKiS8_PKS5_SA_S6_PS5_21rocsparse_index_base_b
		.amdhsa_group_segment_fixed_size 0
		.amdhsa_private_segment_fixed_size 0
		.amdhsa_kernarg_size 88
		.amdhsa_user_sgpr_count 2
		.amdhsa_user_sgpr_dispatch_ptr 0
		.amdhsa_user_sgpr_queue_ptr 0
		.amdhsa_user_sgpr_kernarg_segment_ptr 1
		.amdhsa_user_sgpr_dispatch_id 0
		.amdhsa_user_sgpr_kernarg_preload_length 0
		.amdhsa_user_sgpr_kernarg_preload_offset 0
		.amdhsa_user_sgpr_private_segment_size 0
		.amdhsa_uses_dynamic_stack 0
		.amdhsa_enable_private_segment 0
		.amdhsa_system_sgpr_workgroup_id_x 1
		.amdhsa_system_sgpr_workgroup_id_y 0
		.amdhsa_system_sgpr_workgroup_id_z 0
		.amdhsa_system_sgpr_workgroup_info 0
		.amdhsa_system_vgpr_workitem_id 0
		.amdhsa_next_free_vgpr 94
		.amdhsa_next_free_sgpr 16
		.amdhsa_accum_offset 96
		.amdhsa_reserve_vcc 1
		.amdhsa_float_round_mode_32 0
		.amdhsa_float_round_mode_16_64 0
		.amdhsa_float_denorm_mode_32 3
		.amdhsa_float_denorm_mode_16_64 3
		.amdhsa_dx10_clamp 1
		.amdhsa_ieee_mode 1
		.amdhsa_fp16_overflow 0
		.amdhsa_tg_split 0
		.amdhsa_exception_fp_ieee_invalid_op 0
		.amdhsa_exception_fp_denorm_src 0
		.amdhsa_exception_fp_ieee_div_zero 0
		.amdhsa_exception_fp_ieee_overflow 0
		.amdhsa_exception_fp_ieee_underflow 0
		.amdhsa_exception_fp_ieee_inexact 0
		.amdhsa_exception_int_div_zero 0
	.end_amdhsa_kernel
	.section	.text._ZN9rocsparseL19gebsrmvn_4xn_kernelILj128ELj6ELj16E21rocsparse_complex_numIdEEEvi20rocsparse_direction_NS_24const_host_device_scalarIT2_EEPKiS8_PKS5_SA_S6_PS5_21rocsparse_index_base_b,"axG",@progbits,_ZN9rocsparseL19gebsrmvn_4xn_kernelILj128ELj6ELj16E21rocsparse_complex_numIdEEEvi20rocsparse_direction_NS_24const_host_device_scalarIT2_EEPKiS8_PKS5_SA_S6_PS5_21rocsparse_index_base_b,comdat
.Lfunc_end133:
	.size	_ZN9rocsparseL19gebsrmvn_4xn_kernelILj128ELj6ELj16E21rocsparse_complex_numIdEEEvi20rocsparse_direction_NS_24const_host_device_scalarIT2_EEPKiS8_PKS5_SA_S6_PS5_21rocsparse_index_base_b, .Lfunc_end133-_ZN9rocsparseL19gebsrmvn_4xn_kernelILj128ELj6ELj16E21rocsparse_complex_numIdEEEvi20rocsparse_direction_NS_24const_host_device_scalarIT2_EEPKiS8_PKS5_SA_S6_PS5_21rocsparse_index_base_b
                                        ; -- End function
	.set _ZN9rocsparseL19gebsrmvn_4xn_kernelILj128ELj6ELj16E21rocsparse_complex_numIdEEEvi20rocsparse_direction_NS_24const_host_device_scalarIT2_EEPKiS8_PKS5_SA_S6_PS5_21rocsparse_index_base_b.num_vgpr, 94
	.set _ZN9rocsparseL19gebsrmvn_4xn_kernelILj128ELj6ELj16E21rocsparse_complex_numIdEEEvi20rocsparse_direction_NS_24const_host_device_scalarIT2_EEPKiS8_PKS5_SA_S6_PS5_21rocsparse_index_base_b.num_agpr, 0
	.set _ZN9rocsparseL19gebsrmvn_4xn_kernelILj128ELj6ELj16E21rocsparse_complex_numIdEEEvi20rocsparse_direction_NS_24const_host_device_scalarIT2_EEPKiS8_PKS5_SA_S6_PS5_21rocsparse_index_base_b.numbered_sgpr, 16
	.set _ZN9rocsparseL19gebsrmvn_4xn_kernelILj128ELj6ELj16E21rocsparse_complex_numIdEEEvi20rocsparse_direction_NS_24const_host_device_scalarIT2_EEPKiS8_PKS5_SA_S6_PS5_21rocsparse_index_base_b.num_named_barrier, 0
	.set _ZN9rocsparseL19gebsrmvn_4xn_kernelILj128ELj6ELj16E21rocsparse_complex_numIdEEEvi20rocsparse_direction_NS_24const_host_device_scalarIT2_EEPKiS8_PKS5_SA_S6_PS5_21rocsparse_index_base_b.private_seg_size, 0
	.set _ZN9rocsparseL19gebsrmvn_4xn_kernelILj128ELj6ELj16E21rocsparse_complex_numIdEEEvi20rocsparse_direction_NS_24const_host_device_scalarIT2_EEPKiS8_PKS5_SA_S6_PS5_21rocsparse_index_base_b.uses_vcc, 1
	.set _ZN9rocsparseL19gebsrmvn_4xn_kernelILj128ELj6ELj16E21rocsparse_complex_numIdEEEvi20rocsparse_direction_NS_24const_host_device_scalarIT2_EEPKiS8_PKS5_SA_S6_PS5_21rocsparse_index_base_b.uses_flat_scratch, 0
	.set _ZN9rocsparseL19gebsrmvn_4xn_kernelILj128ELj6ELj16E21rocsparse_complex_numIdEEEvi20rocsparse_direction_NS_24const_host_device_scalarIT2_EEPKiS8_PKS5_SA_S6_PS5_21rocsparse_index_base_b.has_dyn_sized_stack, 0
	.set _ZN9rocsparseL19gebsrmvn_4xn_kernelILj128ELj6ELj16E21rocsparse_complex_numIdEEEvi20rocsparse_direction_NS_24const_host_device_scalarIT2_EEPKiS8_PKS5_SA_S6_PS5_21rocsparse_index_base_b.has_recursion, 0
	.set _ZN9rocsparseL19gebsrmvn_4xn_kernelILj128ELj6ELj16E21rocsparse_complex_numIdEEEvi20rocsparse_direction_NS_24const_host_device_scalarIT2_EEPKiS8_PKS5_SA_S6_PS5_21rocsparse_index_base_b.has_indirect_call, 0
	.section	.AMDGPU.csdata,"",@progbits
; Kernel info:
; codeLenInByte = 3768
; TotalNumSgprs: 22
; NumVgprs: 94
; NumAgprs: 0
; TotalNumVgprs: 94
; ScratchSize: 0
; MemoryBound: 1
; FloatMode: 240
; IeeeMode: 1
; LDSByteSize: 0 bytes/workgroup (compile time only)
; SGPRBlocks: 2
; VGPRBlocks: 11
; NumSGPRsForWavesPerEU: 22
; NumVGPRsForWavesPerEU: 94
; AccumOffset: 96
; Occupancy: 5
; WaveLimiterHint : 1
; COMPUTE_PGM_RSRC2:SCRATCH_EN: 0
; COMPUTE_PGM_RSRC2:USER_SGPR: 2
; COMPUTE_PGM_RSRC2:TRAP_HANDLER: 0
; COMPUTE_PGM_RSRC2:TGID_X_EN: 1
; COMPUTE_PGM_RSRC2:TGID_Y_EN: 0
; COMPUTE_PGM_RSRC2:TGID_Z_EN: 0
; COMPUTE_PGM_RSRC2:TIDIG_COMP_CNT: 0
; COMPUTE_PGM_RSRC3_GFX90A:ACCUM_OFFSET: 23
; COMPUTE_PGM_RSRC3_GFX90A:TG_SPLIT: 0
	.section	.text._ZN9rocsparseL19gebsrmvn_4xn_kernelILj128ELj6ELj32E21rocsparse_complex_numIdEEEvi20rocsparse_direction_NS_24const_host_device_scalarIT2_EEPKiS8_PKS5_SA_S6_PS5_21rocsparse_index_base_b,"axG",@progbits,_ZN9rocsparseL19gebsrmvn_4xn_kernelILj128ELj6ELj32E21rocsparse_complex_numIdEEEvi20rocsparse_direction_NS_24const_host_device_scalarIT2_EEPKiS8_PKS5_SA_S6_PS5_21rocsparse_index_base_b,comdat
	.globl	_ZN9rocsparseL19gebsrmvn_4xn_kernelILj128ELj6ELj32E21rocsparse_complex_numIdEEEvi20rocsparse_direction_NS_24const_host_device_scalarIT2_EEPKiS8_PKS5_SA_S6_PS5_21rocsparse_index_base_b ; -- Begin function _ZN9rocsparseL19gebsrmvn_4xn_kernelILj128ELj6ELj32E21rocsparse_complex_numIdEEEvi20rocsparse_direction_NS_24const_host_device_scalarIT2_EEPKiS8_PKS5_SA_S6_PS5_21rocsparse_index_base_b
	.p2align	8
	.type	_ZN9rocsparseL19gebsrmvn_4xn_kernelILj128ELj6ELj32E21rocsparse_complex_numIdEEEvi20rocsparse_direction_NS_24const_host_device_scalarIT2_EEPKiS8_PKS5_SA_S6_PS5_21rocsparse_index_base_b,@function
_ZN9rocsparseL19gebsrmvn_4xn_kernelILj128ELj6ELj32E21rocsparse_complex_numIdEEEvi20rocsparse_direction_NS_24const_host_device_scalarIT2_EEPKiS8_PKS5_SA_S6_PS5_21rocsparse_index_base_b: ; @_ZN9rocsparseL19gebsrmvn_4xn_kernelILj128ELj6ELj32E21rocsparse_complex_numIdEEEvi20rocsparse_direction_NS_24const_host_device_scalarIT2_EEPKiS8_PKS5_SA_S6_PS5_21rocsparse_index_base_b
; %bb.0:
	s_load_dwordx2 s[4:5], s[0:1], 0x8
	s_load_dwordx2 s[6:7], s[0:1], 0x38
	s_load_dwordx2 s[12:13], s[0:1], 0x50
	s_add_u32 s3, s0, 8
	s_addc_u32 s8, s1, 0
	s_add_u32 s9, s0, 56
	s_addc_u32 s10, s1, 0
	s_waitcnt lgkmcnt(0)
	s_bitcmp1_b32 s13, 0
	s_cselect_b32 s5, s8, s5
	s_cselect_b32 s3, s3, s4
	v_mov_b32_e32 v2, s3
	v_mov_b32_e32 v3, s5
	flat_load_dwordx4 v[2:5], v[2:3]
	s_cselect_b32 s3, s10, s7
	s_cselect_b32 s4, s9, s6
	v_mov_b32_e32 v6, s4
	v_mov_b32_e32 v7, s3
	flat_load_dwordx4 v[6:9], v[6:7]
	s_waitcnt vmcnt(0) lgkmcnt(0)
	v_cmp_eq_f64_e32 vcc, 0, v[2:3]
	v_cmp_eq_f64_e64 s[4:5], 0, v[4:5]
	s_and_b64 s[8:9], vcc, s[4:5]
	s_mov_b64 s[4:5], -1
	s_and_saveexec_b64 s[6:7], s[8:9]
; %bb.1:
	v_cmp_neq_f64_e32 vcc, 1.0, v[6:7]
	v_cmp_neq_f64_e64 s[4:5], 0, v[8:9]
	s_or_b64 s[4:5], vcc, s[4:5]
	s_orn2_b64 s[4:5], s[4:5], exec
; %bb.2:
	s_or_b64 exec, exec, s[6:7]
	s_and_saveexec_b64 s[6:7], s[4:5]
	s_cbranch_execz .LBB134_21
; %bb.3:
	s_load_dwordx2 s[14:15], s[0:1], 0x0
	v_lshrrev_b32_e32 v1, 5, v0
	v_lshl_or_b32 v22, s2, 2, v1
	s_waitcnt lgkmcnt(0)
	v_cmp_gt_i32_e32 vcc, s14, v22
	s_and_b64 exec, exec, vcc
	s_cbranch_execz .LBB134_21
; %bb.4:
	s_load_dwordx8 s[4:11], s[0:1], 0x18
	v_ashrrev_i32_e32 v23, 31, v22
	s_cmp_lg_u32 s15, 0
	s_waitcnt lgkmcnt(0)
	v_lshl_add_u64 v[10:11], v[22:23], 2, s[4:5]
	global_load_dwordx2 v[10:11], v[10:11], off
	v_and_b32_e32 v23, 31, v0
	s_waitcnt vmcnt(0)
	v_subrev_u32_e32 v0, s12, v10
	v_subrev_u32_e32 v46, s12, v11
	v_add_u32_e32 v30, v0, v23
	v_cmp_lt_i32_e64 s[2:3], v30, v46
	s_cbranch_scc0 .LBB134_10
; %bb.5:
	v_mov_b64_e32 v[26:27], 0
	v_mov_b64_e32 v[16:17], 0
	;; [unrolled: 1-line block ×8, first 2 shown]
	s_and_saveexec_b64 s[4:5], s[2:3]
	s_cbranch_execz .LBB134_9
; %bb.6:
	v_mad_u64_u32 v[38:39], s[14:15], v30, 24, 20
	v_mov_b64_e32 v[26:27], 0
	s_mov_b64 s[14:15], 0
	v_mov_b32_e32 v41, 0
	v_mov_b32_e32 v42, v30
	v_mov_b64_e32 v[16:17], 0
	v_mov_b64_e32 v[32:33], 0
	;; [unrolled: 1-line block ×7, first 2 shown]
.LBB134_7:                              ; =>This Inner Loop Header: Depth=1
	v_ashrrev_i32_e32 v43, 31, v42
	v_subrev_u32_e32 v40, 20, v38
	v_lshl_add_u64 v[10:11], v[42:43], 2, s[6:7]
	v_lshl_add_u64 v[12:13], v[40:41], 4, s[8:9]
	global_load_dword v14, v[10:11], off
	global_load_dwordx4 v[48:51], v[12:13], off offset:48
	global_load_dwordx4 v[52:55], v[12:13], off offset:32
	;; [unrolled: 1-line block ×3, first 2 shown]
	global_load_dwordx4 v[56:59], v[12:13], off
	global_load_dwordx4 v[60:63], v[12:13], off offset:112
	global_load_dwordx4 v[64:67], v[12:13], off offset:96
	;; [unrolled: 1-line block ×4, first 2 shown]
	v_mov_b32_e32 v45, v41
	v_mov_b32_e32 v39, v41
	v_lshl_add_u64 v[84:85], v[38:39], 4, s[8:9]
	global_load_dwordx4 v[10:13], v[84:85], off offset:16
	v_add_u32_e32 v40, -12, v38
	v_lshl_add_u64 v[86:87], v[40:41], 4, s[8:9]
	v_add_u32_e32 v42, 32, v42
	v_cmp_ge_i32_e32 vcc, v42, v46
	s_or_b64 s[14:15], vcc, s[14:15]
	s_waitcnt vmcnt(9)
	v_subrev_u32_e32 v14, s12, v14
	v_mul_lo_u32 v44, v14, 6
	v_lshl_add_u64 v[14:15], v[44:45], 4, s[10:11]
	global_load_dwordx4 v[76:79], v[14:15], off
	global_load_dwordx4 v[80:83], v[14:15], off offset:16
	v_add_u32_e32 v40, 2, v44
	s_waitcnt vmcnt(1)
	v_fmac_f64_e32 v[16:17], v[56:57], v[76:77]
	v_fmac_f64_e32 v[26:27], v[58:59], v[76:77]
	;; [unrolled: 1-line block ×4, first 2 shown]
	v_fma_f64 v[88:89], -v[58:59], v[78:79], v[16:17]
	v_fmac_f64_e32 v[26:27], v[56:57], v[78:79]
	v_fma_f64 v[90:91], -v[20:21], v[78:79], v[36:37]
	v_fmac_f64_e32 v[28:29], v[18:19], v[78:79]
	v_fmac_f64_e32 v[34:35], v[52:53], v[76:77]
	v_fmac_f64_e32 v[24:25], v[54:55], v[76:77]
	v_fmac_f64_e32 v[32:33], v[48:49], v[76:77]
	v_fmac_f64_e32 v[0:1], v[50:51], v[76:77]
	s_waitcnt vmcnt(0)
	v_fmac_f64_e32 v[88:89], v[72:73], v[80:81]
	v_fmac_f64_e32 v[26:27], v[74:75], v[80:81]
	v_lshl_add_u64 v[76:77], v[40:41], 4, s[10:11]
	v_fmac_f64_e32 v[90:91], v[68:69], v[80:81]
	v_fmac_f64_e32 v[28:29], v[70:71], v[80:81]
	global_load_dwordx4 v[14:17], v[84:85], off
	global_load_dwordx4 v[18:21], v[84:85], off offset:32
	global_load_dwordx4 v[56:59], v[84:85], off offset:48
	v_fma_f64 v[84:85], -v[54:55], v[78:79], v[34:35]
	v_fmac_f64_e32 v[24:25], v[52:53], v[78:79]
	global_load_dwordx4 v[34:37], v[86:87], off offset:32
	v_fma_f64 v[32:33], -v[50:51], v[78:79], v[32:33]
	v_fmac_f64_e32 v[0:1], v[48:49], v[78:79]
	global_load_dwordx4 v[48:51], v[86:87], off offset:16
	global_load_dwordx4 v[52:55], v[86:87], off
	v_fma_f64 v[88:89], -v[74:75], v[82:83], v[88:89]
	v_fmac_f64_e32 v[26:27], v[72:73], v[82:83]
	global_load_dwordx4 v[72:75], v[86:87], off offset:48
	v_fma_f64 v[86:87], -v[70:71], v[82:83], v[90:91]
	v_fmac_f64_e32 v[28:29], v[68:69], v[82:83]
	global_load_dwordx4 v[68:71], v[76:77], off
	v_add_u32_e32 v40, -8, v38
	v_fmac_f64_e32 v[84:85], v[64:65], v[80:81]
	v_fmac_f64_e32 v[24:25], v[66:67], v[80:81]
	v_lshl_add_u64 v[90:91], v[40:41], 4, s[8:9]
	v_fmac_f64_e32 v[32:33], v[60:61], v[80:81]
	v_fmac_f64_e32 v[0:1], v[62:63], v[80:81]
	v_fma_f64 v[84:85], -v[66:67], v[82:83], v[84:85]
	v_fmac_f64_e32 v[24:25], v[64:65], v[82:83]
	global_load_dwordx4 v[64:67], v[76:77], off offset:16
	v_fma_f64 v[80:81], -v[62:63], v[82:83], v[32:33]
	v_fmac_f64_e32 v[0:1], v[60:61], v[82:83]
	global_load_dwordx4 v[60:63], v[90:91], off
	global_load_dwordx4 v[76:79], v[90:91], off offset:16
	v_add_u32_e32 v40, -4, v38
	v_lshl_add_u64 v[92:93], v[40:41], 4, s[8:9]
	v_add_u32_e32 v40, 4, v44
	v_add_u32_e32 v38, 0x300, v38
	s_waitcnt vmcnt(3)
	v_fmac_f64_e32 v[88:89], v[52:53], v[68:69]
	v_fmac_f64_e32 v[26:27], v[54:55], v[68:69]
	;; [unrolled: 1-line block ×4, first 2 shown]
	v_fma_f64 v[44:45], -v[54:55], v[70:71], v[88:89]
	v_fmac_f64_e32 v[26:27], v[52:53], v[70:71]
	global_load_dwordx4 v[52:55], v[90:91], off offset:32
	v_fma_f64 v[86:87], -v[50:51], v[70:71], v[86:87]
	v_fmac_f64_e32 v[28:29], v[48:49], v[70:71]
	global_load_dwordx4 v[48:51], v[90:91], off offset:48
	v_fmac_f64_e32 v[84:85], v[34:35], v[68:69]
	v_fmac_f64_e32 v[24:25], v[36:37], v[68:69]
	;; [unrolled: 1-line block ×4, first 2 shown]
	v_fma_f64 v[36:37], -v[36:37], v[70:71], v[84:85]
	v_fmac_f64_e32 v[24:25], v[34:35], v[70:71]
	global_load_dwordx4 v[32:35], v[92:93], off offset:48
	v_fma_f64 v[84:85], -v[74:75], v[70:71], v[80:81]
	v_fmac_f64_e32 v[0:1], v[72:73], v[70:71]
	global_load_dwordx4 v[68:71], v[92:93], off offset:32
	global_load_dwordx4 v[72:75], v[92:93], off offset:16
	global_load_dwordx4 v[80:83], v[92:93], off
	s_waitcnt vmcnt(7)
	v_fmac_f64_e32 v[44:45], v[60:61], v[64:65]
	v_fmac_f64_e32 v[26:27], v[62:63], v[64:65]
	v_lshl_add_u64 v[88:89], v[40:41], 4, s[10:11]
	s_waitcnt vmcnt(6)
	v_fmac_f64_e32 v[86:87], v[76:77], v[64:65]
	v_fmac_f64_e32 v[28:29], v[78:79], v[64:65]
	v_fma_f64 v[44:45], -v[62:63], v[66:67], v[44:45]
	v_fmac_f64_e32 v[26:27], v[60:61], v[66:67]
	v_fma_f64 v[86:87], -v[78:79], v[66:67], v[86:87]
	v_fmac_f64_e32 v[28:29], v[76:77], v[66:67]
	global_load_dwordx4 v[60:63], v[88:89], off
	global_load_dwordx4 v[76:79], v[88:89], off offset:16
	s_waitcnt vmcnt(7)
	v_fmac_f64_e32 v[36:37], v[52:53], v[64:65]
	v_fmac_f64_e32 v[24:25], v[54:55], v[64:65]
	v_fma_f64 v[36:37], -v[54:55], v[66:67], v[36:37]
	s_waitcnt vmcnt(6)
	v_fmac_f64_e32 v[84:85], v[48:49], v[64:65]
	v_fmac_f64_e32 v[0:1], v[50:51], v[64:65]
	;; [unrolled: 1-line block ×3, first 2 shown]
	v_fma_f64 v[50:51], -v[50:51], v[66:67], v[84:85]
	v_fmac_f64_e32 v[0:1], v[48:49], v[66:67]
	s_waitcnt vmcnt(1)
	v_fmac_f64_e32 v[44:45], v[80:81], v[60:61]
	v_fmac_f64_e32 v[26:27], v[82:83], v[60:61]
	;; [unrolled: 1-line block ×8, first 2 shown]
	v_fma_f64 v[44:45], -v[82:83], v[62:63], v[44:45]
	v_fmac_f64_e32 v[26:27], v[80:81], v[62:63]
	v_fma_f64 v[48:49], -v[74:75], v[62:63], v[86:87]
	v_fmac_f64_e32 v[28:29], v[72:73], v[62:63]
	;; [unrolled: 2-line block ×4, first 2 shown]
	s_waitcnt vmcnt(0)
	v_fmac_f64_e32 v[44:45], v[14:15], v[76:77]
	v_fmac_f64_e32 v[26:27], v[16:17], v[76:77]
	;; [unrolled: 1-line block ×8, first 2 shown]
	v_fma_f64 v[16:17], -v[16:17], v[78:79], v[44:45]
	v_fmac_f64_e32 v[26:27], v[14:15], v[78:79]
	v_fma_f64 v[36:37], -v[12:13], v[78:79], v[48:49]
	v_fmac_f64_e32 v[28:29], v[10:11], v[78:79]
	;; [unrolled: 2-line block ×4, first 2 shown]
	s_andn2_b64 exec, exec, s[14:15]
	s_cbranch_execnz .LBB134_7
; %bb.8:
	s_or_b64 exec, exec, s[14:15]
.LBB134_9:
	s_or_b64 exec, exec, s[4:5]
	s_cbranch_execz .LBB134_11
	s_branch .LBB134_16
.LBB134_10:
                                        ; implicit-def: $vgpr26_vgpr27
                                        ; implicit-def: $vgpr16_vgpr17
                                        ; implicit-def: $vgpr32_vgpr33
                                        ; implicit-def: $vgpr0_vgpr1
                                        ; implicit-def: $vgpr34_vgpr35
                                        ; implicit-def: $vgpr24_vgpr25
                                        ; implicit-def: $vgpr36_vgpr37
                                        ; implicit-def: $vgpr28_vgpr29
.LBB134_11:
	v_mov_b64_e32 v[26:27], 0
	v_mov_b64_e32 v[16:17], 0
	;; [unrolled: 1-line block ×8, first 2 shown]
	s_and_saveexec_b64 s[4:5], s[2:3]
	s_cbranch_execz .LBB134_15
; %bb.12:
	v_mad_u64_u32 v[10:11], s[2:3], v30, 24, 23
	v_mov_b64_e32 v[26:27], 0
	s_mov_b64 s[2:3], 0
	v_mov_b32_e32 v13, 0
	v_mov_b64_e32 v[16:17], 0
	v_mov_b64_e32 v[32:33], 0
	;; [unrolled: 1-line block ×7, first 2 shown]
.LBB134_13:                             ; =>This Inner Loop Header: Depth=1
	v_ashrrev_i32_e32 v31, 31, v30
	v_subrev_u32_e32 v12, 23, v10
	v_add_u32_e32 v20, -11, v10
	v_add_u32_e32 v18, -5, v10
	v_mov_b32_e32 v21, v13
	v_mov_b32_e32 v19, v13
	;; [unrolled: 1-line block ×3, first 2 shown]
	v_lshl_add_u64 v[64:65], v[30:31], 2, s[6:7]
	v_lshl_add_u64 v[76:77], v[12:13], 4, s[8:9]
	;; [unrolled: 1-line block ×5, first 2 shown]
	global_load_dword v11, v[64:65], off
	global_load_dwordx4 v[18:21], v[76:77], off offset:16
	global_load_dwordx4 v[38:41], v[76:77], off
	global_load_dwordx4 v[42:45], v[76:77], off offset:112
	global_load_dwordx4 v[48:51], v[76:77], off offset:96
	global_load_dwordx4 v[52:55], v[66:67], off
	global_load_dwordx4 v[56:59], v[68:69], off
	global_load_dwordx4 v[60:63], v[76:77], off offset:48
	v_mov_b32_e32 v15, v13
	v_add_u32_e32 v12, -10, v10
	v_add_u32_e32 v30, 32, v30
	v_cmp_ge_i32_e32 vcc, v30, v46
	s_or_b64 s[2:3], vcc, s[2:3]
	s_waitcnt vmcnt(7)
	v_subrev_u32_e32 v11, s12, v11
	v_mul_lo_u32 v14, v11, 6
	v_lshl_add_u64 v[72:73], v[14:15], 4, s[10:11]
	global_load_dwordx4 v[64:67], v[72:73], off
	global_load_dwordx4 v[68:71], v[72:73], off offset:16
	s_waitcnt vmcnt(1)
	v_fmac_f64_e32 v[16:17], v[38:39], v[64:65]
	v_fmac_f64_e32 v[26:27], v[40:41], v[64:65]
	;; [unrolled: 1-line block ×5, first 2 shown]
	v_fma_f64 v[16:17], -v[40:41], v[66:67], v[16:17]
	v_fmac_f64_e32 v[26:27], v[38:39], v[66:67]
	global_load_dwordx4 v[38:41], v[76:77], off offset:32
	v_fma_f64 v[80:81], -v[50:51], v[66:67], v[36:37]
	v_fmac_f64_e32 v[28:29], v[48:49], v[66:67]
	global_load_dwordx4 v[48:51], v[76:77], off offset:80
	global_load_dwordx4 v[72:75], v[76:77], off offset:64
	v_fma_f64 v[76:77], -v[54:55], v[66:67], v[34:35]
	v_lshl_add_u64 v[34:35], v[12:13], 4, s[8:9]
	v_add_u32_e32 v12, -4, v10
	v_fmac_f64_e32 v[32:33], v[56:57], v[64:65]
	v_fmac_f64_e32 v[24:25], v[54:55], v[64:65]
	global_load_dwordx4 v[34:37], v[34:35], off
	v_fmac_f64_e32 v[0:1], v[58:59], v[64:65]
	v_fma_f64 v[64:65], -v[58:59], v[66:67], v[32:33]
	v_lshl_add_u64 v[32:33], v[12:13], 4, s[8:9]
	v_fmac_f64_e32 v[24:25], v[52:53], v[66:67]
	global_load_dwordx4 v[52:55], v[32:33], off
	v_add_u32_e32 v12, 2, v14
	v_lshl_add_u64 v[32:33], v[12:13], 4, s[10:11]
	v_add_u32_e32 v12, -15, v10
	s_waitcnt vmcnt(5)
	v_fmac_f64_e32 v[16:17], v[18:19], v[68:69]
	v_fmac_f64_e32 v[26:27], v[20:21], v[68:69]
	;; [unrolled: 1-line block ×3, first 2 shown]
	v_fma_f64 v[20:21], -v[20:21], v[70:71], v[16:17]
	v_fmac_f64_e32 v[26:27], v[18:19], v[70:71]
	global_load_dwordx4 v[16:19], v[32:33], off
	global_load_dwordx4 v[56:59], v[32:33], off offset:16
	v_fmac_f64_e32 v[80:81], v[42:43], v[68:69]
	v_fmac_f64_e32 v[28:29], v[44:45], v[68:69]
	v_lshl_add_u64 v[32:33], v[12:13], 4, s[8:9]
	v_fma_f64 v[80:81], -v[44:45], v[70:71], v[80:81]
	v_fmac_f64_e32 v[28:29], v[42:43], v[70:71]
	global_load_dwordx4 v[42:45], v[32:33], off
	v_add_u32_e32 v12, -9, v10
	v_lshl_add_u64 v[32:33], v[12:13], 4, s[8:9]
	v_add_u32_e32 v12, -3, v10
	s_waitcnt vmcnt(4)
	v_fmac_f64_e32 v[76:77], v[34:35], v[68:69]
	v_fmac_f64_e32 v[24:25], v[36:37], v[68:69]
	v_fma_f64 v[76:77], -v[36:37], v[70:71], v[76:77]
	v_lshl_add_u64 v[36:37], v[12:13], 4, s[8:9]
	v_fmac_f64_e32 v[24:25], v[34:35], v[70:71]
	s_waitcnt vmcnt(3)
	v_fmac_f64_e32 v[64:65], v[52:53], v[68:69]
	v_fmac_f64_e32 v[0:1], v[54:55], v[68:69]
	global_load_dwordx4 v[32:35], v[32:33], off
	v_fma_f64 v[68:69], -v[54:55], v[70:71], v[64:65]
	v_fmac_f64_e32 v[0:1], v[52:53], v[70:71]
	global_load_dwordx4 v[52:55], v[36:37], off
	v_add_u32_e32 v12, -14, v10
	v_lshl_add_u64 v[36:37], v[12:13], 4, s[8:9]
	v_add_u32_e32 v12, -8, v10
	s_waitcnt vmcnt(4)
	v_fmac_f64_e32 v[20:21], v[38:39], v[16:17]
	global_load_dwordx4 v[64:67], v[36:37], off
	v_fmac_f64_e32 v[26:27], v[40:41], v[16:17]
	v_fma_f64 v[70:71], -v[40:41], v[18:19], v[20:21]
	v_lshl_add_u64 v[20:21], v[12:13], 4, s[8:9]
	v_add_u32_e32 v12, -2, v10
	v_fmac_f64_e32 v[26:27], v[38:39], v[18:19]
	v_lshl_add_u64 v[40:41], v[12:13], 4, s[8:9]
	global_load_dwordx4 v[36:39], v[20:21], off
	s_waitcnt vmcnt(4)
	v_fmac_f64_e32 v[28:29], v[44:45], v[16:17]
	v_fmac_f64_e32 v[80:81], v[42:43], v[16:17]
	;; [unrolled: 1-line block ×3, first 2 shown]
	global_load_dwordx4 v[40:43], v[40:41], off
	v_add_u32_e32 v12, 4, v14
	v_lshl_add_u64 v[14:15], v[12:13], 4, s[10:11]
	v_add_u32_e32 v12, -13, v10
	v_fma_f64 v[44:45], -v[44:45], v[18:19], v[80:81]
	v_fmac_f64_e32 v[26:27], v[62:63], v[56:57]
	v_fmac_f64_e32 v[70:71], v[60:61], v[56:57]
	v_fmac_f64_e32 v[26:27], v[60:61], v[58:59]
	v_fma_f64 v[70:71], -v[62:63], v[58:59], v[70:71]
	s_waitcnt vmcnt(4)
	v_fmac_f64_e32 v[76:77], v[32:33], v[16:17]
	v_fmac_f64_e32 v[24:25], v[34:35], v[16:17]
	v_fma_f64 v[76:77], -v[34:35], v[18:19], v[76:77]
	s_waitcnt vmcnt(3)
	v_fmac_f64_e32 v[68:69], v[52:53], v[16:17]
	v_fmac_f64_e32 v[0:1], v[54:55], v[16:17]
	;; [unrolled: 1-line block ×3, first 2 shown]
	global_load_dwordx4 v[32:35], v[14:15], off
	v_fma_f64 v[68:69], -v[54:55], v[18:19], v[68:69]
	v_fmac_f64_e32 v[0:1], v[52:53], v[18:19]
	global_load_dwordx4 v[18:21], v[14:15], off offset:16
	v_lshl_add_u64 v[14:15], v[12:13], 4, s[8:9]
	v_add_u32_e32 v12, -7, v10
	v_lshl_add_u64 v[52:53], v[12:13], 4, s[8:9]
	v_add_u32_e32 v12, -1, v10
	;; [unrolled: 2-line block ×3, first 2 shown]
	s_waitcnt vmcnt(4)
	v_fmac_f64_e32 v[44:45], v[64:65], v[56:57]
	global_load_dwordx4 v[14:17], v[14:15], off
	v_fma_f64 v[80:81], -v[66:67], v[58:59], v[44:45]
	global_load_dwordx4 v[52:55], v[52:53], off
	v_lshl_add_u64 v[44:45], v[12:13], 4, s[8:9]
	global_load_dwordx4 v[60:63], v[60:61], off
	v_add_u32_e32 v12, -6, v10
	s_waitcnt vmcnt(6)
	v_fmac_f64_e32 v[24:25], v[38:39], v[56:57]
	v_fmac_f64_e32 v[28:29], v[66:67], v[56:57]
	;; [unrolled: 1-line block ×4, first 2 shown]
	v_lshl_add_u64 v[36:37], v[12:13], 4, s[8:9]
	s_waitcnt vmcnt(5)
	v_fmac_f64_e32 v[68:69], v[40:41], v[56:57]
	v_fmac_f64_e32 v[0:1], v[42:43], v[56:57]
	;; [unrolled: 1-line block ×3, first 2 shown]
	v_fma_f64 v[76:77], -v[38:39], v[58:59], v[76:77]
	global_load_dwordx4 v[64:67], v[44:45], off
	v_fma_f64 v[56:57], -v[42:43], v[58:59], v[68:69]
	v_fmac_f64_e32 v[0:1], v[40:41], v[58:59]
	global_load_dwordx4 v[38:41], v[36:37], off
	global_load_dwordx4 v[42:45], v[78:79], off
	v_add_u32_e32 v10, 0x300, v10
	s_waitcnt vmcnt(7)
	v_fmac_f64_e32 v[70:71], v[72:73], v[32:33]
	v_fmac_f64_e32 v[26:27], v[74:75], v[32:33]
	v_fma_f64 v[36:37], -v[74:75], v[34:35], v[70:71]
	v_fmac_f64_e32 v[26:27], v[72:73], v[34:35]
	s_waitcnt vmcnt(6)
	v_fmac_f64_e32 v[36:37], v[48:49], v[18:19]
	v_fmac_f64_e32 v[26:27], v[50:51], v[18:19]
	;; [unrolled: 1-line block ×3, first 2 shown]
	s_waitcnt vmcnt(5)
	v_fmac_f64_e32 v[80:81], v[14:15], v[32:33]
	v_fmac_f64_e32 v[28:29], v[16:17], v[32:33]
	s_waitcnt vmcnt(4)
	v_fmac_f64_e32 v[76:77], v[52:53], v[32:33]
	v_fmac_f64_e32 v[24:25], v[54:55], v[32:33]
	;; [unrolled: 3-line block ×3, first 2 shown]
	v_fma_f64 v[58:59], -v[16:17], v[34:35], v[80:81]
	v_fmac_f64_e32 v[28:29], v[14:15], v[34:35]
	v_fma_f64 v[14:15], -v[54:55], v[34:35], v[76:77]
	v_fmac_f64_e32 v[24:25], v[52:53], v[34:35]
	;; [unrolled: 2-line block ×3, first 2 shown]
	v_fma_f64 v[16:17], -v[50:51], v[20:21], v[36:37]
	s_waitcnt vmcnt(2)
	v_fmac_f64_e32 v[58:59], v[64:65], v[18:19]
	v_fmac_f64_e32 v[28:29], v[66:67], v[18:19]
	s_waitcnt vmcnt(1)
	v_fmac_f64_e32 v[14:15], v[38:39], v[18:19]
	v_fmac_f64_e32 v[24:25], v[40:41], v[18:19]
	;; [unrolled: 3-line block ×3, first 2 shown]
	v_fma_f64 v[36:37], -v[66:67], v[20:21], v[58:59]
	v_fmac_f64_e32 v[28:29], v[64:65], v[20:21]
	v_fma_f64 v[34:35], -v[40:41], v[20:21], v[14:15]
	v_fmac_f64_e32 v[24:25], v[38:39], v[20:21]
	;; [unrolled: 2-line block ×3, first 2 shown]
	s_andn2_b64 exec, exec, s[2:3]
	s_cbranch_execnz .LBB134_13
; %bb.14:
	s_or_b64 exec, exec, s[2:3]
.LBB134_15:
	s_or_b64 exec, exec, s[4:5]
.LBB134_16:
	v_mov_b32_dpp v14, v26 row_shr:1 row_mask:0xf bank_mask:0xf
	v_mov_b32_dpp v15, v27 row_shr:1 row_mask:0xf bank_mask:0xf
	;; [unrolled: 1-line block ×4, first 2 shown]
	v_add_f64 v[14:15], v[26:27], v[14:15]
	v_add_f64 v[10:11], v[16:17], v[10:11]
	v_cmp_eq_u32_e32 vcc, 31, v23
	v_mov_b32_dpp v16, v14 row_shr:2 row_mask:0xf bank_mask:0xf
	v_mov_b32_dpp v17, v15 row_shr:2 row_mask:0xf bank_mask:0xf
	v_add_f64 v[14:15], v[14:15], v[16:17]
	v_mov_b32_dpp v12, v10 row_shr:2 row_mask:0xf bank_mask:0xf
	v_mov_b32_dpp v13, v11 row_shr:2 row_mask:0xf bank_mask:0xf
	;; [unrolled: 1-line block ×4, first 2 shown]
	v_add_f64 v[14:15], v[14:15], v[16:17]
	v_add_f64 v[10:11], v[10:11], v[12:13]
	s_nop 0
	v_mov_b32_dpp v16, v14 row_shr:8 row_mask:0xf bank_mask:0xc
	v_mov_b32_dpp v17, v15 row_shr:8 row_mask:0xf bank_mask:0xc
	v_add_f64 v[14:15], v[14:15], v[16:17]
	v_mov_b32_dpp v16, v36 row_shr:1 row_mask:0xf bank_mask:0xf
	v_mov_b32_dpp v17, v37 row_shr:1 row_mask:0xf bank_mask:0xf
	v_add_f64 v[16:17], v[36:37], v[16:17]
	v_mov_b32_dpp v12, v10 row_shr:4 row_mask:0xf bank_mask:0xe
	v_mov_b32_dpp v13, v11 row_shr:4 row_mask:0xf bank_mask:0xe
	;; [unrolled: 1-line block ×4, first 2 shown]
	v_add_f64 v[16:17], v[16:17], v[20:21]
	v_add_f64 v[10:11], v[10:11], v[12:13]
	v_mov_b32_dpp v18, v14 row_bcast:15 row_mask:0xa bank_mask:0xf
	v_mov_b32_dpp v20, v16 row_shr:4 row_mask:0xf bank_mask:0xe
	v_mov_b32_dpp v21, v17 row_shr:4 row_mask:0xf bank_mask:0xe
	v_add_f64 v[16:17], v[16:17], v[20:21]
	v_mov_b32_dpp v12, v10 row_shr:8 row_mask:0xf bank_mask:0xc
	v_mov_b32_dpp v13, v11 row_shr:8 row_mask:0xf bank_mask:0xc
	;; [unrolled: 1-line block ×4, first 2 shown]
	v_add_f64 v[20:21], v[16:17], v[20:21]
	v_mov_b32_dpp v16, v28 row_shr:1 row_mask:0xf bank_mask:0xf
	v_mov_b32_dpp v17, v29 row_shr:1 row_mask:0xf bank_mask:0xf
	v_add_f64 v[16:17], v[28:29], v[16:17]
	v_add_f64 v[10:11], v[10:11], v[12:13]
	v_mov_b32_dpp v19, v15 row_bcast:15 row_mask:0xa bank_mask:0xf
	v_mov_b32_dpp v28, v16 row_shr:2 row_mask:0xf bank_mask:0xf
	v_mov_b32_dpp v29, v17 row_shr:2 row_mask:0xf bank_mask:0xf
	v_add_f64 v[16:17], v[16:17], v[28:29]
	v_mov_b32_dpp v12, v10 row_bcast:15 row_mask:0xa bank_mask:0xf
	v_mov_b32_dpp v13, v11 row_bcast:15 row_mask:0xa bank_mask:0xf
	v_mov_b32_dpp v28, v16 row_shr:4 row_mask:0xf bank_mask:0xe
	v_mov_b32_dpp v29, v17 row_shr:4 row_mask:0xf bank_mask:0xe
	v_add_f64 v[16:17], v[16:17], v[28:29]
	v_mov_b32_dpp v26, v20 row_bcast:15 row_mask:0xa bank_mask:0xf
	v_mov_b32_dpp v27, v21 row_bcast:15 row_mask:0xa bank_mask:0xf
	v_mov_b32_dpp v28, v16 row_shr:8 row_mask:0xf bank_mask:0xc
	v_mov_b32_dpp v29, v17 row_shr:8 row_mask:0xf bank_mask:0xc
	v_add_f64 v[28:29], v[16:17], v[28:29]
	v_mov_b32_dpp v16, v34 row_shr:1 row_mask:0xf bank_mask:0xf
	v_mov_b32_dpp v17, v35 row_shr:1 row_mask:0xf bank_mask:0xf
	v_add_f64 v[16:17], v[34:35], v[16:17]
	v_mov_b32_dpp v30, v28 row_bcast:15 row_mask:0xa bank_mask:0xf
	v_mov_b32_dpp v31, v29 row_bcast:15 row_mask:0xa bank_mask:0xf
	v_mov_b32_dpp v34, v16 row_shr:2 row_mask:0xf bank_mask:0xf
	v_mov_b32_dpp v35, v17 row_shr:2 row_mask:0xf bank_mask:0xf
	v_add_f64 v[16:17], v[16:17], v[34:35]
	s_nop 1
	v_mov_b32_dpp v34, v16 row_shr:4 row_mask:0xf bank_mask:0xe
	v_mov_b32_dpp v35, v17 row_shr:4 row_mask:0xf bank_mask:0xe
	v_add_f64 v[16:17], v[16:17], v[34:35]
	s_nop 1
	v_mov_b32_dpp v34, v16 row_shr:8 row_mask:0xf bank_mask:0xc
	v_mov_b32_dpp v35, v17 row_shr:8 row_mask:0xf bank_mask:0xc
	v_add_f64 v[34:35], v[16:17], v[34:35]
	v_mov_b32_dpp v16, v24 row_shr:1 row_mask:0xf bank_mask:0xf
	v_mov_b32_dpp v17, v25 row_shr:1 row_mask:0xf bank_mask:0xf
	v_add_f64 v[16:17], v[24:25], v[16:17]
	v_mov_b32_dpp v36, v34 row_bcast:15 row_mask:0xa bank_mask:0xf
	v_mov_b32_dpp v37, v35 row_bcast:15 row_mask:0xa bank_mask:0xf
	v_mov_b32_dpp v24, v16 row_shr:2 row_mask:0xf bank_mask:0xf
	v_mov_b32_dpp v25, v17 row_shr:2 row_mask:0xf bank_mask:0xf
	v_add_f64 v[16:17], v[16:17], v[24:25]
	s_nop 1
	v_mov_b32_dpp v24, v16 row_shr:4 row_mask:0xf bank_mask:0xe
	v_mov_b32_dpp v25, v17 row_shr:4 row_mask:0xf bank_mask:0xe
	v_add_f64 v[16:17], v[16:17], v[24:25]
	s_nop 1
	;; [unrolled: 16-line block ×4, first 2 shown]
	v_mov_b32_dpp v16, v0 row_shr:8 row_mask:0xf bank_mask:0xc
	v_mov_b32_dpp v17, v1 row_shr:8 row_mask:0xf bank_mask:0xc
	v_add_f64 v[44:45], v[0:1], v[16:17]
	s_nop 1
	v_mov_b32_dpp v46, v44 row_bcast:15 row_mask:0xa bank_mask:0xf
	v_mov_b32_dpp v47, v45 row_bcast:15 row_mask:0xa bank_mask:0xf
	s_and_b64 exec, exec, vcc
	s_cbranch_execz .LBB134_21
; %bb.17:
	s_load_dwordx2 s[2:3], s[0:1], 0x48
	v_cmp_eq_f64_e32 vcc, 0, v[6:7]
	v_cmp_eq_f64_e64 s[0:1], 0, v[8:9]
	v_add_f64 v[16:17], v[10:11], v[12:13]
	v_add_f64 v[24:25], v[14:15], v[18:19]
	;; [unrolled: 1-line block ×8, first 2 shown]
	s_and_b64 s[0:1], vcc, s[0:1]
	s_and_saveexec_b64 s[4:5], s[0:1]
	s_xor_b64 s[0:1], exec, s[4:5]
	s_cbranch_execz .LBB134_19
; %bb.18:
	v_mul_f64 v[6:7], v[24:25], -v[4:5]
	v_mul_f64 v[8:9], v[2:3], v[24:25]
	v_fmac_f64_e32 v[6:7], v[2:3], v[16:17]
	v_fmac_f64_e32 v[8:9], v[4:5], v[16:17]
	v_lshlrev_b32_e32 v16, 2, v22
	v_ashrrev_i32_e32 v17, 31, v16
	s_waitcnt lgkmcnt(0)
	v_lshl_add_u64 v[16:17], v[16:17], 4, s[2:3]
	global_store_dwordx4 v[16:17], v[6:9], off
                                        ; implicit-def: $vgpr22
                                        ; implicit-def: $vgpr24_vgpr25
	s_nop 1
	v_mul_f64 v[6:7], v[20:21], -v[4:5]
	v_mul_f64 v[8:9], v[2:3], v[20:21]
	v_fmac_f64_e32 v[6:7], v[2:3], v[12:13]
	v_fmac_f64_e32 v[8:9], v[4:5], v[12:13]
	global_store_dwordx4 v[16:17], v[6:9], off offset:16
                                        ; implicit-def: $vgpr12_vgpr13
                                        ; implicit-def: $vgpr20_vgpr21
	s_nop 1
	v_mul_f64 v[6:7], v[18:19], -v[4:5]
	v_mul_f64 v[8:9], v[2:3], v[18:19]
	v_fmac_f64_e32 v[6:7], v[2:3], v[10:11]
	v_fmac_f64_e32 v[8:9], v[4:5], v[10:11]
	global_store_dwordx4 v[16:17], v[6:9], off offset:32
                                        ; implicit-def: $vgpr10_vgpr11
                                        ; implicit-def: $vgpr18_vgpr19
	s_nop 1
	v_mul_f64 v[6:7], v[14:15], -v[4:5]
	v_mul_f64 v[8:9], v[2:3], v[14:15]
	v_fmac_f64_e32 v[6:7], v[2:3], v[0:1]
	v_fmac_f64_e32 v[8:9], v[4:5], v[0:1]
	global_store_dwordx4 v[16:17], v[6:9], off offset:48
                                        ; implicit-def: $vgpr16_vgpr17
                                        ; implicit-def: $vgpr0_vgpr1
                                        ; implicit-def: $vgpr14_vgpr15
                                        ; implicit-def: $vgpr8_vgpr9
                                        ; implicit-def: $vgpr4_vgpr5
.LBB134_19:
	s_andn2_saveexec_b64 s[0:1], s[0:1]
	s_cbranch_execz .LBB134_21
; %bb.20:
	v_lshlrev_b32_e32 v22, 2, v22
	v_ashrrev_i32_e32 v23, 31, v22
	s_waitcnt lgkmcnt(0)
	v_lshl_add_u64 v[46:47], v[22:23], 4, s[2:3]
	global_load_dwordx4 v[26:29], v[46:47], off
	global_load_dwordx4 v[30:33], v[46:47], off offset:16
	global_load_dwordx4 v[34:37], v[46:47], off offset:32
	;; [unrolled: 1-line block ×3, first 2 shown]
	v_mul_f64 v[42:43], v[24:25], -v[4:5]
	v_mul_f64 v[22:23], v[2:3], v[24:25]
	v_mul_f64 v[24:25], v[20:21], -v[4:5]
	v_mul_f64 v[44:45], v[2:3], v[20:21]
	;; [unrolled: 2-line block ×4, first 2 shown]
	v_fmac_f64_e32 v[42:43], v[2:3], v[16:17]
	v_fmac_f64_e32 v[22:23], v[4:5], v[16:17]
	v_fmac_f64_e32 v[24:25], v[2:3], v[12:13]
	v_fmac_f64_e32 v[44:45], v[4:5], v[12:13]
	v_fmac_f64_e32 v[48:49], v[2:3], v[10:11]
	v_fmac_f64_e32 v[18:19], v[4:5], v[10:11]
	v_fmac_f64_e32 v[50:51], v[2:3], v[0:1]
	v_fmac_f64_e32 v[14:15], v[4:5], v[0:1]
	s_waitcnt vmcnt(3)
	v_fmac_f64_e32 v[42:43], v[6:7], v[26:27]
	v_fmac_f64_e32 v[22:23], v[8:9], v[26:27]
	s_waitcnt vmcnt(2)
	v_fmac_f64_e32 v[24:25], v[6:7], v[30:31]
	v_fmac_f64_e32 v[44:45], v[8:9], v[30:31]
	;; [unrolled: 3-line block ×4, first 2 shown]
	v_fma_f64 v[20:21], -v[8:9], v[28:29], v[42:43]
	v_fmac_f64_e32 v[22:23], v[6:7], v[28:29]
	v_fma_f64 v[42:43], -v[8:9], v[32:33], v[24:25]
	v_fmac_f64_e32 v[44:45], v[6:7], v[32:33]
	;; [unrolled: 2-line block ×4, first 2 shown]
	global_store_dwordx4 v[46:47], v[20:23], off
	global_store_dwordx4 v[46:47], v[42:45], off offset:16
	global_store_dwordx4 v[46:47], v[16:19], off offset:32
	;; [unrolled: 1-line block ×3, first 2 shown]
.LBB134_21:
	s_endpgm
	.section	.rodata,"a",@progbits
	.p2align	6, 0x0
	.amdhsa_kernel _ZN9rocsparseL19gebsrmvn_4xn_kernelILj128ELj6ELj32E21rocsparse_complex_numIdEEEvi20rocsparse_direction_NS_24const_host_device_scalarIT2_EEPKiS8_PKS5_SA_S6_PS5_21rocsparse_index_base_b
		.amdhsa_group_segment_fixed_size 0
		.amdhsa_private_segment_fixed_size 0
		.amdhsa_kernarg_size 88
		.amdhsa_user_sgpr_count 2
		.amdhsa_user_sgpr_dispatch_ptr 0
		.amdhsa_user_sgpr_queue_ptr 0
		.amdhsa_user_sgpr_kernarg_segment_ptr 1
		.amdhsa_user_sgpr_dispatch_id 0
		.amdhsa_user_sgpr_kernarg_preload_length 0
		.amdhsa_user_sgpr_kernarg_preload_offset 0
		.amdhsa_user_sgpr_private_segment_size 0
		.amdhsa_uses_dynamic_stack 0
		.amdhsa_enable_private_segment 0
		.amdhsa_system_sgpr_workgroup_id_x 1
		.amdhsa_system_sgpr_workgroup_id_y 0
		.amdhsa_system_sgpr_workgroup_id_z 0
		.amdhsa_system_sgpr_workgroup_info 0
		.amdhsa_system_vgpr_workitem_id 0
		.amdhsa_next_free_vgpr 94
		.amdhsa_next_free_sgpr 16
		.amdhsa_accum_offset 96
		.amdhsa_reserve_vcc 1
		.amdhsa_float_round_mode_32 0
		.amdhsa_float_round_mode_16_64 0
		.amdhsa_float_denorm_mode_32 3
		.amdhsa_float_denorm_mode_16_64 3
		.amdhsa_dx10_clamp 1
		.amdhsa_ieee_mode 1
		.amdhsa_fp16_overflow 0
		.amdhsa_tg_split 0
		.amdhsa_exception_fp_ieee_invalid_op 0
		.amdhsa_exception_fp_denorm_src 0
		.amdhsa_exception_fp_ieee_div_zero 0
		.amdhsa_exception_fp_ieee_overflow 0
		.amdhsa_exception_fp_ieee_underflow 0
		.amdhsa_exception_fp_ieee_inexact 0
		.amdhsa_exception_int_div_zero 0
	.end_amdhsa_kernel
	.section	.text._ZN9rocsparseL19gebsrmvn_4xn_kernelILj128ELj6ELj32E21rocsparse_complex_numIdEEEvi20rocsparse_direction_NS_24const_host_device_scalarIT2_EEPKiS8_PKS5_SA_S6_PS5_21rocsparse_index_base_b,"axG",@progbits,_ZN9rocsparseL19gebsrmvn_4xn_kernelILj128ELj6ELj32E21rocsparse_complex_numIdEEEvi20rocsparse_direction_NS_24const_host_device_scalarIT2_EEPKiS8_PKS5_SA_S6_PS5_21rocsparse_index_base_b,comdat
.Lfunc_end134:
	.size	_ZN9rocsparseL19gebsrmvn_4xn_kernelILj128ELj6ELj32E21rocsparse_complex_numIdEEEvi20rocsparse_direction_NS_24const_host_device_scalarIT2_EEPKiS8_PKS5_SA_S6_PS5_21rocsparse_index_base_b, .Lfunc_end134-_ZN9rocsparseL19gebsrmvn_4xn_kernelILj128ELj6ELj32E21rocsparse_complex_numIdEEEvi20rocsparse_direction_NS_24const_host_device_scalarIT2_EEPKiS8_PKS5_SA_S6_PS5_21rocsparse_index_base_b
                                        ; -- End function
	.set _ZN9rocsparseL19gebsrmvn_4xn_kernelILj128ELj6ELj32E21rocsparse_complex_numIdEEEvi20rocsparse_direction_NS_24const_host_device_scalarIT2_EEPKiS8_PKS5_SA_S6_PS5_21rocsparse_index_base_b.num_vgpr, 94
	.set _ZN9rocsparseL19gebsrmvn_4xn_kernelILj128ELj6ELj32E21rocsparse_complex_numIdEEEvi20rocsparse_direction_NS_24const_host_device_scalarIT2_EEPKiS8_PKS5_SA_S6_PS5_21rocsparse_index_base_b.num_agpr, 0
	.set _ZN9rocsparseL19gebsrmvn_4xn_kernelILj128ELj6ELj32E21rocsparse_complex_numIdEEEvi20rocsparse_direction_NS_24const_host_device_scalarIT2_EEPKiS8_PKS5_SA_S6_PS5_21rocsparse_index_base_b.numbered_sgpr, 16
	.set _ZN9rocsparseL19gebsrmvn_4xn_kernelILj128ELj6ELj32E21rocsparse_complex_numIdEEEvi20rocsparse_direction_NS_24const_host_device_scalarIT2_EEPKiS8_PKS5_SA_S6_PS5_21rocsparse_index_base_b.num_named_barrier, 0
	.set _ZN9rocsparseL19gebsrmvn_4xn_kernelILj128ELj6ELj32E21rocsparse_complex_numIdEEEvi20rocsparse_direction_NS_24const_host_device_scalarIT2_EEPKiS8_PKS5_SA_S6_PS5_21rocsparse_index_base_b.private_seg_size, 0
	.set _ZN9rocsparseL19gebsrmvn_4xn_kernelILj128ELj6ELj32E21rocsparse_complex_numIdEEEvi20rocsparse_direction_NS_24const_host_device_scalarIT2_EEPKiS8_PKS5_SA_S6_PS5_21rocsparse_index_base_b.uses_vcc, 1
	.set _ZN9rocsparseL19gebsrmvn_4xn_kernelILj128ELj6ELj32E21rocsparse_complex_numIdEEEvi20rocsparse_direction_NS_24const_host_device_scalarIT2_EEPKiS8_PKS5_SA_S6_PS5_21rocsparse_index_base_b.uses_flat_scratch, 0
	.set _ZN9rocsparseL19gebsrmvn_4xn_kernelILj128ELj6ELj32E21rocsparse_complex_numIdEEEvi20rocsparse_direction_NS_24const_host_device_scalarIT2_EEPKiS8_PKS5_SA_S6_PS5_21rocsparse_index_base_b.has_dyn_sized_stack, 0
	.set _ZN9rocsparseL19gebsrmvn_4xn_kernelILj128ELj6ELj32E21rocsparse_complex_numIdEEEvi20rocsparse_direction_NS_24const_host_device_scalarIT2_EEPKiS8_PKS5_SA_S6_PS5_21rocsparse_index_base_b.has_recursion, 0
	.set _ZN9rocsparseL19gebsrmvn_4xn_kernelILj128ELj6ELj32E21rocsparse_complex_numIdEEEvi20rocsparse_direction_NS_24const_host_device_scalarIT2_EEPKiS8_PKS5_SA_S6_PS5_21rocsparse_index_base_b.has_indirect_call, 0
	.section	.AMDGPU.csdata,"",@progbits
; Kernel info:
; codeLenInByte = 3984
; TotalNumSgprs: 22
; NumVgprs: 94
; NumAgprs: 0
; TotalNumVgprs: 94
; ScratchSize: 0
; MemoryBound: 1
; FloatMode: 240
; IeeeMode: 1
; LDSByteSize: 0 bytes/workgroup (compile time only)
; SGPRBlocks: 2
; VGPRBlocks: 11
; NumSGPRsForWavesPerEU: 22
; NumVGPRsForWavesPerEU: 94
; AccumOffset: 96
; Occupancy: 5
; WaveLimiterHint : 1
; COMPUTE_PGM_RSRC2:SCRATCH_EN: 0
; COMPUTE_PGM_RSRC2:USER_SGPR: 2
; COMPUTE_PGM_RSRC2:TRAP_HANDLER: 0
; COMPUTE_PGM_RSRC2:TGID_X_EN: 1
; COMPUTE_PGM_RSRC2:TGID_Y_EN: 0
; COMPUTE_PGM_RSRC2:TGID_Z_EN: 0
; COMPUTE_PGM_RSRC2:TIDIG_COMP_CNT: 0
; COMPUTE_PGM_RSRC3_GFX90A:ACCUM_OFFSET: 23
; COMPUTE_PGM_RSRC3_GFX90A:TG_SPLIT: 0
	.section	.text._ZN9rocsparseL19gebsrmvn_4xn_kernelILj128ELj6ELj64E21rocsparse_complex_numIdEEEvi20rocsparse_direction_NS_24const_host_device_scalarIT2_EEPKiS8_PKS5_SA_S6_PS5_21rocsparse_index_base_b,"axG",@progbits,_ZN9rocsparseL19gebsrmvn_4xn_kernelILj128ELj6ELj64E21rocsparse_complex_numIdEEEvi20rocsparse_direction_NS_24const_host_device_scalarIT2_EEPKiS8_PKS5_SA_S6_PS5_21rocsparse_index_base_b,comdat
	.globl	_ZN9rocsparseL19gebsrmvn_4xn_kernelILj128ELj6ELj64E21rocsparse_complex_numIdEEEvi20rocsparse_direction_NS_24const_host_device_scalarIT2_EEPKiS8_PKS5_SA_S6_PS5_21rocsparse_index_base_b ; -- Begin function _ZN9rocsparseL19gebsrmvn_4xn_kernelILj128ELj6ELj64E21rocsparse_complex_numIdEEEvi20rocsparse_direction_NS_24const_host_device_scalarIT2_EEPKiS8_PKS5_SA_S6_PS5_21rocsparse_index_base_b
	.p2align	8
	.type	_ZN9rocsparseL19gebsrmvn_4xn_kernelILj128ELj6ELj64E21rocsparse_complex_numIdEEEvi20rocsparse_direction_NS_24const_host_device_scalarIT2_EEPKiS8_PKS5_SA_S6_PS5_21rocsparse_index_base_b,@function
_ZN9rocsparseL19gebsrmvn_4xn_kernelILj128ELj6ELj64E21rocsparse_complex_numIdEEEvi20rocsparse_direction_NS_24const_host_device_scalarIT2_EEPKiS8_PKS5_SA_S6_PS5_21rocsparse_index_base_b: ; @_ZN9rocsparseL19gebsrmvn_4xn_kernelILj128ELj6ELj64E21rocsparse_complex_numIdEEEvi20rocsparse_direction_NS_24const_host_device_scalarIT2_EEPKiS8_PKS5_SA_S6_PS5_21rocsparse_index_base_b
; %bb.0:
	s_load_dwordx2 s[4:5], s[0:1], 0x8
	s_load_dwordx2 s[6:7], s[0:1], 0x38
	;; [unrolled: 1-line block ×3, first 2 shown]
	s_add_u32 s3, s0, 8
	s_addc_u32 s8, s1, 0
	s_add_u32 s9, s0, 56
	s_addc_u32 s10, s1, 0
	s_waitcnt lgkmcnt(0)
	s_bitcmp1_b32 s13, 0
	s_cselect_b32 s5, s8, s5
	s_cselect_b32 s3, s3, s4
	v_mov_b32_e32 v2, s3
	v_mov_b32_e32 v3, s5
	flat_load_dwordx4 v[2:5], v[2:3]
	s_cselect_b32 s3, s10, s7
	s_cselect_b32 s4, s9, s6
	v_mov_b32_e32 v6, s4
	v_mov_b32_e32 v7, s3
	flat_load_dwordx4 v[6:9], v[6:7]
	s_waitcnt vmcnt(0) lgkmcnt(0)
	v_cmp_eq_f64_e32 vcc, 0, v[2:3]
	v_cmp_eq_f64_e64 s[4:5], 0, v[4:5]
	s_and_b64 s[8:9], vcc, s[4:5]
	s_mov_b64 s[4:5], -1
	s_and_saveexec_b64 s[6:7], s[8:9]
; %bb.1:
	v_cmp_neq_f64_e32 vcc, 1.0, v[6:7]
	v_cmp_neq_f64_e64 s[4:5], 0, v[8:9]
	s_or_b64 s[4:5], vcc, s[4:5]
	s_orn2_b64 s[4:5], s[4:5], exec
; %bb.2:
	s_or_b64 exec, exec, s[6:7]
	s_and_saveexec_b64 s[6:7], s[4:5]
	s_cbranch_execz .LBB135_21
; %bb.3:
	s_load_dwordx2 s[14:15], s[0:1], 0x0
	v_lshrrev_b32_e32 v1, 6, v0
	v_lshl_or_b32 v22, s2, 1, v1
	s_waitcnt lgkmcnt(0)
	v_cmp_gt_i32_e32 vcc, s14, v22
	s_and_b64 exec, exec, vcc
	s_cbranch_execz .LBB135_21
; %bb.4:
	s_load_dwordx8 s[4:11], s[0:1], 0x18
	v_ashrrev_i32_e32 v23, 31, v22
	s_cmp_lg_u32 s15, 0
	s_waitcnt lgkmcnt(0)
	v_lshl_add_u64 v[10:11], v[22:23], 2, s[4:5]
	global_load_dwordx2 v[10:11], v[10:11], off
	v_and_b32_e32 v23, 63, v0
	s_waitcnt vmcnt(0)
	v_subrev_u32_e32 v0, s12, v10
	v_subrev_u32_e32 v46, s12, v11
	v_add_u32_e32 v30, v0, v23
	v_cmp_lt_i32_e64 s[2:3], v30, v46
	s_cbranch_scc0 .LBB135_10
; %bb.5:
	v_mov_b64_e32 v[28:29], 0
	v_mov_b64_e32 v[16:17], 0
	;; [unrolled: 1-line block ×8, first 2 shown]
	s_and_saveexec_b64 s[4:5], s[2:3]
	s_cbranch_execz .LBB135_9
; %bb.6:
	v_mad_u64_u32 v[38:39], s[14:15], v30, 24, 20
	v_mov_b64_e32 v[28:29], 0
	s_mov_b64 s[14:15], 0
	v_mov_b32_e32 v41, 0
	v_mov_b32_e32 v42, v30
	v_mov_b64_e32 v[16:17], 0
	v_mov_b64_e32 v[32:33], 0
	;; [unrolled: 1-line block ×7, first 2 shown]
.LBB135_7:                              ; =>This Inner Loop Header: Depth=1
	v_ashrrev_i32_e32 v43, 31, v42
	v_subrev_u32_e32 v40, 20, v38
	v_lshl_add_u64 v[10:11], v[42:43], 2, s[6:7]
	v_lshl_add_u64 v[12:13], v[40:41], 4, s[8:9]
	global_load_dword v14, v[10:11], off
	global_load_dwordx4 v[48:51], v[12:13], off offset:48
	global_load_dwordx4 v[52:55], v[12:13], off offset:32
	;; [unrolled: 1-line block ×3, first 2 shown]
	global_load_dwordx4 v[56:59], v[12:13], off
	global_load_dwordx4 v[60:63], v[12:13], off offset:112
	global_load_dwordx4 v[64:67], v[12:13], off offset:96
	;; [unrolled: 1-line block ×4, first 2 shown]
	v_mov_b32_e32 v45, v41
	v_mov_b32_e32 v39, v41
	v_lshl_add_u64 v[84:85], v[38:39], 4, s[8:9]
	global_load_dwordx4 v[10:13], v[84:85], off offset:16
	v_add_u32_e32 v40, -12, v38
	v_lshl_add_u64 v[86:87], v[40:41], 4, s[8:9]
	v_add_u32_e32 v42, 64, v42
	v_cmp_ge_i32_e32 vcc, v42, v46
	s_or_b64 s[14:15], vcc, s[14:15]
	s_waitcnt vmcnt(9)
	v_subrev_u32_e32 v14, s12, v14
	v_mul_lo_u32 v44, v14, 6
	v_lshl_add_u64 v[14:15], v[44:45], 4, s[10:11]
	global_load_dwordx4 v[76:79], v[14:15], off
	global_load_dwordx4 v[80:83], v[14:15], off offset:16
	v_add_u32_e32 v40, 2, v44
	s_waitcnt vmcnt(1)
	v_fmac_f64_e32 v[16:17], v[56:57], v[76:77]
	v_fmac_f64_e32 v[28:29], v[58:59], v[76:77]
	;; [unrolled: 1-line block ×4, first 2 shown]
	v_fma_f64 v[88:89], -v[58:59], v[78:79], v[16:17]
	v_fmac_f64_e32 v[28:29], v[56:57], v[78:79]
	v_fma_f64 v[90:91], -v[20:21], v[78:79], v[36:37]
	v_fmac_f64_e32 v[26:27], v[18:19], v[78:79]
	v_fmac_f64_e32 v[34:35], v[52:53], v[76:77]
	;; [unrolled: 1-line block ×5, first 2 shown]
	s_waitcnt vmcnt(0)
	v_fmac_f64_e32 v[88:89], v[72:73], v[80:81]
	v_fmac_f64_e32 v[28:29], v[74:75], v[80:81]
	v_lshl_add_u64 v[76:77], v[40:41], 4, s[10:11]
	v_fmac_f64_e32 v[90:91], v[68:69], v[80:81]
	v_fmac_f64_e32 v[26:27], v[70:71], v[80:81]
	global_load_dwordx4 v[14:17], v[84:85], off
	global_load_dwordx4 v[18:21], v[84:85], off offset:32
	global_load_dwordx4 v[56:59], v[84:85], off offset:48
	v_fma_f64 v[84:85], -v[54:55], v[78:79], v[34:35]
	v_fmac_f64_e32 v[24:25], v[52:53], v[78:79]
	global_load_dwordx4 v[34:37], v[86:87], off offset:32
	v_fma_f64 v[32:33], -v[50:51], v[78:79], v[32:33]
	v_fmac_f64_e32 v[0:1], v[48:49], v[78:79]
	global_load_dwordx4 v[48:51], v[86:87], off offset:16
	global_load_dwordx4 v[52:55], v[86:87], off
	v_fma_f64 v[88:89], -v[74:75], v[82:83], v[88:89]
	v_fmac_f64_e32 v[28:29], v[72:73], v[82:83]
	global_load_dwordx4 v[72:75], v[86:87], off offset:48
	v_fma_f64 v[86:87], -v[70:71], v[82:83], v[90:91]
	v_fmac_f64_e32 v[26:27], v[68:69], v[82:83]
	global_load_dwordx4 v[68:71], v[76:77], off
	v_add_u32_e32 v40, -8, v38
	v_fmac_f64_e32 v[84:85], v[64:65], v[80:81]
	v_fmac_f64_e32 v[24:25], v[66:67], v[80:81]
	v_lshl_add_u64 v[90:91], v[40:41], 4, s[8:9]
	v_fmac_f64_e32 v[32:33], v[60:61], v[80:81]
	v_fmac_f64_e32 v[0:1], v[62:63], v[80:81]
	v_fma_f64 v[84:85], -v[66:67], v[82:83], v[84:85]
	v_fmac_f64_e32 v[24:25], v[64:65], v[82:83]
	global_load_dwordx4 v[64:67], v[76:77], off offset:16
	v_fma_f64 v[80:81], -v[62:63], v[82:83], v[32:33]
	v_fmac_f64_e32 v[0:1], v[60:61], v[82:83]
	global_load_dwordx4 v[60:63], v[90:91], off
	global_load_dwordx4 v[76:79], v[90:91], off offset:16
	v_add_u32_e32 v40, -4, v38
	v_lshl_add_u64 v[92:93], v[40:41], 4, s[8:9]
	v_add_u32_e32 v40, 4, v44
	v_add_u32_e32 v38, 0x600, v38
	s_waitcnt vmcnt(3)
	v_fmac_f64_e32 v[88:89], v[52:53], v[68:69]
	v_fmac_f64_e32 v[28:29], v[54:55], v[68:69]
	;; [unrolled: 1-line block ×4, first 2 shown]
	v_fma_f64 v[44:45], -v[54:55], v[70:71], v[88:89]
	v_fmac_f64_e32 v[28:29], v[52:53], v[70:71]
	global_load_dwordx4 v[52:55], v[90:91], off offset:32
	v_fma_f64 v[86:87], -v[50:51], v[70:71], v[86:87]
	v_fmac_f64_e32 v[26:27], v[48:49], v[70:71]
	global_load_dwordx4 v[48:51], v[90:91], off offset:48
	v_fmac_f64_e32 v[84:85], v[34:35], v[68:69]
	v_fmac_f64_e32 v[24:25], v[36:37], v[68:69]
	;; [unrolled: 1-line block ×4, first 2 shown]
	v_fma_f64 v[36:37], -v[36:37], v[70:71], v[84:85]
	v_fmac_f64_e32 v[24:25], v[34:35], v[70:71]
	global_load_dwordx4 v[32:35], v[92:93], off offset:48
	v_fma_f64 v[84:85], -v[74:75], v[70:71], v[80:81]
	v_fmac_f64_e32 v[0:1], v[72:73], v[70:71]
	global_load_dwordx4 v[68:71], v[92:93], off offset:32
	global_load_dwordx4 v[72:75], v[92:93], off offset:16
	global_load_dwordx4 v[80:83], v[92:93], off
	s_waitcnt vmcnt(7)
	v_fmac_f64_e32 v[44:45], v[60:61], v[64:65]
	v_fmac_f64_e32 v[28:29], v[62:63], v[64:65]
	v_lshl_add_u64 v[88:89], v[40:41], 4, s[10:11]
	s_waitcnt vmcnt(6)
	v_fmac_f64_e32 v[86:87], v[76:77], v[64:65]
	v_fmac_f64_e32 v[26:27], v[78:79], v[64:65]
	v_fma_f64 v[44:45], -v[62:63], v[66:67], v[44:45]
	v_fmac_f64_e32 v[28:29], v[60:61], v[66:67]
	v_fma_f64 v[86:87], -v[78:79], v[66:67], v[86:87]
	v_fmac_f64_e32 v[26:27], v[76:77], v[66:67]
	global_load_dwordx4 v[60:63], v[88:89], off
	global_load_dwordx4 v[76:79], v[88:89], off offset:16
	s_waitcnt vmcnt(7)
	v_fmac_f64_e32 v[36:37], v[52:53], v[64:65]
	v_fmac_f64_e32 v[24:25], v[54:55], v[64:65]
	v_fma_f64 v[36:37], -v[54:55], v[66:67], v[36:37]
	s_waitcnt vmcnt(6)
	v_fmac_f64_e32 v[84:85], v[48:49], v[64:65]
	v_fmac_f64_e32 v[0:1], v[50:51], v[64:65]
	;; [unrolled: 1-line block ×3, first 2 shown]
	v_fma_f64 v[50:51], -v[50:51], v[66:67], v[84:85]
	v_fmac_f64_e32 v[0:1], v[48:49], v[66:67]
	s_waitcnt vmcnt(1)
	v_fmac_f64_e32 v[44:45], v[80:81], v[60:61]
	v_fmac_f64_e32 v[28:29], v[82:83], v[60:61]
	;; [unrolled: 1-line block ×8, first 2 shown]
	v_fma_f64 v[44:45], -v[82:83], v[62:63], v[44:45]
	v_fmac_f64_e32 v[28:29], v[80:81], v[62:63]
	v_fma_f64 v[48:49], -v[74:75], v[62:63], v[86:87]
	v_fmac_f64_e32 v[26:27], v[72:73], v[62:63]
	;; [unrolled: 2-line block ×4, first 2 shown]
	s_waitcnt vmcnt(0)
	v_fmac_f64_e32 v[44:45], v[14:15], v[76:77]
	v_fmac_f64_e32 v[28:29], v[16:17], v[76:77]
	;; [unrolled: 1-line block ×8, first 2 shown]
	v_fma_f64 v[16:17], -v[16:17], v[78:79], v[44:45]
	v_fmac_f64_e32 v[28:29], v[14:15], v[78:79]
	v_fma_f64 v[36:37], -v[12:13], v[78:79], v[48:49]
	v_fmac_f64_e32 v[26:27], v[10:11], v[78:79]
	;; [unrolled: 2-line block ×4, first 2 shown]
	s_andn2_b64 exec, exec, s[14:15]
	s_cbranch_execnz .LBB135_7
; %bb.8:
	s_or_b64 exec, exec, s[14:15]
.LBB135_9:
	s_or_b64 exec, exec, s[4:5]
	s_cbranch_execz .LBB135_11
	s_branch .LBB135_16
.LBB135_10:
                                        ; implicit-def: $vgpr28_vgpr29
                                        ; implicit-def: $vgpr16_vgpr17
                                        ; implicit-def: $vgpr32_vgpr33
                                        ; implicit-def: $vgpr0_vgpr1
                                        ; implicit-def: $vgpr34_vgpr35
                                        ; implicit-def: $vgpr24_vgpr25
                                        ; implicit-def: $vgpr36_vgpr37
                                        ; implicit-def: $vgpr26_vgpr27
.LBB135_11:
	v_mov_b64_e32 v[28:29], 0
	v_mov_b64_e32 v[16:17], 0
	;; [unrolled: 1-line block ×8, first 2 shown]
	s_and_saveexec_b64 s[4:5], s[2:3]
	s_cbranch_execz .LBB135_15
; %bb.12:
	v_mad_u64_u32 v[10:11], s[2:3], v30, 24, 23
	v_mov_b64_e32 v[28:29], 0
	s_mov_b64 s[2:3], 0
	v_mov_b32_e32 v13, 0
	v_mov_b64_e32 v[16:17], 0
	v_mov_b64_e32 v[32:33], 0
	;; [unrolled: 1-line block ×7, first 2 shown]
.LBB135_13:                             ; =>This Inner Loop Header: Depth=1
	v_ashrrev_i32_e32 v31, 31, v30
	v_subrev_u32_e32 v12, 23, v10
	v_add_u32_e32 v20, -11, v10
	v_add_u32_e32 v18, -5, v10
	v_mov_b32_e32 v21, v13
	v_mov_b32_e32 v19, v13
	;; [unrolled: 1-line block ×3, first 2 shown]
	v_lshl_add_u64 v[64:65], v[30:31], 2, s[6:7]
	v_lshl_add_u64 v[76:77], v[12:13], 4, s[8:9]
	;; [unrolled: 1-line block ×5, first 2 shown]
	global_load_dword v11, v[64:65], off
	global_load_dwordx4 v[18:21], v[76:77], off offset:16
	global_load_dwordx4 v[38:41], v[76:77], off
	global_load_dwordx4 v[42:45], v[76:77], off offset:112
	global_load_dwordx4 v[48:51], v[76:77], off offset:96
	global_load_dwordx4 v[52:55], v[66:67], off
	global_load_dwordx4 v[56:59], v[68:69], off
	global_load_dwordx4 v[60:63], v[76:77], off offset:48
	v_mov_b32_e32 v15, v13
	v_add_u32_e32 v12, -10, v10
	v_add_u32_e32 v30, 64, v30
	v_cmp_ge_i32_e32 vcc, v30, v46
	s_or_b64 s[2:3], vcc, s[2:3]
	s_waitcnt vmcnt(7)
	v_subrev_u32_e32 v11, s12, v11
	v_mul_lo_u32 v14, v11, 6
	v_lshl_add_u64 v[72:73], v[14:15], 4, s[10:11]
	global_load_dwordx4 v[64:67], v[72:73], off
	global_load_dwordx4 v[68:71], v[72:73], off offset:16
	s_waitcnt vmcnt(1)
	v_fmac_f64_e32 v[16:17], v[38:39], v[64:65]
	v_fmac_f64_e32 v[28:29], v[40:41], v[64:65]
	;; [unrolled: 1-line block ×5, first 2 shown]
	v_fma_f64 v[16:17], -v[40:41], v[66:67], v[16:17]
	v_fmac_f64_e32 v[28:29], v[38:39], v[66:67]
	global_load_dwordx4 v[38:41], v[76:77], off offset:32
	v_fma_f64 v[80:81], -v[50:51], v[66:67], v[36:37]
	v_fmac_f64_e32 v[26:27], v[48:49], v[66:67]
	global_load_dwordx4 v[48:51], v[76:77], off offset:80
	global_load_dwordx4 v[72:75], v[76:77], off offset:64
	v_fma_f64 v[76:77], -v[54:55], v[66:67], v[34:35]
	v_lshl_add_u64 v[34:35], v[12:13], 4, s[8:9]
	v_add_u32_e32 v12, -4, v10
	v_fmac_f64_e32 v[32:33], v[56:57], v[64:65]
	v_fmac_f64_e32 v[24:25], v[54:55], v[64:65]
	global_load_dwordx4 v[34:37], v[34:35], off
	v_fmac_f64_e32 v[0:1], v[58:59], v[64:65]
	v_fma_f64 v[64:65], -v[58:59], v[66:67], v[32:33]
	v_lshl_add_u64 v[32:33], v[12:13], 4, s[8:9]
	v_fmac_f64_e32 v[24:25], v[52:53], v[66:67]
	global_load_dwordx4 v[52:55], v[32:33], off
	v_add_u32_e32 v12, 2, v14
	v_lshl_add_u64 v[32:33], v[12:13], 4, s[10:11]
	v_add_u32_e32 v12, -15, v10
	s_waitcnt vmcnt(5)
	v_fmac_f64_e32 v[16:17], v[18:19], v[68:69]
	v_fmac_f64_e32 v[28:29], v[20:21], v[68:69]
	;; [unrolled: 1-line block ×3, first 2 shown]
	v_fma_f64 v[20:21], -v[20:21], v[70:71], v[16:17]
	v_fmac_f64_e32 v[28:29], v[18:19], v[70:71]
	global_load_dwordx4 v[16:19], v[32:33], off
	global_load_dwordx4 v[56:59], v[32:33], off offset:16
	v_fmac_f64_e32 v[80:81], v[42:43], v[68:69]
	v_fmac_f64_e32 v[26:27], v[44:45], v[68:69]
	v_lshl_add_u64 v[32:33], v[12:13], 4, s[8:9]
	v_fma_f64 v[80:81], -v[44:45], v[70:71], v[80:81]
	v_fmac_f64_e32 v[26:27], v[42:43], v[70:71]
	global_load_dwordx4 v[42:45], v[32:33], off
	v_add_u32_e32 v12, -9, v10
	v_lshl_add_u64 v[32:33], v[12:13], 4, s[8:9]
	v_add_u32_e32 v12, -3, v10
	s_waitcnt vmcnt(4)
	v_fmac_f64_e32 v[76:77], v[34:35], v[68:69]
	v_fmac_f64_e32 v[24:25], v[36:37], v[68:69]
	v_fma_f64 v[76:77], -v[36:37], v[70:71], v[76:77]
	v_lshl_add_u64 v[36:37], v[12:13], 4, s[8:9]
	v_fmac_f64_e32 v[24:25], v[34:35], v[70:71]
	s_waitcnt vmcnt(3)
	v_fmac_f64_e32 v[64:65], v[52:53], v[68:69]
	v_fmac_f64_e32 v[0:1], v[54:55], v[68:69]
	global_load_dwordx4 v[32:35], v[32:33], off
	v_fma_f64 v[68:69], -v[54:55], v[70:71], v[64:65]
	v_fmac_f64_e32 v[0:1], v[52:53], v[70:71]
	global_load_dwordx4 v[52:55], v[36:37], off
	v_add_u32_e32 v12, -14, v10
	v_lshl_add_u64 v[36:37], v[12:13], 4, s[8:9]
	v_add_u32_e32 v12, -8, v10
	s_waitcnt vmcnt(4)
	v_fmac_f64_e32 v[20:21], v[38:39], v[16:17]
	global_load_dwordx4 v[64:67], v[36:37], off
	v_fmac_f64_e32 v[28:29], v[40:41], v[16:17]
	v_fma_f64 v[70:71], -v[40:41], v[18:19], v[20:21]
	v_lshl_add_u64 v[20:21], v[12:13], 4, s[8:9]
	v_add_u32_e32 v12, -2, v10
	v_fmac_f64_e32 v[28:29], v[38:39], v[18:19]
	v_lshl_add_u64 v[40:41], v[12:13], 4, s[8:9]
	global_load_dwordx4 v[36:39], v[20:21], off
	s_waitcnt vmcnt(4)
	v_fmac_f64_e32 v[26:27], v[44:45], v[16:17]
	v_fmac_f64_e32 v[80:81], v[42:43], v[16:17]
	;; [unrolled: 1-line block ×3, first 2 shown]
	global_load_dwordx4 v[40:43], v[40:41], off
	v_add_u32_e32 v12, 4, v14
	v_lshl_add_u64 v[14:15], v[12:13], 4, s[10:11]
	v_add_u32_e32 v12, -13, v10
	v_fma_f64 v[44:45], -v[44:45], v[18:19], v[80:81]
	v_fmac_f64_e32 v[28:29], v[62:63], v[56:57]
	v_fmac_f64_e32 v[70:71], v[60:61], v[56:57]
	;; [unrolled: 1-line block ×3, first 2 shown]
	v_fma_f64 v[70:71], -v[62:63], v[58:59], v[70:71]
	s_waitcnt vmcnt(4)
	v_fmac_f64_e32 v[76:77], v[32:33], v[16:17]
	v_fmac_f64_e32 v[24:25], v[34:35], v[16:17]
	v_fma_f64 v[76:77], -v[34:35], v[18:19], v[76:77]
	s_waitcnt vmcnt(3)
	v_fmac_f64_e32 v[68:69], v[52:53], v[16:17]
	v_fmac_f64_e32 v[0:1], v[54:55], v[16:17]
	;; [unrolled: 1-line block ×3, first 2 shown]
	global_load_dwordx4 v[32:35], v[14:15], off
	v_fma_f64 v[68:69], -v[54:55], v[18:19], v[68:69]
	v_fmac_f64_e32 v[0:1], v[52:53], v[18:19]
	global_load_dwordx4 v[18:21], v[14:15], off offset:16
	v_lshl_add_u64 v[14:15], v[12:13], 4, s[8:9]
	v_add_u32_e32 v12, -7, v10
	v_lshl_add_u64 v[52:53], v[12:13], 4, s[8:9]
	v_add_u32_e32 v12, -1, v10
	v_lshl_add_u64 v[60:61], v[12:13], 4, s[8:9]
	v_add_u32_e32 v12, -12, v10
	s_waitcnt vmcnt(4)
	v_fmac_f64_e32 v[44:45], v[64:65], v[56:57]
	global_load_dwordx4 v[14:17], v[14:15], off
	v_fma_f64 v[80:81], -v[66:67], v[58:59], v[44:45]
	global_load_dwordx4 v[52:55], v[52:53], off
	v_lshl_add_u64 v[44:45], v[12:13], 4, s[8:9]
	global_load_dwordx4 v[60:63], v[60:61], off
	v_add_u32_e32 v12, -6, v10
	s_waitcnt vmcnt(6)
	v_fmac_f64_e32 v[24:25], v[38:39], v[56:57]
	v_fmac_f64_e32 v[26:27], v[66:67], v[56:57]
	;; [unrolled: 1-line block ×4, first 2 shown]
	v_lshl_add_u64 v[36:37], v[12:13], 4, s[8:9]
	s_waitcnt vmcnt(5)
	v_fmac_f64_e32 v[68:69], v[40:41], v[56:57]
	v_fmac_f64_e32 v[0:1], v[42:43], v[56:57]
	;; [unrolled: 1-line block ×3, first 2 shown]
	v_fma_f64 v[76:77], -v[38:39], v[58:59], v[76:77]
	global_load_dwordx4 v[64:67], v[44:45], off
	v_fma_f64 v[56:57], -v[42:43], v[58:59], v[68:69]
	v_fmac_f64_e32 v[0:1], v[40:41], v[58:59]
	global_load_dwordx4 v[38:41], v[36:37], off
	global_load_dwordx4 v[42:45], v[78:79], off
	v_add_u32_e32 v10, 0x600, v10
	s_waitcnt vmcnt(7)
	v_fmac_f64_e32 v[70:71], v[72:73], v[32:33]
	v_fmac_f64_e32 v[28:29], v[74:75], v[32:33]
	v_fma_f64 v[36:37], -v[74:75], v[34:35], v[70:71]
	v_fmac_f64_e32 v[28:29], v[72:73], v[34:35]
	s_waitcnt vmcnt(6)
	v_fmac_f64_e32 v[36:37], v[48:49], v[18:19]
	v_fmac_f64_e32 v[28:29], v[50:51], v[18:19]
	;; [unrolled: 1-line block ×3, first 2 shown]
	s_waitcnt vmcnt(5)
	v_fmac_f64_e32 v[80:81], v[14:15], v[32:33]
	v_fmac_f64_e32 v[26:27], v[16:17], v[32:33]
	s_waitcnt vmcnt(4)
	v_fmac_f64_e32 v[76:77], v[52:53], v[32:33]
	v_fmac_f64_e32 v[24:25], v[54:55], v[32:33]
	;; [unrolled: 3-line block ×3, first 2 shown]
	v_fma_f64 v[58:59], -v[16:17], v[34:35], v[80:81]
	v_fmac_f64_e32 v[26:27], v[14:15], v[34:35]
	v_fma_f64 v[14:15], -v[54:55], v[34:35], v[76:77]
	v_fmac_f64_e32 v[24:25], v[52:53], v[34:35]
	;; [unrolled: 2-line block ×3, first 2 shown]
	v_fma_f64 v[16:17], -v[50:51], v[20:21], v[36:37]
	s_waitcnt vmcnt(2)
	v_fmac_f64_e32 v[58:59], v[64:65], v[18:19]
	v_fmac_f64_e32 v[26:27], v[66:67], v[18:19]
	s_waitcnt vmcnt(1)
	v_fmac_f64_e32 v[14:15], v[38:39], v[18:19]
	v_fmac_f64_e32 v[24:25], v[40:41], v[18:19]
	;; [unrolled: 3-line block ×3, first 2 shown]
	v_fma_f64 v[36:37], -v[66:67], v[20:21], v[58:59]
	v_fmac_f64_e32 v[26:27], v[64:65], v[20:21]
	v_fma_f64 v[34:35], -v[40:41], v[20:21], v[14:15]
	v_fmac_f64_e32 v[24:25], v[38:39], v[20:21]
	;; [unrolled: 2-line block ×3, first 2 shown]
	s_andn2_b64 exec, exec, s[2:3]
	s_cbranch_execnz .LBB135_13
; %bb.14:
	s_or_b64 exec, exec, s[2:3]
.LBB135_15:
	s_or_b64 exec, exec, s[4:5]
.LBB135_16:
	v_mov_b32_dpp v18, v36 row_shr:1 row_mask:0xf bank_mask:0xf
	v_mov_b32_dpp v19, v37 row_shr:1 row_mask:0xf bank_mask:0xf
	v_add_f64 v[18:19], v[36:37], v[18:19]
	v_mov_b32_dpp v10, v16 row_shr:1 row_mask:0xf bank_mask:0xf
	v_mov_b32_dpp v11, v17 row_shr:1 row_mask:0xf bank_mask:0xf
	;; [unrolled: 1-line block ×4, first 2 shown]
	v_add_f64 v[18:19], v[18:19], v[20:21]
	v_mov_b32_dpp v14, v28 row_shr:1 row_mask:0xf bank_mask:0xf
	v_mov_b32_dpp v15, v29 row_shr:1 row_mask:0xf bank_mask:0xf
	;; [unrolled: 1-line block ×4, first 2 shown]
	v_add_f64 v[18:19], v[18:19], v[20:21]
	v_add_f64 v[10:11], v[16:17], v[10:11]
	;; [unrolled: 1-line block ×3, first 2 shown]
	v_mov_b32_dpp v20, v18 row_shr:8 row_mask:0xf bank_mask:0xc
	v_mov_b32_dpp v21, v19 row_shr:8 row_mask:0xf bank_mask:0xc
	v_add_f64 v[18:19], v[18:19], v[20:21]
	v_mov_b32_dpp v12, v10 row_shr:2 row_mask:0xf bank_mask:0xf
	v_mov_b32_dpp v13, v11 row_shr:2 row_mask:0xf bank_mask:0xf
	v_mov_b32_dpp v20, v18 row_bcast:15 row_mask:0xa bank_mask:0xf
	v_mov_b32_dpp v21, v19 row_bcast:15 row_mask:0xa bank_mask:0xf
	v_add_f64 v[20:21], v[18:19], v[20:21]
	v_mov_b32_dpp v18, v26 row_shr:1 row_mask:0xf bank_mask:0xf
	v_mov_b32_dpp v19, v27 row_shr:1 row_mask:0xf bank_mask:0xf
	v_add_f64 v[18:19], v[26:27], v[18:19]
	v_mov_b32_dpp v16, v14 row_shr:2 row_mask:0xf bank_mask:0xf
	v_mov_b32_dpp v17, v15 row_shr:2 row_mask:0xf bank_mask:0xf
	;; [unrolled: 1-line block ×4, first 2 shown]
	v_add_f64 v[18:19], v[18:19], v[26:27]
	v_add_f64 v[10:11], v[10:11], v[12:13]
	;; [unrolled: 1-line block ×3, first 2 shown]
	v_mov_b32_dpp v26, v18 row_shr:4 row_mask:0xf bank_mask:0xe
	v_mov_b32_dpp v27, v19 row_shr:4 row_mask:0xf bank_mask:0xe
	v_add_f64 v[18:19], v[18:19], v[26:27]
	v_mov_b32_dpp v12, v10 row_shr:4 row_mask:0xf bank_mask:0xe
	v_mov_b32_dpp v13, v11 row_shr:4 row_mask:0xf bank_mask:0xe
	;; [unrolled: 1-line block ×4, first 2 shown]
	v_add_f64 v[18:19], v[18:19], v[26:27]
	v_mov_b32_dpp v16, v14 row_shr:4 row_mask:0xf bank_mask:0xe
	v_mov_b32_dpp v17, v15 row_shr:4 row_mask:0xf bank_mask:0xe
	v_mov_b32_dpp v26, v18 row_bcast:15 row_mask:0xa bank_mask:0xf
	v_mov_b32_dpp v27, v19 row_bcast:15 row_mask:0xa bank_mask:0xf
	v_add_f64 v[26:27], v[18:19], v[26:27]
	v_mov_b32_dpp v18, v34 row_shr:1 row_mask:0xf bank_mask:0xf
	v_mov_b32_dpp v19, v35 row_shr:1 row_mask:0xf bank_mask:0xf
	v_add_f64 v[18:19], v[34:35], v[18:19]
	v_add_f64 v[10:11], v[10:11], v[12:13]
	;; [unrolled: 1-line block ×3, first 2 shown]
	v_mov_b32_dpp v34, v18 row_shr:2 row_mask:0xf bank_mask:0xf
	v_mov_b32_dpp v35, v19 row_shr:2 row_mask:0xf bank_mask:0xf
	v_add_f64 v[18:19], v[18:19], v[34:35]
	v_mov_b32_dpp v12, v10 row_shr:8 row_mask:0xf bank_mask:0xc
	v_mov_b32_dpp v13, v11 row_shr:8 row_mask:0xf bank_mask:0xc
	;; [unrolled: 1-line block ×4, first 2 shown]
	v_add_f64 v[18:19], v[18:19], v[34:35]
	v_mov_b32_dpp v16, v14 row_shr:8 row_mask:0xf bank_mask:0xc
	v_mov_b32_dpp v17, v15 row_shr:8 row_mask:0xf bank_mask:0xc
	;; [unrolled: 1-line block ×4, first 2 shown]
	v_add_f64 v[18:19], v[18:19], v[34:35]
	v_add_f64 v[10:11], v[10:11], v[12:13]
	;; [unrolled: 1-line block ×3, first 2 shown]
	v_mov_b32_dpp v34, v18 row_bcast:15 row_mask:0xa bank_mask:0xf
	v_mov_b32_dpp v35, v19 row_bcast:15 row_mask:0xa bank_mask:0xf
	v_add_f64 v[34:35], v[18:19], v[34:35]
	v_mov_b32_dpp v18, v24 row_shr:1 row_mask:0xf bank_mask:0xf
	v_mov_b32_dpp v19, v25 row_shr:1 row_mask:0xf bank_mask:0xf
	v_add_f64 v[18:19], v[24:25], v[18:19]
	v_mov_b32_dpp v12, v10 row_bcast:15 row_mask:0xa bank_mask:0xf
	v_mov_b32_dpp v13, v11 row_bcast:15 row_mask:0xa bank_mask:0xf
	v_mov_b32_dpp v24, v18 row_shr:2 row_mask:0xf bank_mask:0xf
	v_mov_b32_dpp v25, v19 row_shr:2 row_mask:0xf bank_mask:0xf
	v_add_f64 v[18:19], v[18:19], v[24:25]
	v_mov_b32_dpp v16, v14 row_bcast:15 row_mask:0xa bank_mask:0xf
	v_mov_b32_dpp v17, v15 row_bcast:15 row_mask:0xa bank_mask:0xf
	v_mov_b32_dpp v24, v18 row_shr:4 row_mask:0xf bank_mask:0xe
	v_mov_b32_dpp v25, v19 row_shr:4 row_mask:0xf bank_mask:0xe
	v_add_f64 v[18:19], v[18:19], v[24:25]
	v_add_f64 v[10:11], v[10:11], v[12:13]
	v_add_f64 v[14:15], v[14:15], v[16:17]
	v_mov_b32_dpp v24, v18 row_shr:8 row_mask:0xf bank_mask:0xc
	v_mov_b32_dpp v25, v19 row_shr:8 row_mask:0xf bank_mask:0xc
	v_add_f64 v[18:19], v[18:19], v[24:25]
	v_mov_b32_dpp v12, v10 row_bcast:31 row_mask:0xc bank_mask:0xf
	v_mov_b32_dpp v13, v11 row_bcast:31 row_mask:0xc bank_mask:0xf
	;; [unrolled: 1-line block ×4, first 2 shown]
	v_add_f64 v[38:39], v[18:19], v[24:25]
	v_mov_b32_dpp v18, v32 row_shr:1 row_mask:0xf bank_mask:0xf
	v_mov_b32_dpp v19, v33 row_shr:1 row_mask:0xf bank_mask:0xf
	v_add_f64 v[18:19], v[32:33], v[18:19]
	v_mov_b32_dpp v16, v14 row_bcast:31 row_mask:0xc bank_mask:0xf
	v_mov_b32_dpp v17, v15 row_bcast:31 row_mask:0xc bank_mask:0xf
	v_mov_b32_dpp v24, v18 row_shr:2 row_mask:0xf bank_mask:0xf
	v_mov_b32_dpp v25, v19 row_shr:2 row_mask:0xf bank_mask:0xf
	v_add_f64 v[18:19], v[18:19], v[24:25]
	v_mov_b32_dpp v28, v20 row_bcast:31 row_mask:0xc bank_mask:0xf
	v_mov_b32_dpp v29, v21 row_bcast:31 row_mask:0xc bank_mask:0xf
	;; [unrolled: 5-line block ×4, first 2 shown]
	v_mov_b32_dpp v24, v18 row_bcast:15 row_mask:0xa bank_mask:0xf
	v_mov_b32_dpp v25, v19 row_bcast:15 row_mask:0xa bank_mask:0xf
	v_add_f64 v[32:33], v[18:19], v[24:25]
	v_mov_b32_dpp v18, v0 row_shr:1 row_mask:0xf bank_mask:0xf
	v_mov_b32_dpp v19, v1 row_shr:1 row_mask:0xf bank_mask:0xf
	v_add_f64 v[0:1], v[0:1], v[18:19]
	v_mov_b32_dpp v40, v38 row_bcast:31 row_mask:0xc bank_mask:0xf
	v_mov_b32_dpp v41, v39 row_bcast:31 row_mask:0xc bank_mask:0xf
	v_mov_b32_dpp v18, v0 row_shr:2 row_mask:0xf bank_mask:0xf
	v_mov_b32_dpp v19, v1 row_shr:2 row_mask:0xf bank_mask:0xf
	v_add_f64 v[0:1], v[0:1], v[18:19]
	v_mov_b32_dpp v42, v32 row_bcast:31 row_mask:0xc bank_mask:0xf
	v_mov_b32_dpp v43, v33 row_bcast:31 row_mask:0xc bank_mask:0xf
	v_mov_b32_dpp v18, v0 row_shr:4 row_mask:0xf bank_mask:0xe
	v_mov_b32_dpp v19, v1 row_shr:4 row_mask:0xf bank_mask:0xe
	v_add_f64 v[0:1], v[0:1], v[18:19]
	v_cmp_eq_u32_e32 vcc, 63, v23
	s_nop 0
	v_mov_b32_dpp v18, v0 row_shr:8 row_mask:0xf bank_mask:0xc
	v_mov_b32_dpp v19, v1 row_shr:8 row_mask:0xf bank_mask:0xc
	v_add_f64 v[0:1], v[0:1], v[18:19]
	s_nop 1
	v_mov_b32_dpp v18, v0 row_bcast:15 row_mask:0xa bank_mask:0xf
	v_mov_b32_dpp v19, v1 row_bcast:15 row_mask:0xa bank_mask:0xf
	v_add_f64 v[44:45], v[0:1], v[18:19]
	s_nop 1
	v_mov_b32_dpp v46, v44 row_bcast:31 row_mask:0xc bank_mask:0xf
	v_mov_b32_dpp v47, v45 row_bcast:31 row_mask:0xc bank_mask:0xf
	s_and_b64 exec, exec, vcc
	s_cbranch_execz .LBB135_21
; %bb.17:
	s_load_dwordx2 s[2:3], s[0:1], 0x48
	v_cmp_eq_f64_e32 vcc, 0, v[6:7]
	v_cmp_eq_f64_e64 s[0:1], 0, v[8:9]
	v_add_f64 v[18:19], v[10:11], v[12:13]
	v_add_f64 v[24:25], v[14:15], v[16:17]
	;; [unrolled: 1-line block ×8, first 2 shown]
	s_and_b64 s[0:1], vcc, s[0:1]
	s_and_saveexec_b64 s[4:5], s[0:1]
	s_xor_b64 s[0:1], exec, s[4:5]
	s_cbranch_execz .LBB135_19
; %bb.18:
	v_mul_f64 v[6:7], v[24:25], -v[4:5]
	v_mul_f64 v[8:9], v[2:3], v[24:25]
	v_fmac_f64_e32 v[6:7], v[2:3], v[18:19]
	v_fmac_f64_e32 v[8:9], v[4:5], v[18:19]
	v_lshlrev_b32_e32 v18, 2, v22
	v_ashrrev_i32_e32 v19, 31, v18
	s_waitcnt lgkmcnt(0)
	v_lshl_add_u64 v[18:19], v[18:19], 4, s[2:3]
	global_store_dwordx4 v[18:19], v[6:9], off
                                        ; implicit-def: $vgpr22
                                        ; implicit-def: $vgpr24_vgpr25
	s_nop 1
	v_mul_f64 v[6:7], v[20:21], -v[4:5]
	v_mul_f64 v[8:9], v[2:3], v[20:21]
	v_fmac_f64_e32 v[6:7], v[2:3], v[12:13]
	v_fmac_f64_e32 v[8:9], v[4:5], v[12:13]
	global_store_dwordx4 v[18:19], v[6:9], off offset:16
                                        ; implicit-def: $vgpr12_vgpr13
                                        ; implicit-def: $vgpr20_vgpr21
	s_nop 1
	v_mul_f64 v[6:7], v[16:17], -v[4:5]
	v_mul_f64 v[8:9], v[2:3], v[16:17]
	v_fmac_f64_e32 v[6:7], v[2:3], v[10:11]
	v_fmac_f64_e32 v[8:9], v[4:5], v[10:11]
	global_store_dwordx4 v[18:19], v[6:9], off offset:32
                                        ; implicit-def: $vgpr10_vgpr11
                                        ; implicit-def: $vgpr16_vgpr17
	s_nop 1
	v_mul_f64 v[6:7], v[14:15], -v[4:5]
	v_mul_f64 v[8:9], v[2:3], v[14:15]
	v_fmac_f64_e32 v[6:7], v[2:3], v[0:1]
	v_fmac_f64_e32 v[8:9], v[4:5], v[0:1]
	global_store_dwordx4 v[18:19], v[6:9], off offset:48
                                        ; implicit-def: $vgpr18_vgpr19
                                        ; implicit-def: $vgpr0_vgpr1
                                        ; implicit-def: $vgpr14_vgpr15
                                        ; implicit-def: $vgpr8_vgpr9
                                        ; implicit-def: $vgpr4_vgpr5
.LBB135_19:
	s_andn2_saveexec_b64 s[0:1], s[0:1]
	s_cbranch_execz .LBB135_21
; %bb.20:
	v_lshlrev_b32_e32 v22, 2, v22
	v_ashrrev_i32_e32 v23, 31, v22
	s_waitcnt lgkmcnt(0)
	v_lshl_add_u64 v[50:51], v[22:23], 4, s[2:3]
	global_load_dwordx4 v[26:29], v[50:51], off
	global_load_dwordx4 v[30:33], v[50:51], off offset:16
	global_load_dwordx4 v[34:37], v[50:51], off offset:32
	;; [unrolled: 1-line block ×3, first 2 shown]
	v_mul_f64 v[42:43], v[24:25], -v[4:5]
	v_mul_f64 v[22:23], v[2:3], v[24:25]
	v_mul_f64 v[24:25], v[20:21], -v[4:5]
	v_mul_f64 v[44:45], v[2:3], v[20:21]
	;; [unrolled: 2-line block ×4, first 2 shown]
	v_fmac_f64_e32 v[42:43], v[2:3], v[18:19]
	v_fmac_f64_e32 v[22:23], v[4:5], v[18:19]
	;; [unrolled: 1-line block ×8, first 2 shown]
	s_waitcnt vmcnt(3)
	v_fmac_f64_e32 v[42:43], v[6:7], v[26:27]
	v_fmac_f64_e32 v[22:23], v[8:9], v[26:27]
	s_waitcnt vmcnt(2)
	v_fmac_f64_e32 v[24:25], v[6:7], v[30:31]
	v_fmac_f64_e32 v[44:45], v[8:9], v[30:31]
	s_waitcnt vmcnt(1)
	v_fmac_f64_e32 v[46:47], v[6:7], v[34:35]
	v_fmac_f64_e32 v[16:17], v[8:9], v[34:35]
	s_waitcnt vmcnt(0)
	v_fmac_f64_e32 v[52:53], v[6:7], v[38:39]
	v_fmac_f64_e32 v[48:49], v[8:9], v[38:39]
	v_fma_f64 v[20:21], -v[8:9], v[28:29], v[42:43]
	v_fmac_f64_e32 v[22:23], v[6:7], v[28:29]
	v_fma_f64 v[42:43], -v[8:9], v[32:33], v[24:25]
	v_fmac_f64_e32 v[44:45], v[6:7], v[32:33]
	;; [unrolled: 2-line block ×4, first 2 shown]
	global_store_dwordx4 v[50:51], v[20:23], off
	global_store_dwordx4 v[50:51], v[42:45], off offset:16
	global_store_dwordx4 v[50:51], v[14:17], off offset:32
	global_store_dwordx4 v[50:51], v[46:49], off offset:48
.LBB135_21:
	s_endpgm
	.section	.rodata,"a",@progbits
	.p2align	6, 0x0
	.amdhsa_kernel _ZN9rocsparseL19gebsrmvn_4xn_kernelILj128ELj6ELj64E21rocsparse_complex_numIdEEEvi20rocsparse_direction_NS_24const_host_device_scalarIT2_EEPKiS8_PKS5_SA_S6_PS5_21rocsparse_index_base_b
		.amdhsa_group_segment_fixed_size 0
		.amdhsa_private_segment_fixed_size 0
		.amdhsa_kernarg_size 88
		.amdhsa_user_sgpr_count 2
		.amdhsa_user_sgpr_dispatch_ptr 0
		.amdhsa_user_sgpr_queue_ptr 0
		.amdhsa_user_sgpr_kernarg_segment_ptr 1
		.amdhsa_user_sgpr_dispatch_id 0
		.amdhsa_user_sgpr_kernarg_preload_length 0
		.amdhsa_user_sgpr_kernarg_preload_offset 0
		.amdhsa_user_sgpr_private_segment_size 0
		.amdhsa_uses_dynamic_stack 0
		.amdhsa_enable_private_segment 0
		.amdhsa_system_sgpr_workgroup_id_x 1
		.amdhsa_system_sgpr_workgroup_id_y 0
		.amdhsa_system_sgpr_workgroup_id_z 0
		.amdhsa_system_sgpr_workgroup_info 0
		.amdhsa_system_vgpr_workitem_id 0
		.amdhsa_next_free_vgpr 94
		.amdhsa_next_free_sgpr 16
		.amdhsa_accum_offset 96
		.amdhsa_reserve_vcc 1
		.amdhsa_float_round_mode_32 0
		.amdhsa_float_round_mode_16_64 0
		.amdhsa_float_denorm_mode_32 3
		.amdhsa_float_denorm_mode_16_64 3
		.amdhsa_dx10_clamp 1
		.amdhsa_ieee_mode 1
		.amdhsa_fp16_overflow 0
		.amdhsa_tg_split 0
		.amdhsa_exception_fp_ieee_invalid_op 0
		.amdhsa_exception_fp_denorm_src 0
		.amdhsa_exception_fp_ieee_div_zero 0
		.amdhsa_exception_fp_ieee_overflow 0
		.amdhsa_exception_fp_ieee_underflow 0
		.amdhsa_exception_fp_ieee_inexact 0
		.amdhsa_exception_int_div_zero 0
	.end_amdhsa_kernel
	.section	.text._ZN9rocsparseL19gebsrmvn_4xn_kernelILj128ELj6ELj64E21rocsparse_complex_numIdEEEvi20rocsparse_direction_NS_24const_host_device_scalarIT2_EEPKiS8_PKS5_SA_S6_PS5_21rocsparse_index_base_b,"axG",@progbits,_ZN9rocsparseL19gebsrmvn_4xn_kernelILj128ELj6ELj64E21rocsparse_complex_numIdEEEvi20rocsparse_direction_NS_24const_host_device_scalarIT2_EEPKiS8_PKS5_SA_S6_PS5_21rocsparse_index_base_b,comdat
.Lfunc_end135:
	.size	_ZN9rocsparseL19gebsrmvn_4xn_kernelILj128ELj6ELj64E21rocsparse_complex_numIdEEEvi20rocsparse_direction_NS_24const_host_device_scalarIT2_EEPKiS8_PKS5_SA_S6_PS5_21rocsparse_index_base_b, .Lfunc_end135-_ZN9rocsparseL19gebsrmvn_4xn_kernelILj128ELj6ELj64E21rocsparse_complex_numIdEEEvi20rocsparse_direction_NS_24const_host_device_scalarIT2_EEPKiS8_PKS5_SA_S6_PS5_21rocsparse_index_base_b
                                        ; -- End function
	.set _ZN9rocsparseL19gebsrmvn_4xn_kernelILj128ELj6ELj64E21rocsparse_complex_numIdEEEvi20rocsparse_direction_NS_24const_host_device_scalarIT2_EEPKiS8_PKS5_SA_S6_PS5_21rocsparse_index_base_b.num_vgpr, 94
	.set _ZN9rocsparseL19gebsrmvn_4xn_kernelILj128ELj6ELj64E21rocsparse_complex_numIdEEEvi20rocsparse_direction_NS_24const_host_device_scalarIT2_EEPKiS8_PKS5_SA_S6_PS5_21rocsparse_index_base_b.num_agpr, 0
	.set _ZN9rocsparseL19gebsrmvn_4xn_kernelILj128ELj6ELj64E21rocsparse_complex_numIdEEEvi20rocsparse_direction_NS_24const_host_device_scalarIT2_EEPKiS8_PKS5_SA_S6_PS5_21rocsparse_index_base_b.numbered_sgpr, 16
	.set _ZN9rocsparseL19gebsrmvn_4xn_kernelILj128ELj6ELj64E21rocsparse_complex_numIdEEEvi20rocsparse_direction_NS_24const_host_device_scalarIT2_EEPKiS8_PKS5_SA_S6_PS5_21rocsparse_index_base_b.num_named_barrier, 0
	.set _ZN9rocsparseL19gebsrmvn_4xn_kernelILj128ELj6ELj64E21rocsparse_complex_numIdEEEvi20rocsparse_direction_NS_24const_host_device_scalarIT2_EEPKiS8_PKS5_SA_S6_PS5_21rocsparse_index_base_b.private_seg_size, 0
	.set _ZN9rocsparseL19gebsrmvn_4xn_kernelILj128ELj6ELj64E21rocsparse_complex_numIdEEEvi20rocsparse_direction_NS_24const_host_device_scalarIT2_EEPKiS8_PKS5_SA_S6_PS5_21rocsparse_index_base_b.uses_vcc, 1
	.set _ZN9rocsparseL19gebsrmvn_4xn_kernelILj128ELj6ELj64E21rocsparse_complex_numIdEEEvi20rocsparse_direction_NS_24const_host_device_scalarIT2_EEPKiS8_PKS5_SA_S6_PS5_21rocsparse_index_base_b.uses_flat_scratch, 0
	.set _ZN9rocsparseL19gebsrmvn_4xn_kernelILj128ELj6ELj64E21rocsparse_complex_numIdEEEvi20rocsparse_direction_NS_24const_host_device_scalarIT2_EEPKiS8_PKS5_SA_S6_PS5_21rocsparse_index_base_b.has_dyn_sized_stack, 0
	.set _ZN9rocsparseL19gebsrmvn_4xn_kernelILj128ELj6ELj64E21rocsparse_complex_numIdEEEvi20rocsparse_direction_NS_24const_host_device_scalarIT2_EEPKiS8_PKS5_SA_S6_PS5_21rocsparse_index_base_b.has_recursion, 0
	.set _ZN9rocsparseL19gebsrmvn_4xn_kernelILj128ELj6ELj64E21rocsparse_complex_numIdEEEvi20rocsparse_direction_NS_24const_host_device_scalarIT2_EEPKiS8_PKS5_SA_S6_PS5_21rocsparse_index_base_b.has_indirect_call, 0
	.section	.AMDGPU.csdata,"",@progbits
; Kernel info:
; codeLenInByte = 4148
; TotalNumSgprs: 22
; NumVgprs: 94
; NumAgprs: 0
; TotalNumVgprs: 94
; ScratchSize: 0
; MemoryBound: 1
; FloatMode: 240
; IeeeMode: 1
; LDSByteSize: 0 bytes/workgroup (compile time only)
; SGPRBlocks: 2
; VGPRBlocks: 11
; NumSGPRsForWavesPerEU: 22
; NumVGPRsForWavesPerEU: 94
; AccumOffset: 96
; Occupancy: 5
; WaveLimiterHint : 1
; COMPUTE_PGM_RSRC2:SCRATCH_EN: 0
; COMPUTE_PGM_RSRC2:USER_SGPR: 2
; COMPUTE_PGM_RSRC2:TRAP_HANDLER: 0
; COMPUTE_PGM_RSRC2:TGID_X_EN: 1
; COMPUTE_PGM_RSRC2:TGID_Y_EN: 0
; COMPUTE_PGM_RSRC2:TGID_Z_EN: 0
; COMPUTE_PGM_RSRC2:TIDIG_COMP_CNT: 0
; COMPUTE_PGM_RSRC3_GFX90A:ACCUM_OFFSET: 23
; COMPUTE_PGM_RSRC3_GFX90A:TG_SPLIT: 0
	.section	.text._ZN9rocsparseL19gebsrmvn_4xn_kernelILj128ELj7ELj4E21rocsparse_complex_numIdEEEvi20rocsparse_direction_NS_24const_host_device_scalarIT2_EEPKiS8_PKS5_SA_S6_PS5_21rocsparse_index_base_b,"axG",@progbits,_ZN9rocsparseL19gebsrmvn_4xn_kernelILj128ELj7ELj4E21rocsparse_complex_numIdEEEvi20rocsparse_direction_NS_24const_host_device_scalarIT2_EEPKiS8_PKS5_SA_S6_PS5_21rocsparse_index_base_b,comdat
	.globl	_ZN9rocsparseL19gebsrmvn_4xn_kernelILj128ELj7ELj4E21rocsparse_complex_numIdEEEvi20rocsparse_direction_NS_24const_host_device_scalarIT2_EEPKiS8_PKS5_SA_S6_PS5_21rocsparse_index_base_b ; -- Begin function _ZN9rocsparseL19gebsrmvn_4xn_kernelILj128ELj7ELj4E21rocsparse_complex_numIdEEEvi20rocsparse_direction_NS_24const_host_device_scalarIT2_EEPKiS8_PKS5_SA_S6_PS5_21rocsparse_index_base_b
	.p2align	8
	.type	_ZN9rocsparseL19gebsrmvn_4xn_kernelILj128ELj7ELj4E21rocsparse_complex_numIdEEEvi20rocsparse_direction_NS_24const_host_device_scalarIT2_EEPKiS8_PKS5_SA_S6_PS5_21rocsparse_index_base_b,@function
_ZN9rocsparseL19gebsrmvn_4xn_kernelILj128ELj7ELj4E21rocsparse_complex_numIdEEEvi20rocsparse_direction_NS_24const_host_device_scalarIT2_EEPKiS8_PKS5_SA_S6_PS5_21rocsparse_index_base_b: ; @_ZN9rocsparseL19gebsrmvn_4xn_kernelILj128ELj7ELj4E21rocsparse_complex_numIdEEEvi20rocsparse_direction_NS_24const_host_device_scalarIT2_EEPKiS8_PKS5_SA_S6_PS5_21rocsparse_index_base_b
; %bb.0:
	s_load_dwordx2 s[4:5], s[0:1], 0x8
	s_load_dwordx2 s[6:7], s[0:1], 0x38
	;; [unrolled: 1-line block ×3, first 2 shown]
	s_add_u32 s3, s0, 8
	s_addc_u32 s8, s1, 0
	s_add_u32 s9, s0, 56
	s_addc_u32 s10, s1, 0
	s_waitcnt lgkmcnt(0)
	s_bitcmp1_b32 s13, 0
	s_cselect_b32 s5, s8, s5
	s_cselect_b32 s3, s3, s4
	v_mov_b32_e32 v2, s3
	v_mov_b32_e32 v3, s5
	flat_load_dwordx4 v[2:5], v[2:3]
	s_cselect_b32 s3, s10, s7
	s_cselect_b32 s4, s9, s6
	v_mov_b32_e32 v6, s4
	v_mov_b32_e32 v7, s3
	flat_load_dwordx4 v[6:9], v[6:7]
	s_waitcnt vmcnt(0) lgkmcnt(0)
	v_cmp_eq_f64_e32 vcc, 0, v[2:3]
	v_cmp_eq_f64_e64 s[4:5], 0, v[4:5]
	s_and_b64 s[8:9], vcc, s[4:5]
	s_mov_b64 s[4:5], -1
	s_and_saveexec_b64 s[6:7], s[8:9]
; %bb.1:
	v_cmp_neq_f64_e32 vcc, 1.0, v[6:7]
	v_cmp_neq_f64_e64 s[4:5], 0, v[8:9]
	s_or_b64 s[4:5], vcc, s[4:5]
	s_orn2_b64 s[4:5], s[4:5], exec
; %bb.2:
	s_or_b64 exec, exec, s[6:7]
	s_and_saveexec_b64 s[6:7], s[4:5]
	s_cbranch_execz .LBB136_21
; %bb.3:
	s_load_dwordx2 s[14:15], s[0:1], 0x0
	v_lshrrev_b32_e32 v1, 2, v0
	v_lshl_or_b32 v26, s2, 5, v1
	s_waitcnt lgkmcnt(0)
	v_cmp_gt_i32_e32 vcc, s14, v26
	s_and_b64 exec, exec, vcc
	s_cbranch_execz .LBB136_21
; %bb.4:
	s_load_dwordx8 s[4:11], s[0:1], 0x18
	v_ashrrev_i32_e32 v27, 31, v26
	s_cmp_lg_u32 s15, 0
	s_waitcnt lgkmcnt(0)
	v_lshl_add_u64 v[10:11], v[26:27], 2, s[4:5]
	global_load_dwordx2 v[10:11], v[10:11], off
	v_and_b32_e32 v27, 3, v0
	s_waitcnt vmcnt(0)
	v_subrev_u32_e32 v0, s12, v10
	v_subrev_u32_e32 v52, s12, v11
	v_add_u32_e32 v34, v0, v27
	v_cmp_lt_i32_e64 s[2:3], v34, v52
	s_cbranch_scc0 .LBB136_10
; %bb.5:
	v_mov_b64_e32 v[28:29], 0
	v_mov_b64_e32 v[42:43], 0
	;; [unrolled: 1-line block ×8, first 2 shown]
	s_and_saveexec_b64 s[4:5], s[2:3]
	s_cbranch_execz .LBB136_9
; %bb.6:
	v_mad_u64_u32 v[44:45], s[14:15], v34, 28, 24
	v_mov_b64_e32 v[28:29], 0
	s_mov_b64 s[14:15], 0
	v_mov_b32_e32 v47, 0
	v_mov_b32_e32 v48, v34
	v_mov_b64_e32 v[42:43], 0
	v_mov_b64_e32 v[36:37], 0
	;; [unrolled: 1-line block ×7, first 2 shown]
.LBB136_7:                              ; =>This Inner Loop Header: Depth=1
	v_ashrrev_i32_e32 v49, 31, v48
	v_subrev_u32_e32 v46, 24, v44
	v_lshl_add_u64 v[10:11], v[48:49], 2, s[6:7]
	v_lshl_add_u64 v[12:13], v[46:47], 4, s[8:9]
	global_load_dword v35, v[10:11], off
	global_load_dwordx4 v[54:57], v[12:13], off offset:48
	global_load_dwordx4 v[58:61], v[12:13], off offset:32
	;; [unrolled: 1-line block ×3, first 2 shown]
	global_load_dwordx4 v[66:69], v[12:13], off
	v_mov_b32_e32 v45, v47
	v_mov_b32_e32 v51, v47
	v_subrev_u32_e32 v46, 20, v44
	v_lshl_add_u64 v[82:83], v[44:45], 4, s[8:9]
	v_lshl_add_u64 v[86:87], v[46:47], 4, s[8:9]
	global_load_dwordx4 v[10:13], v[82:83], off offset:48
	global_load_dwordx4 v[14:17], v[82:83], off offset:32
	;; [unrolled: 1-line block ×3, first 2 shown]
	global_load_dwordx4 v[22:25], v[82:83], off
	global_load_dwordx4 v[70:73], v[86:87], off offset:48
	global_load_dwordx4 v[74:77], v[86:87], off offset:32
	;; [unrolled: 1-line block ×3, first 2 shown]
	v_add_u32_e32 v48, 4, v48
	v_cmp_ge_i32_e32 vcc, v48, v52
	s_or_b64 s[14:15], vcc, s[14:15]
	s_waitcnt vmcnt(11)
	v_subrev_u32_e32 v35, s12, v35
	v_mul_lo_u32 v50, v35, 7
	v_lshl_add_u64 v[82:83], v[50:51], 4, s[10:11]
	global_load_dwordx4 v[82:85], v[82:83], off
	v_add_u32_e32 v46, 1, v50
	s_waitcnt vmcnt(0)
	v_fmac_f64_e32 v[42:43], v[66:67], v[82:83]
	v_fma_f64 v[88:89], -v[68:69], v[84:85], v[42:43]
	v_lshl_add_u64 v[42:43], v[46:47], 4, s[10:11]
	v_add_u32_e32 v46, -16, v44
	v_fmac_f64_e32 v[32:33], v[64:65], v[82:83]
	v_fmac_f64_e32 v[28:29], v[68:69], v[82:83]
	;; [unrolled: 1-line block ×4, first 2 shown]
	v_lshl_add_u64 v[62:63], v[46:47], 4, s[8:9]
	v_fmac_f64_e32 v[38:39], v[58:59], v[82:83]
	v_fmac_f64_e32 v[30:31], v[60:61], v[82:83]
	;; [unrolled: 1-line block ×3, first 2 shown]
	global_load_dwordx4 v[66:69], v[86:87], off
	v_fma_f64 v[90:91], -v[60:61], v[84:85], v[38:39]
	v_fmac_f64_e32 v[30:31], v[58:59], v[84:85]
	global_load_dwordx4 v[58:61], v[62:63], off offset:48
	v_fma_f64 v[86:87], -v[64:65], v[84:85], v[40:41]
	global_load_dwordx4 v[40:43], v[42:43], off
	v_add_u32_e32 v46, 2, v50
	v_fmac_f64_e32 v[36:37], v[54:55], v[82:83]
	v_fmac_f64_e32 v[0:1], v[56:57], v[82:83]
	v_fma_f64 v[82:83], -v[56:57], v[84:85], v[36:37]
	v_fmac_f64_e32 v[0:1], v[54:55], v[84:85]
	global_load_dwordx4 v[36:39], v[62:63], off offset:32
	global_load_dwordx4 v[54:57], v[62:63], off offset:16
	s_waitcnt vmcnt(2)
	v_fmac_f64_e32 v[28:29], v[68:69], v[40:41]
	v_fmac_f64_e32 v[88:89], v[66:67], v[40:41]
	v_fmac_f64_e32 v[28:29], v[66:67], v[42:43]
	v_lshl_add_u64 v[66:67], v[46:47], 4, s[10:11]
	v_fma_f64 v[84:85], -v[68:69], v[42:43], v[88:89]
	global_load_dwordx4 v[62:65], v[62:63], off
	v_add_u32_e32 v46, -12, v44
	global_load_dwordx4 v[66:69], v[66:67], off
	v_fmac_f64_e32 v[86:87], v[78:79], v[40:41]
	v_fmac_f64_e32 v[32:33], v[80:81], v[40:41]
	v_fma_f64 v[80:81], -v[80:81], v[42:43], v[86:87]
	v_fmac_f64_e32 v[32:33], v[78:79], v[42:43]
	v_lshl_add_u64 v[78:79], v[46:47], 4, s[8:9]
	v_add_u32_e32 v46, 3, v50
	v_fmac_f64_e32 v[90:91], v[74:75], v[40:41]
	v_fmac_f64_e32 v[30:31], v[76:77], v[40:41]
	;; [unrolled: 1-line block ×4, first 2 shown]
	v_fma_f64 v[86:87], -v[76:77], v[42:43], v[90:91]
	v_fmac_f64_e32 v[30:31], v[74:75], v[42:43]
	global_load_dwordx4 v[74:77], v[78:79], off offset:48
	v_fma_f64 v[82:83], -v[72:73], v[42:43], v[82:83]
	v_fmac_f64_e32 v[0:1], v[70:71], v[42:43]
	global_load_dwordx4 v[40:43], v[78:79], off offset:32
	global_load_dwordx4 v[70:73], v[78:79], off offset:16
	s_waitcnt vmcnt(3)
	v_fmac_f64_e32 v[84:85], v[62:63], v[66:67]
	v_fmac_f64_e32 v[28:29], v[64:65], v[66:67]
	v_fma_f64 v[84:85], -v[64:65], v[68:69], v[84:85]
	v_fmac_f64_e32 v[28:29], v[62:63], v[68:69]
	global_load_dwordx4 v[62:65], v[78:79], off
	v_lshl_add_u64 v[78:79], v[46:47], 4, s[10:11]
	v_fmac_f64_e32 v[80:81], v[54:55], v[66:67]
	v_fmac_f64_e32 v[32:33], v[56:57], v[66:67]
	v_fma_f64 v[80:81], -v[56:57], v[68:69], v[80:81]
	v_fmac_f64_e32 v[32:33], v[54:55], v[68:69]
	global_load_dwordx4 v[54:57], v[78:79], off
	v_add_u32_e32 v46, -8, v44
	v_lshl_add_u64 v[78:79], v[46:47], 4, s[8:9]
	v_add_u32_e32 v46, 4, v50
	v_fmac_f64_e32 v[86:87], v[36:37], v[66:67]
	v_fmac_f64_e32 v[30:31], v[38:39], v[66:67]
	;; [unrolled: 1-line block ×4, first 2 shown]
	v_fma_f64 v[86:87], -v[38:39], v[68:69], v[86:87]
	v_fmac_f64_e32 v[30:31], v[36:37], v[68:69]
	global_load_dwordx4 v[36:39], v[78:79], off offset:48
	v_fma_f64 v[82:83], -v[60:61], v[68:69], v[82:83]
	v_fmac_f64_e32 v[0:1], v[58:59], v[68:69]
	global_load_dwordx4 v[58:61], v[78:79], off offset:32
	global_load_dwordx4 v[66:69], v[78:79], off offset:16
	s_waitcnt vmcnt(3)
	v_fmac_f64_e32 v[84:85], v[62:63], v[54:55]
	v_fmac_f64_e32 v[28:29], v[64:65], v[54:55]
	v_fma_f64 v[84:85], -v[64:65], v[56:57], v[84:85]
	v_fmac_f64_e32 v[28:29], v[62:63], v[56:57]
	global_load_dwordx4 v[62:65], v[78:79], off
	v_lshl_add_u64 v[78:79], v[46:47], 4, s[10:11]
	v_fmac_f64_e32 v[80:81], v[70:71], v[54:55]
	v_fmac_f64_e32 v[32:33], v[72:73], v[54:55]
	v_fma_f64 v[88:89], -v[72:73], v[56:57], v[80:81]
	v_fmac_f64_e32 v[32:33], v[70:71], v[56:57]
	global_load_dwordx4 v[70:73], v[78:79], off
	v_add_u32_e32 v46, -4, v44
	v_lshl_add_u64 v[78:79], v[46:47], 4, s[8:9]
	v_add_u32_e32 v46, 5, v50
	v_fmac_f64_e32 v[86:87], v[40:41], v[54:55]
	v_fmac_f64_e32 v[30:31], v[42:43], v[54:55]
	;; [unrolled: 1-line block ×4, first 2 shown]
	v_fma_f64 v[86:87], -v[42:43], v[56:57], v[86:87]
	v_fmac_f64_e32 v[30:31], v[40:41], v[56:57]
	global_load_dwordx4 v[40:43], v[78:79], off offset:48
	v_fma_f64 v[82:83], -v[76:77], v[56:57], v[82:83]
	v_fmac_f64_e32 v[0:1], v[74:75], v[56:57]
	global_load_dwordx4 v[54:57], v[78:79], off offset:32
	global_load_dwordx4 v[74:77], v[78:79], off offset:16
	v_add_u32_e32 v44, 0x70, v44
	s_waitcnt vmcnt(3)
	v_fmac_f64_e32 v[84:85], v[62:63], v[70:71]
	v_fmac_f64_e32 v[28:29], v[64:65], v[70:71]
	v_fma_f64 v[84:85], -v[64:65], v[72:73], v[84:85]
	v_fmac_f64_e32 v[28:29], v[62:63], v[72:73]
	global_load_dwordx4 v[62:65], v[78:79], off
	v_lshl_add_u64 v[78:79], v[46:47], 4, s[10:11]
	v_add_u32_e32 v46, 6, v50
	global_load_dwordx4 v[78:81], v[78:79], off
	v_fmac_f64_e32 v[32:33], v[68:69], v[70:71]
	v_fmac_f64_e32 v[88:89], v[66:67], v[70:71]
	v_fmac_f64_e32 v[32:33], v[66:67], v[72:73]
	v_lshl_add_u64 v[66:67], v[46:47], 4, s[10:11]
	v_fma_f64 v[50:51], -v[68:69], v[72:73], v[88:89]
	global_load_dwordx4 v[66:69], v[66:67], off
	v_fmac_f64_e32 v[86:87], v[58:59], v[70:71]
	v_fmac_f64_e32 v[30:31], v[60:61], v[70:71]
	;; [unrolled: 1-line block ×4, first 2 shown]
	v_fma_f64 v[60:61], -v[60:61], v[72:73], v[86:87]
	v_fmac_f64_e32 v[30:31], v[58:59], v[72:73]
	v_fma_f64 v[38:39], -v[38:39], v[72:73], v[82:83]
	v_fmac_f64_e32 v[0:1], v[36:37], v[72:73]
	s_waitcnt vmcnt(1)
	v_fmac_f64_e32 v[84:85], v[62:63], v[78:79]
	v_fmac_f64_e32 v[28:29], v[64:65], v[78:79]
	v_fmac_f64_e32 v[50:51], v[74:75], v[78:79]
	v_fmac_f64_e32 v[32:33], v[76:77], v[78:79]
	v_fmac_f64_e32 v[60:61], v[54:55], v[78:79]
	v_fmac_f64_e32 v[30:31], v[56:57], v[78:79]
	v_fmac_f64_e32 v[38:39], v[40:41], v[78:79]
	v_fmac_f64_e32 v[0:1], v[42:43], v[78:79]
	v_fma_f64 v[36:37], -v[64:65], v[80:81], v[84:85]
	v_fmac_f64_e32 v[28:29], v[62:63], v[80:81]
	v_fma_f64 v[50:51], -v[76:77], v[80:81], v[50:51]
	v_fmac_f64_e32 v[32:33], v[74:75], v[80:81]
	;; [unrolled: 2-line block ×4, first 2 shown]
	s_waitcnt vmcnt(0)
	v_fmac_f64_e32 v[36:37], v[22:23], v[66:67]
	v_fmac_f64_e32 v[28:29], v[24:25], v[66:67]
	;; [unrolled: 1-line block ×8, first 2 shown]
	v_fma_f64 v[42:43], -v[24:25], v[68:69], v[36:37]
	v_fmac_f64_e32 v[28:29], v[22:23], v[68:69]
	v_fma_f64 v[40:41], -v[20:21], v[68:69], v[50:51]
	v_fmac_f64_e32 v[32:33], v[18:19], v[68:69]
	;; [unrolled: 2-line block ×4, first 2 shown]
	s_andn2_b64 exec, exec, s[14:15]
	s_cbranch_execnz .LBB136_7
; %bb.8:
	s_or_b64 exec, exec, s[14:15]
.LBB136_9:
	s_or_b64 exec, exec, s[4:5]
	s_cbranch_execz .LBB136_11
	s_branch .LBB136_16
.LBB136_10:
                                        ; implicit-def: $vgpr28_vgpr29
                                        ; implicit-def: $vgpr42_vgpr43
                                        ; implicit-def: $vgpr36_vgpr37
                                        ; implicit-def: $vgpr0_vgpr1
                                        ; implicit-def: $vgpr38_vgpr39
                                        ; implicit-def: $vgpr30_vgpr31
                                        ; implicit-def: $vgpr40_vgpr41
                                        ; implicit-def: $vgpr32_vgpr33
.LBB136_11:
	v_mov_b64_e32 v[28:29], 0
	v_mov_b64_e32 v[42:43], 0
	;; [unrolled: 1-line block ×8, first 2 shown]
	s_and_saveexec_b64 s[4:5], s[2:3]
	s_cbranch_execz .LBB136_15
; %bb.12:
	v_mad_u64_u32 v[14:15], s[2:3], v34, 28, 27
	v_mov_b64_e32 v[28:29], 0
	s_mov_b64 s[2:3], 0
	v_mov_b32_e32 v17, 0
	v_mov_b64_e32 v[42:43], 0
	v_mov_b64_e32 v[36:37], 0
	;; [unrolled: 1-line block ×7, first 2 shown]
.LBB136_13:                             ; =>This Inner Loop Header: Depth=1
	v_ashrrev_i32_e32 v35, 31, v34
	v_subrev_u32_e32 v16, 27, v14
	v_subrev_u32_e32 v20, 20, v14
	v_add_u32_e32 v12, -13, v14
	v_add_u32_e32 v10, -6, v14
	v_mov_b32_e32 v21, v17
	v_mov_b32_e32 v13, v17
	;; [unrolled: 1-line block ×4, first 2 shown]
	v_lshl_add_u64 v[24:25], v[34:35], 2, s[6:7]
	v_lshl_add_u64 v[70:71], v[16:17], 4, s[8:9]
	;; [unrolled: 1-line block ×6, first 2 shown]
	global_load_dword v15, v[24:25], off
	global_load_dwordx4 v[20:23], v[70:71], off offset:48
	global_load_dwordx4 v[44:47], v[70:71], off offset:32
	;; [unrolled: 1-line block ×3, first 2 shown]
	global_load_dwordx4 v[54:57], v[70:71], off
	global_load_dwordx4 v[58:61], v[72:73], off
	global_load_dwordx4 v[62:65], v[74:75], off
	global_load_dwordx4 v[66:69], v[76:77], off
	global_load_dwordx4 v[10:13], v[78:79], off
	v_mov_b32_e32 v19, v17
	v_add_u32_e32 v34, 4, v34
	v_cmp_ge_i32_e32 vcc, v34, v52
	s_or_b64 s[2:3], vcc, s[2:3]
	s_waitcnt vmcnt(8)
	v_subrev_u32_e32 v15, s12, v15
	v_mul_lo_u32 v18, v15, 7
	v_lshl_add_u64 v[24:25], v[18:19], 4, s[10:11]
	global_load_dwordx4 v[70:73], v[24:25], off
	v_add_u32_e32 v16, 1, v18
	v_lshl_add_u64 v[24:25], v[16:17], 4, s[10:11]
	v_subrev_u32_e32 v16, 19, v14
	global_load_dwordx4 v[74:77], v[24:25], off
	v_lshl_add_u64 v[24:25], v[16:17], 4, s[8:9]
	v_add_u32_e32 v16, -12, v14
	s_waitcnt vmcnt(1)
	v_fmac_f64_e32 v[42:43], v[54:55], v[70:71]
	v_fmac_f64_e32 v[28:29], v[56:57], v[70:71]
	v_fma_f64 v[78:79], -v[56:57], v[72:73], v[42:43]
	v_fmac_f64_e32 v[28:29], v[54:55], v[72:73]
	global_load_dwordx4 v[54:57], v[24:25], off
	v_lshl_add_u64 v[24:25], v[16:17], 4, s[8:9]
	v_fmac_f64_e32 v[40:41], v[58:59], v[70:71]
	v_fma_f64 v[80:81], -v[60:61], v[72:73], v[40:41]
	global_load_dwordx4 v[40:43], v[24:25], off
	v_add_u32_e32 v16, -5, v14
	v_fmac_f64_e32 v[32:33], v[60:61], v[70:71]
	v_lshl_add_u64 v[24:25], v[16:17], 4, s[8:9]
	v_fmac_f64_e32 v[32:33], v[58:59], v[72:73]
	v_add_u32_e32 v16, 2, v18
	global_load_dwordx4 v[58:61], v[24:25], off
	v_fmac_f64_e32 v[38:39], v[62:63], v[70:71]
	v_lshl_add_u64 v[24:25], v[16:17], 4, s[10:11]
	v_fmac_f64_e32 v[36:37], v[66:67], v[70:71]
	v_fma_f64 v[82:83], -v[64:65], v[72:73], v[38:39]
	v_subrev_u32_e32 v16, 18, v14
	v_fmac_f64_e32 v[0:1], v[68:69], v[70:71]
	v_fma_f64 v[68:69], -v[68:69], v[72:73], v[36:37]
	global_load_dwordx4 v[36:39], v[24:25], off
	v_fmac_f64_e32 v[30:31], v[64:65], v[70:71]
	v_lshl_add_u64 v[24:25], v[16:17], 4, s[8:9]
	v_add_u32_e32 v16, -11, v14
	v_fmac_f64_e32 v[30:31], v[62:63], v[72:73]
	global_load_dwordx4 v[62:65], v[24:25], off
	v_lshl_add_u64 v[24:25], v[16:17], 4, s[8:9]
	v_add_u32_e32 v16, -4, v14
	s_waitcnt vmcnt(5)
	v_fmac_f64_e32 v[78:79], v[48:49], v[74:75]
	v_fmac_f64_e32 v[28:29], v[50:51], v[74:75]
	v_fma_f64 v[70:71], -v[50:51], v[76:77], v[78:79]
	v_fmac_f64_e32 v[28:29], v[48:49], v[76:77]
	global_load_dwordx4 v[48:51], v[24:25], off
	v_lshl_add_u64 v[24:25], v[16:17], 4, s[8:9]
	v_fmac_f64_e32 v[0:1], v[66:67], v[72:73]
	v_add_u32_e32 v16, 3, v18
	s_waitcnt vmcnt(5)
	v_fmac_f64_e32 v[80:81], v[54:55], v[74:75]
	v_fmac_f64_e32 v[32:33], v[56:57], v[74:75]
	v_fma_f64 v[72:73], -v[56:57], v[76:77], v[80:81]
	v_fmac_f64_e32 v[32:33], v[54:55], v[76:77]
	global_load_dwordx4 v[54:57], v[24:25], off
	v_lshl_add_u64 v[24:25], v[16:17], 4, s[10:11]
	s_waitcnt vmcnt(5)
	v_fmac_f64_e32 v[82:83], v[40:41], v[74:75]
	v_fmac_f64_e32 v[30:31], v[42:43], v[74:75]
	v_fma_f64 v[78:79], -v[42:43], v[76:77], v[82:83]
	v_fmac_f64_e32 v[30:31], v[40:41], v[76:77]
	global_load_dwordx4 v[40:43], v[24:25], off
	v_subrev_u32_e32 v16, 17, v14
	v_lshl_add_u64 v[24:25], v[16:17], 4, s[8:9]
	v_add_u32_e32 v16, -10, v14
	s_waitcnt vmcnt(5)
	v_fmac_f64_e32 v[68:69], v[58:59], v[74:75]
	v_fmac_f64_e32 v[0:1], v[60:61], v[74:75]
	v_fma_f64 v[74:75], -v[60:61], v[76:77], v[68:69]
	v_fmac_f64_e32 v[0:1], v[58:59], v[76:77]
	global_load_dwordx4 v[58:61], v[24:25], off
	v_lshl_add_u64 v[24:25], v[16:17], 4, s[8:9]
	v_add_u32_e32 v16, -3, v14
	global_load_dwordx4 v[66:69], v[24:25], off
	v_lshl_add_u64 v[24:25], v[16:17], 4, s[8:9]
	s_waitcnt vmcnt(6)
	v_fmac_f64_e32 v[70:71], v[44:45], v[36:37]
	v_fmac_f64_e32 v[28:29], v[46:47], v[36:37]
	v_subrev_u32_e32 v16, 23, v14
	v_fma_f64 v[70:71], -v[46:47], v[38:39], v[70:71]
	v_fmac_f64_e32 v[28:29], v[44:45], v[38:39]
	global_load_dwordx4 v[44:47], v[24:25], off
	v_lshl_add_u64 v[24:25], v[16:17], 4, s[8:9]
	v_add_u32_e32 v16, 4, v18
	s_waitcnt vmcnt(6)
	v_fmac_f64_e32 v[72:73], v[62:63], v[36:37]
	v_fmac_f64_e32 v[32:33], v[64:65], v[36:37]
	v_fma_f64 v[72:73], -v[64:65], v[38:39], v[72:73]
	v_fmac_f64_e32 v[32:33], v[62:63], v[38:39]
	global_load_dwordx4 v[62:65], v[24:25], off
	v_lshl_add_u64 v[24:25], v[16:17], 4, s[10:11]
	v_add_u32_e32 v16, -16, v14
	s_waitcnt vmcnt(6)
	v_fmac_f64_e32 v[78:79], v[48:49], v[36:37]
	v_fmac_f64_e32 v[30:31], v[50:51], v[36:37]
	v_fma_f64 v[76:77], -v[50:51], v[38:39], v[78:79]
	v_fmac_f64_e32 v[30:31], v[48:49], v[38:39]
	global_load_dwordx4 v[48:51], v[24:25], off
	v_lshl_add_u64 v[24:25], v[16:17], 4, s[8:9]
	v_add_u32_e32 v16, -9, v14
	s_waitcnt vmcnt(6)
	v_fmac_f64_e32 v[74:75], v[54:55], v[36:37]
	v_fmac_f64_e32 v[0:1], v[56:57], v[36:37]
	v_fma_f64 v[74:75], -v[56:57], v[38:39], v[74:75]
	v_fmac_f64_e32 v[0:1], v[54:55], v[38:39]
	global_load_dwordx4 v[36:39], v[24:25], off
	v_lshl_add_u64 v[24:25], v[16:17], 4, s[8:9]
	v_add_u32_e32 v16, -2, v14
	global_load_dwordx4 v[54:57], v[24:25], off
	v_lshl_add_u64 v[24:25], v[16:17], 4, s[8:9]
	s_waitcnt vmcnt(7)
	v_fmac_f64_e32 v[70:71], v[20:21], v[40:41]
	v_fmac_f64_e32 v[28:29], v[22:23], v[40:41]
	v_fma_f64 v[70:71], -v[22:23], v[42:43], v[70:71]
	v_fmac_f64_e32 v[28:29], v[20:21], v[42:43]
	global_load_dwordx4 v[20:23], v[24:25], off
	v_subrev_u32_e32 v16, 22, v14
	v_lshl_add_u64 v[24:25], v[16:17], 4, s[8:9]
	v_add_u32_e32 v16, 5, v18
	s_waitcnt vmcnt(7)
	v_fmac_f64_e32 v[72:73], v[58:59], v[40:41]
	v_fmac_f64_e32 v[32:33], v[60:61], v[40:41]
	v_fma_f64 v[78:79], -v[60:61], v[42:43], v[72:73]
	v_fmac_f64_e32 v[32:33], v[58:59], v[42:43]
	global_load_dwordx4 v[58:61], v[24:25], off
	v_lshl_add_u64 v[24:25], v[16:17], 4, s[10:11]
	v_add_u32_e32 v16, -15, v14
	s_waitcnt vmcnt(7)
	v_fmac_f64_e32 v[76:77], v[66:67], v[40:41]
	v_fmac_f64_e32 v[30:31], v[68:69], v[40:41]
	v_fma_f64 v[80:81], -v[68:69], v[42:43], v[76:77]
	v_fmac_f64_e32 v[30:31], v[66:67], v[42:43]
	global_load_dwordx4 v[66:69], v[24:25], off
	v_lshl_add_u64 v[24:25], v[16:17], 4, s[8:9]
	v_add_u32_e32 v16, -8, v14
	;; [unrolled: 8-line block ×3, first 2 shown]
	v_lshl_add_u64 v[74:75], v[16:17], 4, s[8:9]
	v_subrev_u32_e32 v16, 21, v14
	v_lshl_add_u64 v[76:77], v[16:17], 4, s[8:9]
	v_add_u32_e32 v16, 6, v18
	s_waitcnt vmcnt(6)
	v_fmac_f64_e32 v[70:71], v[62:63], v[48:49]
	v_fmac_f64_e32 v[28:29], v[64:65], v[48:49]
	v_lshl_add_u64 v[18:19], v[16:17], 4, s[10:11]
	v_add_u32_e32 v16, -14, v14
	global_load_dwordx4 v[44:47], v[24:25], off
	v_fma_f64 v[24:25], -v[64:65], v[50:51], v[70:71]
	v_fmac_f64_e32 v[28:29], v[62:63], v[50:51]
	global_load_dwordx4 v[62:65], v[74:75], off
	global_load_dwordx4 v[70:73], v[76:77], off
	s_waitcnt vmcnt(8)
	v_fmac_f64_e32 v[32:33], v[38:39], v[48:49]
	global_load_dwordx4 v[74:77], v[18:19], off
	v_lshl_add_u64 v[18:19], v[16:17], 4, s[8:9]
	s_waitcnt vmcnt(8)
	v_fmac_f64_e32 v[80:81], v[54:55], v[48:49]
	v_fmac_f64_e32 v[30:31], v[56:57], v[48:49]
	v_add_u32_e32 v16, -7, v14
	v_fmac_f64_e32 v[78:79], v[36:37], v[48:49]
	v_fmac_f64_e32 v[32:33], v[36:37], v[50:51]
	v_fma_f64 v[36:37], -v[56:57], v[50:51], v[80:81]
	v_fmac_f64_e32 v[30:31], v[54:55], v[50:51]
	global_load_dwordx4 v[54:57], v[18:19], off
	s_waitcnt vmcnt(8)
	v_fmac_f64_e32 v[0:1], v[22:23], v[48:49]
	v_lshl_add_u64 v[18:19], v[16:17], 4, s[8:9]
	v_fmac_f64_e32 v[82:83], v[20:21], v[48:49]
	v_fmac_f64_e32 v[0:1], v[20:21], v[50:51]
	global_load_dwordx4 v[18:21], v[18:19], off
	v_fma_f64 v[38:39], -v[38:39], v[50:51], v[78:79]
	v_fma_f64 v[22:23], -v[22:23], v[50:51], v[82:83]
	v_add_u32_e32 v14, 0x70, v14
	s_waitcnt vmcnt(7)
	v_fmac_f64_e32 v[24:25], v[58:59], v[66:67]
	v_fmac_f64_e32 v[28:29], v[60:61], v[66:67]
	v_fma_f64 v[24:25], -v[60:61], v[68:69], v[24:25]
	v_fmac_f64_e32 v[28:29], v[58:59], v[68:69]
	s_waitcnt vmcnt(6)
	v_fmac_f64_e32 v[38:39], v[40:41], v[66:67]
	v_fmac_f64_e32 v[32:33], v[42:43], v[66:67]
	v_fma_f64 v[38:39], -v[42:43], v[68:69], v[38:39]
	v_fmac_f64_e32 v[32:33], v[40:41], v[68:69]
	s_waitcnt vmcnt(5)
	v_fmac_f64_e32 v[36:37], v[44:45], v[66:67]
	v_fmac_f64_e32 v[30:31], v[46:47], v[66:67]
	s_waitcnt vmcnt(4)
	v_fmac_f64_e32 v[22:23], v[62:63], v[66:67]
	v_fmac_f64_e32 v[0:1], v[64:65], v[66:67]
	v_fma_f64 v[46:47], -v[46:47], v[68:69], v[36:37]
	v_fmac_f64_e32 v[30:31], v[44:45], v[68:69]
	v_fma_f64 v[22:23], -v[64:65], v[68:69], v[22:23]
	v_fmac_f64_e32 v[0:1], v[62:63], v[68:69]
	s_waitcnt vmcnt(2)
	v_fmac_f64_e32 v[24:25], v[70:71], v[74:75]
	v_fmac_f64_e32 v[28:29], v[72:73], v[74:75]
	;; [unrolled: 1-line block ×4, first 2 shown]
	v_fma_f64 v[42:43], -v[72:73], v[76:77], v[24:25]
	v_fmac_f64_e32 v[28:29], v[70:71], v[76:77]
	v_fma_f64 v[36:37], -v[12:13], v[76:77], v[22:23]
	v_fmac_f64_e32 v[0:1], v[10:11], v[76:77]
	s_waitcnt vmcnt(1)
	v_fmac_f64_e32 v[38:39], v[54:55], v[74:75]
	v_fmac_f64_e32 v[32:33], v[56:57], v[74:75]
	v_fma_f64 v[40:41], -v[56:57], v[76:77], v[38:39]
	v_fmac_f64_e32 v[32:33], v[54:55], v[76:77]
	s_waitcnt vmcnt(0)
	v_fmac_f64_e32 v[46:47], v[18:19], v[74:75]
	v_fmac_f64_e32 v[30:31], v[20:21], v[74:75]
	v_fma_f64 v[38:39], -v[20:21], v[76:77], v[46:47]
	v_fmac_f64_e32 v[30:31], v[18:19], v[76:77]
	s_andn2_b64 exec, exec, s[2:3]
	s_cbranch_execnz .LBB136_13
; %bb.14:
	s_or_b64 exec, exec, s[2:3]
.LBB136_15:
	s_or_b64 exec, exec, s[4:5]
.LBB136_16:
	v_mov_b32_dpp v16, v40 row_shr:1 row_mask:0xf bank_mask:0xf
	v_mov_b32_dpp v17, v41 row_shr:1 row_mask:0xf bank_mask:0xf
	v_mov_b32_dpp v14, v28 row_shr:1 row_mask:0xf bank_mask:0xf
	v_mov_b32_dpp v15, v29 row_shr:1 row_mask:0xf bank_mask:0xf
	v_add_f64 v[20:21], v[40:41], v[16:17]
	v_mov_b32_dpp v16, v32 row_shr:1 row_mask:0xf bank_mask:0xf
	v_mov_b32_dpp v17, v33 row_shr:1 row_mask:0xf bank_mask:0xf
	v_add_f64 v[14:15], v[28:29], v[14:15]
	v_add_f64 v[28:29], v[32:33], v[16:17]
	v_mov_b32_dpp v16, v38 row_shr:1 row_mask:0xf bank_mask:0xf
	v_mov_b32_dpp v17, v39 row_shr:1 row_mask:0xf bank_mask:0xf
	v_add_f64 v[34:35], v[38:39], v[16:17]
	v_mov_b32_dpp v16, v30 row_shr:1 row_mask:0xf bank_mask:0xf
	v_mov_b32_dpp v17, v31 row_shr:1 row_mask:0xf bank_mask:0xf
	;; [unrolled: 3-line block ×3, first 2 shown]
	v_mov_b32_dpp v10, v42 row_shr:1 row_mask:0xf bank_mask:0xf
	v_mov_b32_dpp v11, v43 row_shr:1 row_mask:0xf bank_mask:0xf
	v_add_f64 v[36:37], v[36:37], v[16:17]
	v_mov_b32_dpp v16, v0 row_shr:1 row_mask:0xf bank_mask:0xf
	v_mov_b32_dpp v17, v1 row_shr:1 row_mask:0xf bank_mask:0xf
	v_add_f64 v[10:11], v[42:43], v[10:11]
	v_add_f64 v[44:45], v[0:1], v[16:17]
	v_mov_b32_dpp v18, v14 row_shr:2 row_mask:0xf bank_mask:0xf
	v_mov_b32_dpp v12, v10 row_shr:2 row_mask:0xf bank_mask:0xf
	;; [unrolled: 1-line block ×16, first 2 shown]
	v_cmp_eq_u32_e32 vcc, 3, v27
	s_and_b64 exec, exec, vcc
	s_cbranch_execz .LBB136_21
; %bb.17:
	s_load_dwordx2 s[2:3], s[0:1], 0x48
	v_cmp_eq_f64_e32 vcc, 0, v[6:7]
	v_cmp_eq_f64_e64 s[0:1], 0, v[8:9]
	v_add_f64 v[16:17], v[10:11], v[12:13]
	v_add_f64 v[22:23], v[14:15], v[18:19]
	;; [unrolled: 1-line block ×8, first 2 shown]
	s_and_b64 s[0:1], vcc, s[0:1]
	s_and_saveexec_b64 s[4:5], s[0:1]
	s_xor_b64 s[0:1], exec, s[4:5]
	s_cbranch_execz .LBB136_19
; %bb.18:
	v_mul_f64 v[6:7], v[22:23], -v[4:5]
	v_mul_f64 v[8:9], v[2:3], v[22:23]
	v_fmac_f64_e32 v[6:7], v[2:3], v[16:17]
	v_fmac_f64_e32 v[8:9], v[4:5], v[16:17]
	v_lshlrev_b32_e32 v16, 2, v26
	v_ashrrev_i32_e32 v17, 31, v16
	s_waitcnt lgkmcnt(0)
	v_lshl_add_u64 v[16:17], v[16:17], 4, s[2:3]
	global_store_dwordx4 v[16:17], v[6:9], off
                                        ; implicit-def: $vgpr26
                                        ; implicit-def: $vgpr22_vgpr23
	s_nop 1
	v_mul_f64 v[6:7], v[20:21], -v[4:5]
	v_mul_f64 v[8:9], v[2:3], v[20:21]
	v_fmac_f64_e32 v[6:7], v[2:3], v[12:13]
	v_fmac_f64_e32 v[8:9], v[4:5], v[12:13]
	global_store_dwordx4 v[16:17], v[6:9], off offset:16
                                        ; implicit-def: $vgpr12_vgpr13
                                        ; implicit-def: $vgpr20_vgpr21
	s_nop 1
	v_mul_f64 v[6:7], v[18:19], -v[4:5]
	v_mul_f64 v[8:9], v[2:3], v[18:19]
	v_fmac_f64_e32 v[6:7], v[2:3], v[10:11]
	v_fmac_f64_e32 v[8:9], v[4:5], v[10:11]
	global_store_dwordx4 v[16:17], v[6:9], off offset:32
                                        ; implicit-def: $vgpr10_vgpr11
                                        ; implicit-def: $vgpr18_vgpr19
	s_nop 1
	v_mul_f64 v[6:7], v[14:15], -v[4:5]
	v_mul_f64 v[8:9], v[2:3], v[14:15]
	v_fmac_f64_e32 v[6:7], v[2:3], v[0:1]
	v_fmac_f64_e32 v[8:9], v[4:5], v[0:1]
	global_store_dwordx4 v[16:17], v[6:9], off offset:48
                                        ; implicit-def: $vgpr16_vgpr17
                                        ; implicit-def: $vgpr0_vgpr1
                                        ; implicit-def: $vgpr14_vgpr15
                                        ; implicit-def: $vgpr8_vgpr9
                                        ; implicit-def: $vgpr4_vgpr5
.LBB136_19:
	s_andn2_saveexec_b64 s[0:1], s[0:1]
	s_cbranch_execz .LBB136_21
; %bb.20:
	v_lshlrev_b32_e32 v24, 2, v26
	v_ashrrev_i32_e32 v25, 31, v24
	s_waitcnt lgkmcnt(0)
	v_lshl_add_u64 v[44:45], v[24:25], 4, s[2:3]
	global_load_dwordx4 v[24:27], v[44:45], off
	global_load_dwordx4 v[28:31], v[44:45], off offset:16
	global_load_dwordx4 v[32:35], v[44:45], off offset:32
	;; [unrolled: 1-line block ×3, first 2 shown]
	v_mul_f64 v[40:41], v[22:23], -v[4:5]
	v_mul_f64 v[22:23], v[2:3], v[22:23]
	v_mul_f64 v[46:47], v[20:21], -v[4:5]
	v_mul_f64 v[42:43], v[2:3], v[20:21]
	;; [unrolled: 2-line block ×4, first 2 shown]
	v_fmac_f64_e32 v[40:41], v[2:3], v[16:17]
	v_fmac_f64_e32 v[22:23], v[4:5], v[16:17]
	;; [unrolled: 1-line block ×8, first 2 shown]
	s_waitcnt vmcnt(3)
	v_fmac_f64_e32 v[40:41], v[6:7], v[24:25]
	v_fmac_f64_e32 v[22:23], v[8:9], v[24:25]
	s_waitcnt vmcnt(2)
	v_fmac_f64_e32 v[46:47], v[6:7], v[28:29]
	v_fmac_f64_e32 v[42:43], v[8:9], v[28:29]
	;; [unrolled: 3-line block ×4, first 2 shown]
	v_fma_f64 v[20:21], -v[8:9], v[26:27], v[40:41]
	v_fmac_f64_e32 v[22:23], v[6:7], v[26:27]
	v_fma_f64 v[40:41], -v[8:9], v[30:31], v[46:47]
	v_fmac_f64_e32 v[42:43], v[6:7], v[30:31]
	;; [unrolled: 2-line block ×4, first 2 shown]
	global_store_dwordx4 v[44:45], v[20:23], off
	global_store_dwordx4 v[44:45], v[40:43], off offset:16
	global_store_dwordx4 v[44:45], v[16:19], off offset:32
	;; [unrolled: 1-line block ×3, first 2 shown]
.LBB136_21:
	s_endpgm
	.section	.rodata,"a",@progbits
	.p2align	6, 0x0
	.amdhsa_kernel _ZN9rocsparseL19gebsrmvn_4xn_kernelILj128ELj7ELj4E21rocsparse_complex_numIdEEEvi20rocsparse_direction_NS_24const_host_device_scalarIT2_EEPKiS8_PKS5_SA_S6_PS5_21rocsparse_index_base_b
		.amdhsa_group_segment_fixed_size 0
		.amdhsa_private_segment_fixed_size 0
		.amdhsa_kernarg_size 88
		.amdhsa_user_sgpr_count 2
		.amdhsa_user_sgpr_dispatch_ptr 0
		.amdhsa_user_sgpr_queue_ptr 0
		.amdhsa_user_sgpr_kernarg_segment_ptr 1
		.amdhsa_user_sgpr_dispatch_id 0
		.amdhsa_user_sgpr_kernarg_preload_length 0
		.amdhsa_user_sgpr_kernarg_preload_offset 0
		.amdhsa_user_sgpr_private_segment_size 0
		.amdhsa_uses_dynamic_stack 0
		.amdhsa_enable_private_segment 0
		.amdhsa_system_sgpr_workgroup_id_x 1
		.amdhsa_system_sgpr_workgroup_id_y 0
		.amdhsa_system_sgpr_workgroup_id_z 0
		.amdhsa_system_sgpr_workgroup_info 0
		.amdhsa_system_vgpr_workitem_id 0
		.amdhsa_next_free_vgpr 92
		.amdhsa_next_free_sgpr 16
		.amdhsa_accum_offset 92
		.amdhsa_reserve_vcc 1
		.amdhsa_float_round_mode_32 0
		.amdhsa_float_round_mode_16_64 0
		.amdhsa_float_denorm_mode_32 3
		.amdhsa_float_denorm_mode_16_64 3
		.amdhsa_dx10_clamp 1
		.amdhsa_ieee_mode 1
		.amdhsa_fp16_overflow 0
		.amdhsa_tg_split 0
		.amdhsa_exception_fp_ieee_invalid_op 0
		.amdhsa_exception_fp_denorm_src 0
		.amdhsa_exception_fp_ieee_div_zero 0
		.amdhsa_exception_fp_ieee_overflow 0
		.amdhsa_exception_fp_ieee_underflow 0
		.amdhsa_exception_fp_ieee_inexact 0
		.amdhsa_exception_int_div_zero 0
	.end_amdhsa_kernel
	.section	.text._ZN9rocsparseL19gebsrmvn_4xn_kernelILj128ELj7ELj4E21rocsparse_complex_numIdEEEvi20rocsparse_direction_NS_24const_host_device_scalarIT2_EEPKiS8_PKS5_SA_S6_PS5_21rocsparse_index_base_b,"axG",@progbits,_ZN9rocsparseL19gebsrmvn_4xn_kernelILj128ELj7ELj4E21rocsparse_complex_numIdEEEvi20rocsparse_direction_NS_24const_host_device_scalarIT2_EEPKiS8_PKS5_SA_S6_PS5_21rocsparse_index_base_b,comdat
.Lfunc_end136:
	.size	_ZN9rocsparseL19gebsrmvn_4xn_kernelILj128ELj7ELj4E21rocsparse_complex_numIdEEEvi20rocsparse_direction_NS_24const_host_device_scalarIT2_EEPKiS8_PKS5_SA_S6_PS5_21rocsparse_index_base_b, .Lfunc_end136-_ZN9rocsparseL19gebsrmvn_4xn_kernelILj128ELj7ELj4E21rocsparse_complex_numIdEEEvi20rocsparse_direction_NS_24const_host_device_scalarIT2_EEPKiS8_PKS5_SA_S6_PS5_21rocsparse_index_base_b
                                        ; -- End function
	.set _ZN9rocsparseL19gebsrmvn_4xn_kernelILj128ELj7ELj4E21rocsparse_complex_numIdEEEvi20rocsparse_direction_NS_24const_host_device_scalarIT2_EEPKiS8_PKS5_SA_S6_PS5_21rocsparse_index_base_b.num_vgpr, 92
	.set _ZN9rocsparseL19gebsrmvn_4xn_kernelILj128ELj7ELj4E21rocsparse_complex_numIdEEEvi20rocsparse_direction_NS_24const_host_device_scalarIT2_EEPKiS8_PKS5_SA_S6_PS5_21rocsparse_index_base_b.num_agpr, 0
	.set _ZN9rocsparseL19gebsrmvn_4xn_kernelILj128ELj7ELj4E21rocsparse_complex_numIdEEEvi20rocsparse_direction_NS_24const_host_device_scalarIT2_EEPKiS8_PKS5_SA_S6_PS5_21rocsparse_index_base_b.numbered_sgpr, 16
	.set _ZN9rocsparseL19gebsrmvn_4xn_kernelILj128ELj7ELj4E21rocsparse_complex_numIdEEEvi20rocsparse_direction_NS_24const_host_device_scalarIT2_EEPKiS8_PKS5_SA_S6_PS5_21rocsparse_index_base_b.num_named_barrier, 0
	.set _ZN9rocsparseL19gebsrmvn_4xn_kernelILj128ELj7ELj4E21rocsparse_complex_numIdEEEvi20rocsparse_direction_NS_24const_host_device_scalarIT2_EEPKiS8_PKS5_SA_S6_PS5_21rocsparse_index_base_b.private_seg_size, 0
	.set _ZN9rocsparseL19gebsrmvn_4xn_kernelILj128ELj7ELj4E21rocsparse_complex_numIdEEEvi20rocsparse_direction_NS_24const_host_device_scalarIT2_EEPKiS8_PKS5_SA_S6_PS5_21rocsparse_index_base_b.uses_vcc, 1
	.set _ZN9rocsparseL19gebsrmvn_4xn_kernelILj128ELj7ELj4E21rocsparse_complex_numIdEEEvi20rocsparse_direction_NS_24const_host_device_scalarIT2_EEPKiS8_PKS5_SA_S6_PS5_21rocsparse_index_base_b.uses_flat_scratch, 0
	.set _ZN9rocsparseL19gebsrmvn_4xn_kernelILj128ELj7ELj4E21rocsparse_complex_numIdEEEvi20rocsparse_direction_NS_24const_host_device_scalarIT2_EEPKiS8_PKS5_SA_S6_PS5_21rocsparse_index_base_b.has_dyn_sized_stack, 0
	.set _ZN9rocsparseL19gebsrmvn_4xn_kernelILj128ELj7ELj4E21rocsparse_complex_numIdEEEvi20rocsparse_direction_NS_24const_host_device_scalarIT2_EEPKiS8_PKS5_SA_S6_PS5_21rocsparse_index_base_b.has_recursion, 0
	.set _ZN9rocsparseL19gebsrmvn_4xn_kernelILj128ELj7ELj4E21rocsparse_complex_numIdEEEvi20rocsparse_direction_NS_24const_host_device_scalarIT2_EEPKiS8_PKS5_SA_S6_PS5_21rocsparse_index_base_b.has_indirect_call, 0
	.section	.AMDGPU.csdata,"",@progbits
; Kernel info:
; codeLenInByte = 3840
; TotalNumSgprs: 22
; NumVgprs: 92
; NumAgprs: 0
; TotalNumVgprs: 92
; ScratchSize: 0
; MemoryBound: 0
; FloatMode: 240
; IeeeMode: 1
; LDSByteSize: 0 bytes/workgroup (compile time only)
; SGPRBlocks: 2
; VGPRBlocks: 11
; NumSGPRsForWavesPerEU: 22
; NumVGPRsForWavesPerEU: 92
; AccumOffset: 92
; Occupancy: 5
; WaveLimiterHint : 1
; COMPUTE_PGM_RSRC2:SCRATCH_EN: 0
; COMPUTE_PGM_RSRC2:USER_SGPR: 2
; COMPUTE_PGM_RSRC2:TRAP_HANDLER: 0
; COMPUTE_PGM_RSRC2:TGID_X_EN: 1
; COMPUTE_PGM_RSRC2:TGID_Y_EN: 0
; COMPUTE_PGM_RSRC2:TGID_Z_EN: 0
; COMPUTE_PGM_RSRC2:TIDIG_COMP_CNT: 0
; COMPUTE_PGM_RSRC3_GFX90A:ACCUM_OFFSET: 22
; COMPUTE_PGM_RSRC3_GFX90A:TG_SPLIT: 0
	.section	.text._ZN9rocsparseL19gebsrmvn_4xn_kernelILj128ELj7ELj8E21rocsparse_complex_numIdEEEvi20rocsparse_direction_NS_24const_host_device_scalarIT2_EEPKiS8_PKS5_SA_S6_PS5_21rocsparse_index_base_b,"axG",@progbits,_ZN9rocsparseL19gebsrmvn_4xn_kernelILj128ELj7ELj8E21rocsparse_complex_numIdEEEvi20rocsparse_direction_NS_24const_host_device_scalarIT2_EEPKiS8_PKS5_SA_S6_PS5_21rocsparse_index_base_b,comdat
	.globl	_ZN9rocsparseL19gebsrmvn_4xn_kernelILj128ELj7ELj8E21rocsparse_complex_numIdEEEvi20rocsparse_direction_NS_24const_host_device_scalarIT2_EEPKiS8_PKS5_SA_S6_PS5_21rocsparse_index_base_b ; -- Begin function _ZN9rocsparseL19gebsrmvn_4xn_kernelILj128ELj7ELj8E21rocsparse_complex_numIdEEEvi20rocsparse_direction_NS_24const_host_device_scalarIT2_EEPKiS8_PKS5_SA_S6_PS5_21rocsparse_index_base_b
	.p2align	8
	.type	_ZN9rocsparseL19gebsrmvn_4xn_kernelILj128ELj7ELj8E21rocsparse_complex_numIdEEEvi20rocsparse_direction_NS_24const_host_device_scalarIT2_EEPKiS8_PKS5_SA_S6_PS5_21rocsparse_index_base_b,@function
_ZN9rocsparseL19gebsrmvn_4xn_kernelILj128ELj7ELj8E21rocsparse_complex_numIdEEEvi20rocsparse_direction_NS_24const_host_device_scalarIT2_EEPKiS8_PKS5_SA_S6_PS5_21rocsparse_index_base_b: ; @_ZN9rocsparseL19gebsrmvn_4xn_kernelILj128ELj7ELj8E21rocsparse_complex_numIdEEEvi20rocsparse_direction_NS_24const_host_device_scalarIT2_EEPKiS8_PKS5_SA_S6_PS5_21rocsparse_index_base_b
; %bb.0:
	s_load_dwordx2 s[4:5], s[0:1], 0x8
	s_load_dwordx2 s[6:7], s[0:1], 0x38
	;; [unrolled: 1-line block ×3, first 2 shown]
	s_add_u32 s3, s0, 8
	s_addc_u32 s8, s1, 0
	s_add_u32 s9, s0, 56
	s_addc_u32 s10, s1, 0
	s_waitcnt lgkmcnt(0)
	s_bitcmp1_b32 s13, 0
	s_cselect_b32 s5, s8, s5
	s_cselect_b32 s3, s3, s4
	v_mov_b32_e32 v2, s3
	v_mov_b32_e32 v3, s5
	flat_load_dwordx4 v[2:5], v[2:3]
	s_cselect_b32 s3, s10, s7
	s_cselect_b32 s4, s9, s6
	v_mov_b32_e32 v6, s4
	v_mov_b32_e32 v7, s3
	flat_load_dwordx4 v[6:9], v[6:7]
	s_waitcnt vmcnt(0) lgkmcnt(0)
	v_cmp_eq_f64_e32 vcc, 0, v[2:3]
	v_cmp_eq_f64_e64 s[4:5], 0, v[4:5]
	s_and_b64 s[8:9], vcc, s[4:5]
	s_mov_b64 s[4:5], -1
	s_and_saveexec_b64 s[6:7], s[8:9]
; %bb.1:
	v_cmp_neq_f64_e32 vcc, 1.0, v[6:7]
	v_cmp_neq_f64_e64 s[4:5], 0, v[8:9]
	s_or_b64 s[4:5], vcc, s[4:5]
	s_orn2_b64 s[4:5], s[4:5], exec
; %bb.2:
	s_or_b64 exec, exec, s[6:7]
	s_and_saveexec_b64 s[6:7], s[4:5]
	s_cbranch_execz .LBB137_21
; %bb.3:
	s_load_dwordx2 s[14:15], s[0:1], 0x0
	v_lshrrev_b32_e32 v1, 3, v0
	v_lshl_or_b32 v26, s2, 4, v1
	s_waitcnt lgkmcnt(0)
	v_cmp_gt_i32_e32 vcc, s14, v26
	s_and_b64 exec, exec, vcc
	s_cbranch_execz .LBB137_21
; %bb.4:
	s_load_dwordx8 s[4:11], s[0:1], 0x18
	v_ashrrev_i32_e32 v27, 31, v26
	s_cmp_lg_u32 s15, 0
	s_waitcnt lgkmcnt(0)
	v_lshl_add_u64 v[10:11], v[26:27], 2, s[4:5]
	global_load_dwordx2 v[10:11], v[10:11], off
	v_and_b32_e32 v27, 7, v0
	s_waitcnt vmcnt(0)
	v_subrev_u32_e32 v0, s12, v10
	v_subrev_u32_e32 v52, s12, v11
	v_add_u32_e32 v34, v0, v27
	v_cmp_lt_i32_e64 s[2:3], v34, v52
	s_cbranch_scc0 .LBB137_10
; %bb.5:
	v_mov_b64_e32 v[30:31], 0
	v_mov_b64_e32 v[42:43], 0
	;; [unrolled: 1-line block ×8, first 2 shown]
	s_and_saveexec_b64 s[4:5], s[2:3]
	s_cbranch_execz .LBB137_9
; %bb.6:
	v_mad_u64_u32 v[44:45], s[14:15], v34, 28, 24
	v_mov_b64_e32 v[30:31], 0
	s_mov_b64 s[14:15], 0
	v_mov_b32_e32 v47, 0
	v_mov_b32_e32 v48, v34
	v_mov_b64_e32 v[42:43], 0
	v_mov_b64_e32 v[36:37], 0
	v_mov_b64_e32 v[0:1], 0
	v_mov_b64_e32 v[38:39], 0
	v_mov_b64_e32 v[28:29], 0
	v_mov_b64_e32 v[40:41], 0
	v_mov_b64_e32 v[32:33], 0
.LBB137_7:                              ; =>This Inner Loop Header: Depth=1
	v_ashrrev_i32_e32 v49, 31, v48
	v_subrev_u32_e32 v46, 24, v44
	v_lshl_add_u64 v[10:11], v[48:49], 2, s[6:7]
	v_lshl_add_u64 v[12:13], v[46:47], 4, s[8:9]
	global_load_dword v35, v[10:11], off
	global_load_dwordx4 v[54:57], v[12:13], off offset:48
	global_load_dwordx4 v[58:61], v[12:13], off offset:32
	;; [unrolled: 1-line block ×3, first 2 shown]
	global_load_dwordx4 v[66:69], v[12:13], off
	v_mov_b32_e32 v45, v47
	v_mov_b32_e32 v51, v47
	v_subrev_u32_e32 v46, 20, v44
	v_lshl_add_u64 v[82:83], v[44:45], 4, s[8:9]
	v_lshl_add_u64 v[86:87], v[46:47], 4, s[8:9]
	global_load_dwordx4 v[10:13], v[82:83], off offset:48
	global_load_dwordx4 v[14:17], v[82:83], off offset:32
	;; [unrolled: 1-line block ×3, first 2 shown]
	global_load_dwordx4 v[22:25], v[82:83], off
	global_load_dwordx4 v[70:73], v[86:87], off offset:48
	global_load_dwordx4 v[74:77], v[86:87], off offset:32
	;; [unrolled: 1-line block ×3, first 2 shown]
	v_add_u32_e32 v48, 8, v48
	v_cmp_ge_i32_e32 vcc, v48, v52
	s_or_b64 s[14:15], vcc, s[14:15]
	s_waitcnt vmcnt(11)
	v_subrev_u32_e32 v35, s12, v35
	v_mul_lo_u32 v50, v35, 7
	v_lshl_add_u64 v[82:83], v[50:51], 4, s[10:11]
	global_load_dwordx4 v[82:85], v[82:83], off
	v_add_u32_e32 v46, 1, v50
	s_waitcnt vmcnt(0)
	v_fmac_f64_e32 v[42:43], v[66:67], v[82:83]
	v_fma_f64 v[88:89], -v[68:69], v[84:85], v[42:43]
	v_lshl_add_u64 v[42:43], v[46:47], 4, s[10:11]
	v_add_u32_e32 v46, -16, v44
	v_fmac_f64_e32 v[32:33], v[64:65], v[82:83]
	v_fmac_f64_e32 v[30:31], v[68:69], v[82:83]
	;; [unrolled: 1-line block ×4, first 2 shown]
	v_lshl_add_u64 v[62:63], v[46:47], 4, s[8:9]
	v_fmac_f64_e32 v[38:39], v[58:59], v[82:83]
	v_fmac_f64_e32 v[28:29], v[60:61], v[82:83]
	;; [unrolled: 1-line block ×3, first 2 shown]
	global_load_dwordx4 v[66:69], v[86:87], off
	v_fma_f64 v[90:91], -v[60:61], v[84:85], v[38:39]
	v_fmac_f64_e32 v[28:29], v[58:59], v[84:85]
	global_load_dwordx4 v[58:61], v[62:63], off offset:48
	v_fma_f64 v[86:87], -v[64:65], v[84:85], v[40:41]
	global_load_dwordx4 v[40:43], v[42:43], off
	v_add_u32_e32 v46, 2, v50
	v_fmac_f64_e32 v[36:37], v[54:55], v[82:83]
	v_fmac_f64_e32 v[0:1], v[56:57], v[82:83]
	v_fma_f64 v[82:83], -v[56:57], v[84:85], v[36:37]
	v_fmac_f64_e32 v[0:1], v[54:55], v[84:85]
	global_load_dwordx4 v[36:39], v[62:63], off offset:32
	global_load_dwordx4 v[54:57], v[62:63], off offset:16
	s_waitcnt vmcnt(2)
	v_fmac_f64_e32 v[30:31], v[68:69], v[40:41]
	v_fmac_f64_e32 v[88:89], v[66:67], v[40:41]
	;; [unrolled: 1-line block ×3, first 2 shown]
	v_lshl_add_u64 v[66:67], v[46:47], 4, s[10:11]
	v_fma_f64 v[84:85], -v[68:69], v[42:43], v[88:89]
	global_load_dwordx4 v[62:65], v[62:63], off
	v_add_u32_e32 v46, -12, v44
	global_load_dwordx4 v[66:69], v[66:67], off
	v_fmac_f64_e32 v[86:87], v[78:79], v[40:41]
	v_fmac_f64_e32 v[32:33], v[80:81], v[40:41]
	v_fma_f64 v[80:81], -v[80:81], v[42:43], v[86:87]
	v_fmac_f64_e32 v[32:33], v[78:79], v[42:43]
	v_lshl_add_u64 v[78:79], v[46:47], 4, s[8:9]
	v_add_u32_e32 v46, 3, v50
	v_fmac_f64_e32 v[90:91], v[74:75], v[40:41]
	v_fmac_f64_e32 v[28:29], v[76:77], v[40:41]
	;; [unrolled: 1-line block ×4, first 2 shown]
	v_fma_f64 v[86:87], -v[76:77], v[42:43], v[90:91]
	v_fmac_f64_e32 v[28:29], v[74:75], v[42:43]
	global_load_dwordx4 v[74:77], v[78:79], off offset:48
	v_fma_f64 v[82:83], -v[72:73], v[42:43], v[82:83]
	v_fmac_f64_e32 v[0:1], v[70:71], v[42:43]
	global_load_dwordx4 v[40:43], v[78:79], off offset:32
	global_load_dwordx4 v[70:73], v[78:79], off offset:16
	s_waitcnt vmcnt(3)
	v_fmac_f64_e32 v[84:85], v[62:63], v[66:67]
	v_fmac_f64_e32 v[30:31], v[64:65], v[66:67]
	v_fma_f64 v[84:85], -v[64:65], v[68:69], v[84:85]
	v_fmac_f64_e32 v[30:31], v[62:63], v[68:69]
	global_load_dwordx4 v[62:65], v[78:79], off
	v_lshl_add_u64 v[78:79], v[46:47], 4, s[10:11]
	v_fmac_f64_e32 v[80:81], v[54:55], v[66:67]
	v_fmac_f64_e32 v[32:33], v[56:57], v[66:67]
	v_fma_f64 v[80:81], -v[56:57], v[68:69], v[80:81]
	v_fmac_f64_e32 v[32:33], v[54:55], v[68:69]
	global_load_dwordx4 v[54:57], v[78:79], off
	v_add_u32_e32 v46, -8, v44
	v_lshl_add_u64 v[78:79], v[46:47], 4, s[8:9]
	v_add_u32_e32 v46, 4, v50
	v_fmac_f64_e32 v[86:87], v[36:37], v[66:67]
	v_fmac_f64_e32 v[28:29], v[38:39], v[66:67]
	;; [unrolled: 1-line block ×4, first 2 shown]
	v_fma_f64 v[86:87], -v[38:39], v[68:69], v[86:87]
	v_fmac_f64_e32 v[28:29], v[36:37], v[68:69]
	global_load_dwordx4 v[36:39], v[78:79], off offset:48
	v_fma_f64 v[82:83], -v[60:61], v[68:69], v[82:83]
	v_fmac_f64_e32 v[0:1], v[58:59], v[68:69]
	global_load_dwordx4 v[58:61], v[78:79], off offset:32
	global_load_dwordx4 v[66:69], v[78:79], off offset:16
	s_waitcnt vmcnt(3)
	v_fmac_f64_e32 v[84:85], v[62:63], v[54:55]
	v_fmac_f64_e32 v[30:31], v[64:65], v[54:55]
	v_fma_f64 v[84:85], -v[64:65], v[56:57], v[84:85]
	v_fmac_f64_e32 v[30:31], v[62:63], v[56:57]
	global_load_dwordx4 v[62:65], v[78:79], off
	v_lshl_add_u64 v[78:79], v[46:47], 4, s[10:11]
	v_fmac_f64_e32 v[80:81], v[70:71], v[54:55]
	v_fmac_f64_e32 v[32:33], v[72:73], v[54:55]
	v_fma_f64 v[88:89], -v[72:73], v[56:57], v[80:81]
	v_fmac_f64_e32 v[32:33], v[70:71], v[56:57]
	global_load_dwordx4 v[70:73], v[78:79], off
	v_add_u32_e32 v46, -4, v44
	v_lshl_add_u64 v[78:79], v[46:47], 4, s[8:9]
	v_add_u32_e32 v46, 5, v50
	v_fmac_f64_e32 v[86:87], v[40:41], v[54:55]
	v_fmac_f64_e32 v[28:29], v[42:43], v[54:55]
	;; [unrolled: 1-line block ×4, first 2 shown]
	v_fma_f64 v[86:87], -v[42:43], v[56:57], v[86:87]
	v_fmac_f64_e32 v[28:29], v[40:41], v[56:57]
	global_load_dwordx4 v[40:43], v[78:79], off offset:48
	v_fma_f64 v[82:83], -v[76:77], v[56:57], v[82:83]
	v_fmac_f64_e32 v[0:1], v[74:75], v[56:57]
	global_load_dwordx4 v[54:57], v[78:79], off offset:32
	global_load_dwordx4 v[74:77], v[78:79], off offset:16
	v_add_u32_e32 v44, 0xe0, v44
	s_waitcnt vmcnt(3)
	v_fmac_f64_e32 v[84:85], v[62:63], v[70:71]
	v_fmac_f64_e32 v[30:31], v[64:65], v[70:71]
	v_fma_f64 v[84:85], -v[64:65], v[72:73], v[84:85]
	v_fmac_f64_e32 v[30:31], v[62:63], v[72:73]
	global_load_dwordx4 v[62:65], v[78:79], off
	v_lshl_add_u64 v[78:79], v[46:47], 4, s[10:11]
	v_add_u32_e32 v46, 6, v50
	global_load_dwordx4 v[78:81], v[78:79], off
	v_fmac_f64_e32 v[32:33], v[68:69], v[70:71]
	v_fmac_f64_e32 v[88:89], v[66:67], v[70:71]
	;; [unrolled: 1-line block ×3, first 2 shown]
	v_lshl_add_u64 v[66:67], v[46:47], 4, s[10:11]
	v_fma_f64 v[50:51], -v[68:69], v[72:73], v[88:89]
	global_load_dwordx4 v[66:69], v[66:67], off
	v_fmac_f64_e32 v[86:87], v[58:59], v[70:71]
	v_fmac_f64_e32 v[28:29], v[60:61], v[70:71]
	;; [unrolled: 1-line block ×4, first 2 shown]
	v_fma_f64 v[60:61], -v[60:61], v[72:73], v[86:87]
	v_fmac_f64_e32 v[28:29], v[58:59], v[72:73]
	v_fma_f64 v[38:39], -v[38:39], v[72:73], v[82:83]
	v_fmac_f64_e32 v[0:1], v[36:37], v[72:73]
	s_waitcnt vmcnt(1)
	v_fmac_f64_e32 v[84:85], v[62:63], v[78:79]
	v_fmac_f64_e32 v[30:31], v[64:65], v[78:79]
	;; [unrolled: 1-line block ×8, first 2 shown]
	v_fma_f64 v[36:37], -v[64:65], v[80:81], v[84:85]
	v_fmac_f64_e32 v[30:31], v[62:63], v[80:81]
	v_fma_f64 v[50:51], -v[76:77], v[80:81], v[50:51]
	v_fmac_f64_e32 v[32:33], v[74:75], v[80:81]
	;; [unrolled: 2-line block ×4, first 2 shown]
	s_waitcnt vmcnt(0)
	v_fmac_f64_e32 v[36:37], v[22:23], v[66:67]
	v_fmac_f64_e32 v[30:31], v[24:25], v[66:67]
	v_fmac_f64_e32 v[50:51], v[18:19], v[66:67]
	v_fmac_f64_e32 v[32:33], v[20:21], v[66:67]
	v_fmac_f64_e32 v[56:57], v[14:15], v[66:67]
	v_fmac_f64_e32 v[28:29], v[16:17], v[66:67]
	v_fmac_f64_e32 v[54:55], v[10:11], v[66:67]
	v_fmac_f64_e32 v[0:1], v[12:13], v[66:67]
	v_fma_f64 v[42:43], -v[24:25], v[68:69], v[36:37]
	v_fmac_f64_e32 v[30:31], v[22:23], v[68:69]
	v_fma_f64 v[40:41], -v[20:21], v[68:69], v[50:51]
	v_fmac_f64_e32 v[32:33], v[18:19], v[68:69]
	;; [unrolled: 2-line block ×4, first 2 shown]
	s_andn2_b64 exec, exec, s[14:15]
	s_cbranch_execnz .LBB137_7
; %bb.8:
	s_or_b64 exec, exec, s[14:15]
.LBB137_9:
	s_or_b64 exec, exec, s[4:5]
	s_cbranch_execz .LBB137_11
	s_branch .LBB137_16
.LBB137_10:
                                        ; implicit-def: $vgpr30_vgpr31
                                        ; implicit-def: $vgpr42_vgpr43
                                        ; implicit-def: $vgpr36_vgpr37
                                        ; implicit-def: $vgpr0_vgpr1
                                        ; implicit-def: $vgpr38_vgpr39
                                        ; implicit-def: $vgpr28_vgpr29
                                        ; implicit-def: $vgpr40_vgpr41
                                        ; implicit-def: $vgpr32_vgpr33
.LBB137_11:
	v_mov_b64_e32 v[30:31], 0
	v_mov_b64_e32 v[42:43], 0
	;; [unrolled: 1-line block ×8, first 2 shown]
	s_and_saveexec_b64 s[4:5], s[2:3]
	s_cbranch_execz .LBB137_15
; %bb.12:
	v_mad_u64_u32 v[14:15], s[2:3], v34, 28, 27
	v_mov_b64_e32 v[30:31], 0
	s_mov_b64 s[2:3], 0
	v_mov_b32_e32 v17, 0
	v_mov_b64_e32 v[42:43], 0
	v_mov_b64_e32 v[36:37], 0
	;; [unrolled: 1-line block ×7, first 2 shown]
.LBB137_13:                             ; =>This Inner Loop Header: Depth=1
	v_ashrrev_i32_e32 v35, 31, v34
	v_subrev_u32_e32 v16, 27, v14
	v_subrev_u32_e32 v20, 20, v14
	v_add_u32_e32 v12, -13, v14
	v_add_u32_e32 v10, -6, v14
	v_mov_b32_e32 v21, v17
	v_mov_b32_e32 v13, v17
	;; [unrolled: 1-line block ×4, first 2 shown]
	v_lshl_add_u64 v[24:25], v[34:35], 2, s[6:7]
	v_lshl_add_u64 v[70:71], v[16:17], 4, s[8:9]
	;; [unrolled: 1-line block ×6, first 2 shown]
	global_load_dword v15, v[24:25], off
	global_load_dwordx4 v[20:23], v[70:71], off offset:48
	global_load_dwordx4 v[44:47], v[70:71], off offset:32
	;; [unrolled: 1-line block ×3, first 2 shown]
	global_load_dwordx4 v[54:57], v[70:71], off
	global_load_dwordx4 v[58:61], v[72:73], off
	global_load_dwordx4 v[62:65], v[74:75], off
	global_load_dwordx4 v[66:69], v[76:77], off
	global_load_dwordx4 v[10:13], v[78:79], off
	v_mov_b32_e32 v19, v17
	v_add_u32_e32 v34, 8, v34
	v_cmp_ge_i32_e32 vcc, v34, v52
	s_or_b64 s[2:3], vcc, s[2:3]
	s_waitcnt vmcnt(8)
	v_subrev_u32_e32 v15, s12, v15
	v_mul_lo_u32 v18, v15, 7
	v_lshl_add_u64 v[24:25], v[18:19], 4, s[10:11]
	global_load_dwordx4 v[70:73], v[24:25], off
	v_add_u32_e32 v16, 1, v18
	v_lshl_add_u64 v[24:25], v[16:17], 4, s[10:11]
	v_subrev_u32_e32 v16, 19, v14
	global_load_dwordx4 v[74:77], v[24:25], off
	v_lshl_add_u64 v[24:25], v[16:17], 4, s[8:9]
	v_add_u32_e32 v16, -12, v14
	s_waitcnt vmcnt(1)
	v_fmac_f64_e32 v[42:43], v[54:55], v[70:71]
	v_fmac_f64_e32 v[30:31], v[56:57], v[70:71]
	v_fma_f64 v[78:79], -v[56:57], v[72:73], v[42:43]
	v_fmac_f64_e32 v[30:31], v[54:55], v[72:73]
	global_load_dwordx4 v[54:57], v[24:25], off
	v_lshl_add_u64 v[24:25], v[16:17], 4, s[8:9]
	v_fmac_f64_e32 v[40:41], v[58:59], v[70:71]
	v_fma_f64 v[80:81], -v[60:61], v[72:73], v[40:41]
	global_load_dwordx4 v[40:43], v[24:25], off
	v_add_u32_e32 v16, -5, v14
	v_fmac_f64_e32 v[32:33], v[60:61], v[70:71]
	v_lshl_add_u64 v[24:25], v[16:17], 4, s[8:9]
	v_fmac_f64_e32 v[32:33], v[58:59], v[72:73]
	v_add_u32_e32 v16, 2, v18
	global_load_dwordx4 v[58:61], v[24:25], off
	v_fmac_f64_e32 v[38:39], v[62:63], v[70:71]
	v_lshl_add_u64 v[24:25], v[16:17], 4, s[10:11]
	v_fmac_f64_e32 v[36:37], v[66:67], v[70:71]
	v_fma_f64 v[82:83], -v[64:65], v[72:73], v[38:39]
	v_subrev_u32_e32 v16, 18, v14
	v_fmac_f64_e32 v[0:1], v[68:69], v[70:71]
	v_fma_f64 v[68:69], -v[68:69], v[72:73], v[36:37]
	global_load_dwordx4 v[36:39], v[24:25], off
	v_fmac_f64_e32 v[28:29], v[64:65], v[70:71]
	v_lshl_add_u64 v[24:25], v[16:17], 4, s[8:9]
	v_add_u32_e32 v16, -11, v14
	v_fmac_f64_e32 v[28:29], v[62:63], v[72:73]
	global_load_dwordx4 v[62:65], v[24:25], off
	v_lshl_add_u64 v[24:25], v[16:17], 4, s[8:9]
	v_add_u32_e32 v16, -4, v14
	s_waitcnt vmcnt(5)
	v_fmac_f64_e32 v[78:79], v[48:49], v[74:75]
	v_fmac_f64_e32 v[30:31], v[50:51], v[74:75]
	v_fma_f64 v[70:71], -v[50:51], v[76:77], v[78:79]
	v_fmac_f64_e32 v[30:31], v[48:49], v[76:77]
	global_load_dwordx4 v[48:51], v[24:25], off
	v_lshl_add_u64 v[24:25], v[16:17], 4, s[8:9]
	v_fmac_f64_e32 v[0:1], v[66:67], v[72:73]
	v_add_u32_e32 v16, 3, v18
	s_waitcnt vmcnt(5)
	v_fmac_f64_e32 v[80:81], v[54:55], v[74:75]
	v_fmac_f64_e32 v[32:33], v[56:57], v[74:75]
	v_fma_f64 v[72:73], -v[56:57], v[76:77], v[80:81]
	v_fmac_f64_e32 v[32:33], v[54:55], v[76:77]
	global_load_dwordx4 v[54:57], v[24:25], off
	v_lshl_add_u64 v[24:25], v[16:17], 4, s[10:11]
	s_waitcnt vmcnt(5)
	v_fmac_f64_e32 v[82:83], v[40:41], v[74:75]
	v_fmac_f64_e32 v[28:29], v[42:43], v[74:75]
	v_fma_f64 v[78:79], -v[42:43], v[76:77], v[82:83]
	v_fmac_f64_e32 v[28:29], v[40:41], v[76:77]
	global_load_dwordx4 v[40:43], v[24:25], off
	v_subrev_u32_e32 v16, 17, v14
	v_lshl_add_u64 v[24:25], v[16:17], 4, s[8:9]
	v_add_u32_e32 v16, -10, v14
	s_waitcnt vmcnt(5)
	v_fmac_f64_e32 v[68:69], v[58:59], v[74:75]
	v_fmac_f64_e32 v[0:1], v[60:61], v[74:75]
	v_fma_f64 v[74:75], -v[60:61], v[76:77], v[68:69]
	v_fmac_f64_e32 v[0:1], v[58:59], v[76:77]
	global_load_dwordx4 v[58:61], v[24:25], off
	v_lshl_add_u64 v[24:25], v[16:17], 4, s[8:9]
	v_add_u32_e32 v16, -3, v14
	global_load_dwordx4 v[66:69], v[24:25], off
	v_lshl_add_u64 v[24:25], v[16:17], 4, s[8:9]
	s_waitcnt vmcnt(6)
	v_fmac_f64_e32 v[70:71], v[44:45], v[36:37]
	v_fmac_f64_e32 v[30:31], v[46:47], v[36:37]
	v_subrev_u32_e32 v16, 23, v14
	v_fma_f64 v[70:71], -v[46:47], v[38:39], v[70:71]
	v_fmac_f64_e32 v[30:31], v[44:45], v[38:39]
	global_load_dwordx4 v[44:47], v[24:25], off
	v_lshl_add_u64 v[24:25], v[16:17], 4, s[8:9]
	v_add_u32_e32 v16, 4, v18
	s_waitcnt vmcnt(6)
	v_fmac_f64_e32 v[72:73], v[62:63], v[36:37]
	v_fmac_f64_e32 v[32:33], v[64:65], v[36:37]
	v_fma_f64 v[72:73], -v[64:65], v[38:39], v[72:73]
	v_fmac_f64_e32 v[32:33], v[62:63], v[38:39]
	global_load_dwordx4 v[62:65], v[24:25], off
	v_lshl_add_u64 v[24:25], v[16:17], 4, s[10:11]
	v_add_u32_e32 v16, -16, v14
	s_waitcnt vmcnt(6)
	v_fmac_f64_e32 v[78:79], v[48:49], v[36:37]
	v_fmac_f64_e32 v[28:29], v[50:51], v[36:37]
	v_fma_f64 v[76:77], -v[50:51], v[38:39], v[78:79]
	v_fmac_f64_e32 v[28:29], v[48:49], v[38:39]
	global_load_dwordx4 v[48:51], v[24:25], off
	v_lshl_add_u64 v[24:25], v[16:17], 4, s[8:9]
	v_add_u32_e32 v16, -9, v14
	;; [unrolled: 8-line block ×3, first 2 shown]
	global_load_dwordx4 v[54:57], v[24:25], off
	v_lshl_add_u64 v[24:25], v[16:17], 4, s[8:9]
	s_waitcnt vmcnt(7)
	v_fmac_f64_e32 v[70:71], v[20:21], v[40:41]
	v_fmac_f64_e32 v[30:31], v[22:23], v[40:41]
	v_fma_f64 v[70:71], -v[22:23], v[42:43], v[70:71]
	v_fmac_f64_e32 v[30:31], v[20:21], v[42:43]
	global_load_dwordx4 v[20:23], v[24:25], off
	v_subrev_u32_e32 v16, 22, v14
	v_lshl_add_u64 v[24:25], v[16:17], 4, s[8:9]
	v_add_u32_e32 v16, 5, v18
	s_waitcnt vmcnt(7)
	v_fmac_f64_e32 v[72:73], v[58:59], v[40:41]
	v_fmac_f64_e32 v[32:33], v[60:61], v[40:41]
	v_fma_f64 v[78:79], -v[60:61], v[42:43], v[72:73]
	v_fmac_f64_e32 v[32:33], v[58:59], v[42:43]
	global_load_dwordx4 v[58:61], v[24:25], off
	v_lshl_add_u64 v[24:25], v[16:17], 4, s[10:11]
	v_add_u32_e32 v16, -15, v14
	s_waitcnt vmcnt(7)
	v_fmac_f64_e32 v[76:77], v[66:67], v[40:41]
	v_fmac_f64_e32 v[28:29], v[68:69], v[40:41]
	v_fma_f64 v[80:81], -v[68:69], v[42:43], v[76:77]
	v_fmac_f64_e32 v[28:29], v[66:67], v[42:43]
	global_load_dwordx4 v[66:69], v[24:25], off
	v_lshl_add_u64 v[24:25], v[16:17], 4, s[8:9]
	v_add_u32_e32 v16, -8, v14
	;; [unrolled: 8-line block ×3, first 2 shown]
	v_lshl_add_u64 v[74:75], v[16:17], 4, s[8:9]
	v_subrev_u32_e32 v16, 21, v14
	v_lshl_add_u64 v[76:77], v[16:17], 4, s[8:9]
	v_add_u32_e32 v16, 6, v18
	s_waitcnt vmcnt(6)
	v_fmac_f64_e32 v[70:71], v[62:63], v[48:49]
	v_fmac_f64_e32 v[30:31], v[64:65], v[48:49]
	v_lshl_add_u64 v[18:19], v[16:17], 4, s[10:11]
	v_add_u32_e32 v16, -14, v14
	global_load_dwordx4 v[44:47], v[24:25], off
	v_fma_f64 v[24:25], -v[64:65], v[50:51], v[70:71]
	v_fmac_f64_e32 v[30:31], v[62:63], v[50:51]
	global_load_dwordx4 v[62:65], v[74:75], off
	global_load_dwordx4 v[70:73], v[76:77], off
	s_waitcnt vmcnt(8)
	v_fmac_f64_e32 v[32:33], v[38:39], v[48:49]
	global_load_dwordx4 v[74:77], v[18:19], off
	v_lshl_add_u64 v[18:19], v[16:17], 4, s[8:9]
	s_waitcnt vmcnt(8)
	v_fmac_f64_e32 v[80:81], v[54:55], v[48:49]
	v_fmac_f64_e32 v[28:29], v[56:57], v[48:49]
	v_add_u32_e32 v16, -7, v14
	v_fmac_f64_e32 v[78:79], v[36:37], v[48:49]
	v_fmac_f64_e32 v[32:33], v[36:37], v[50:51]
	v_fma_f64 v[36:37], -v[56:57], v[50:51], v[80:81]
	v_fmac_f64_e32 v[28:29], v[54:55], v[50:51]
	global_load_dwordx4 v[54:57], v[18:19], off
	s_waitcnt vmcnt(8)
	v_fmac_f64_e32 v[0:1], v[22:23], v[48:49]
	v_lshl_add_u64 v[18:19], v[16:17], 4, s[8:9]
	v_fmac_f64_e32 v[82:83], v[20:21], v[48:49]
	v_fmac_f64_e32 v[0:1], v[20:21], v[50:51]
	global_load_dwordx4 v[18:21], v[18:19], off
	v_fma_f64 v[38:39], -v[38:39], v[50:51], v[78:79]
	v_fma_f64 v[22:23], -v[22:23], v[50:51], v[82:83]
	v_add_u32_e32 v14, 0xe0, v14
	s_waitcnt vmcnt(7)
	v_fmac_f64_e32 v[24:25], v[58:59], v[66:67]
	v_fmac_f64_e32 v[30:31], v[60:61], v[66:67]
	v_fma_f64 v[24:25], -v[60:61], v[68:69], v[24:25]
	v_fmac_f64_e32 v[30:31], v[58:59], v[68:69]
	s_waitcnt vmcnt(6)
	v_fmac_f64_e32 v[38:39], v[40:41], v[66:67]
	v_fmac_f64_e32 v[32:33], v[42:43], v[66:67]
	v_fma_f64 v[38:39], -v[42:43], v[68:69], v[38:39]
	v_fmac_f64_e32 v[32:33], v[40:41], v[68:69]
	s_waitcnt vmcnt(5)
	v_fmac_f64_e32 v[36:37], v[44:45], v[66:67]
	v_fmac_f64_e32 v[28:29], v[46:47], v[66:67]
	s_waitcnt vmcnt(4)
	v_fmac_f64_e32 v[22:23], v[62:63], v[66:67]
	v_fmac_f64_e32 v[0:1], v[64:65], v[66:67]
	v_fma_f64 v[46:47], -v[46:47], v[68:69], v[36:37]
	v_fmac_f64_e32 v[28:29], v[44:45], v[68:69]
	v_fma_f64 v[22:23], -v[64:65], v[68:69], v[22:23]
	v_fmac_f64_e32 v[0:1], v[62:63], v[68:69]
	s_waitcnt vmcnt(2)
	v_fmac_f64_e32 v[24:25], v[70:71], v[74:75]
	v_fmac_f64_e32 v[30:31], v[72:73], v[74:75]
	;; [unrolled: 1-line block ×4, first 2 shown]
	v_fma_f64 v[42:43], -v[72:73], v[76:77], v[24:25]
	v_fmac_f64_e32 v[30:31], v[70:71], v[76:77]
	v_fma_f64 v[36:37], -v[12:13], v[76:77], v[22:23]
	v_fmac_f64_e32 v[0:1], v[10:11], v[76:77]
	s_waitcnt vmcnt(1)
	v_fmac_f64_e32 v[38:39], v[54:55], v[74:75]
	v_fmac_f64_e32 v[32:33], v[56:57], v[74:75]
	v_fma_f64 v[40:41], -v[56:57], v[76:77], v[38:39]
	v_fmac_f64_e32 v[32:33], v[54:55], v[76:77]
	s_waitcnt vmcnt(0)
	v_fmac_f64_e32 v[46:47], v[18:19], v[74:75]
	v_fmac_f64_e32 v[28:29], v[20:21], v[74:75]
	v_fma_f64 v[38:39], -v[20:21], v[76:77], v[46:47]
	v_fmac_f64_e32 v[28:29], v[18:19], v[76:77]
	s_andn2_b64 exec, exec, s[2:3]
	s_cbranch_execnz .LBB137_13
; %bb.14:
	s_or_b64 exec, exec, s[2:3]
.LBB137_15:
	s_or_b64 exec, exec, s[4:5]
.LBB137_16:
	v_mov_b32_dpp v14, v30 row_shr:1 row_mask:0xf bank_mask:0xf
	v_mov_b32_dpp v15, v31 row_shr:1 row_mask:0xf bank_mask:0xf
	v_add_f64 v[14:15], v[30:31], v[14:15]
	v_mov_b32_dpp v10, v42 row_shr:1 row_mask:0xf bank_mask:0xf
	v_mov_b32_dpp v11, v43 row_shr:1 row_mask:0xf bank_mask:0xf
	;; [unrolled: 1-line block ×4, first 2 shown]
	v_add_f64 v[14:15], v[14:15], v[16:17]
	v_mov_b32_dpp v16, v40 row_shr:1 row_mask:0xf bank_mask:0xf
	v_mov_b32_dpp v17, v41 row_shr:1 row_mask:0xf bank_mask:0xf
	v_add_f64 v[16:17], v[40:41], v[16:17]
	v_add_f64 v[10:11], v[42:43], v[10:11]
	v_mov_b32_dpp v18, v14 row_shr:4 row_mask:0xf bank_mask:0xe
	v_mov_b32_dpp v20, v16 row_shr:2 row_mask:0xf bank_mask:0xf
	;; [unrolled: 1-line block ×3, first 2 shown]
	v_add_f64 v[20:21], v[16:17], v[20:21]
	v_mov_b32_dpp v16, v32 row_shr:1 row_mask:0xf bank_mask:0xf
	v_mov_b32_dpp v17, v33 row_shr:1 row_mask:0xf bank_mask:0xf
	v_add_f64 v[16:17], v[32:33], v[16:17]
	v_mov_b32_dpp v12, v10 row_shr:2 row_mask:0xf bank_mask:0xf
	v_mov_b32_dpp v13, v11 row_shr:2 row_mask:0xf bank_mask:0xf
	;; [unrolled: 1-line block ×4, first 2 shown]
	v_add_f64 v[30:31], v[16:17], v[22:23]
	v_mov_b32_dpp v16, v38 row_shr:1 row_mask:0xf bank_mask:0xf
	v_mov_b32_dpp v17, v39 row_shr:1 row_mask:0xf bank_mask:0xf
	v_add_f64 v[16:17], v[38:39], v[16:17]
	v_add_f64 v[10:11], v[10:11], v[12:13]
	v_mov_b32_dpp v19, v15 row_shr:4 row_mask:0xf bank_mask:0xe
	v_mov_b32_dpp v22, v16 row_shr:2 row_mask:0xf bank_mask:0xf
	v_mov_b32_dpp v23, v17 row_shr:2 row_mask:0xf bank_mask:0xf
	v_add_f64 v[34:35], v[16:17], v[22:23]
	v_mov_b32_dpp v16, v28 row_shr:1 row_mask:0xf bank_mask:0xf
	v_mov_b32_dpp v17, v29 row_shr:1 row_mask:0xf bank_mask:0xf
	v_add_f64 v[16:17], v[28:29], v[16:17]
	v_mov_b32_dpp v12, v10 row_shr:4 row_mask:0xf bank_mask:0xe
	v_mov_b32_dpp v13, v11 row_shr:4 row_mask:0xf bank_mask:0xe
	v_mov_b32_dpp v22, v16 row_shr:2 row_mask:0xf bank_mask:0xf
	v_mov_b32_dpp v23, v17 row_shr:2 row_mask:0xf bank_mask:0xf
	v_add_f64 v[28:29], v[16:17], v[22:23]
	v_mov_b32_dpp v16, v36 row_shr:1 row_mask:0xf bank_mask:0xf
	v_mov_b32_dpp v17, v37 row_shr:1 row_mask:0xf bank_mask:0xf
	v_add_f64 v[16:17], v[36:37], v[16:17]
	v_mov_b32_dpp v24, v20 row_shr:4 row_mask:0xf bank_mask:0xe
	;; [unrolled: 8-line block ×3, first 2 shown]
	v_mov_b32_dpp v33, v31 row_shr:4 row_mask:0xf bank_mask:0xe
	v_mov_b32_dpp v16, v0 row_shr:2 row_mask:0xf bank_mask:0xf
	;; [unrolled: 1-line block ×3, first 2 shown]
	v_add_f64 v[44:45], v[0:1], v[16:17]
	v_mov_b32_dpp v38, v34 row_shr:4 row_mask:0xf bank_mask:0xe
	v_mov_b32_dpp v39, v35 row_shr:4 row_mask:0xf bank_mask:0xe
	;; [unrolled: 1-line block ×8, first 2 shown]
	v_cmp_eq_u32_e32 vcc, 7, v27
	s_and_b64 exec, exec, vcc
	s_cbranch_execz .LBB137_21
; %bb.17:
	s_load_dwordx2 s[2:3], s[0:1], 0x48
	v_cmp_eq_f64_e32 vcc, 0, v[6:7]
	v_cmp_eq_f64_e64 s[0:1], 0, v[8:9]
	v_add_f64 v[16:17], v[10:11], v[12:13]
	v_add_f64 v[22:23], v[14:15], v[18:19]
	v_add_f64 v[12:13], v[20:21], v[24:25]
	v_add_f64 v[20:21], v[30:31], v[32:33]
	v_add_f64 v[10:11], v[34:35], v[38:39]
	v_add_f64 v[18:19], v[28:29], v[40:41]
	v_add_f64 v[0:1], v[36:37], v[42:43]
	v_add_f64 v[14:15], v[44:45], v[46:47]
	s_and_b64 s[0:1], vcc, s[0:1]
	s_and_saveexec_b64 s[4:5], s[0:1]
	s_xor_b64 s[0:1], exec, s[4:5]
	s_cbranch_execz .LBB137_19
; %bb.18:
	v_mul_f64 v[6:7], v[22:23], -v[4:5]
	v_mul_f64 v[8:9], v[2:3], v[22:23]
	v_fmac_f64_e32 v[6:7], v[2:3], v[16:17]
	v_fmac_f64_e32 v[8:9], v[4:5], v[16:17]
	v_lshlrev_b32_e32 v16, 2, v26
	v_ashrrev_i32_e32 v17, 31, v16
	s_waitcnt lgkmcnt(0)
	v_lshl_add_u64 v[16:17], v[16:17], 4, s[2:3]
	global_store_dwordx4 v[16:17], v[6:9], off
                                        ; implicit-def: $vgpr26
                                        ; implicit-def: $vgpr22_vgpr23
	s_nop 1
	v_mul_f64 v[6:7], v[20:21], -v[4:5]
	v_mul_f64 v[8:9], v[2:3], v[20:21]
	v_fmac_f64_e32 v[6:7], v[2:3], v[12:13]
	v_fmac_f64_e32 v[8:9], v[4:5], v[12:13]
	global_store_dwordx4 v[16:17], v[6:9], off offset:16
                                        ; implicit-def: $vgpr12_vgpr13
                                        ; implicit-def: $vgpr20_vgpr21
	s_nop 1
	v_mul_f64 v[6:7], v[18:19], -v[4:5]
	v_mul_f64 v[8:9], v[2:3], v[18:19]
	v_fmac_f64_e32 v[6:7], v[2:3], v[10:11]
	v_fmac_f64_e32 v[8:9], v[4:5], v[10:11]
	global_store_dwordx4 v[16:17], v[6:9], off offset:32
                                        ; implicit-def: $vgpr10_vgpr11
                                        ; implicit-def: $vgpr18_vgpr19
	s_nop 1
	v_mul_f64 v[6:7], v[14:15], -v[4:5]
	v_mul_f64 v[8:9], v[2:3], v[14:15]
	v_fmac_f64_e32 v[6:7], v[2:3], v[0:1]
	v_fmac_f64_e32 v[8:9], v[4:5], v[0:1]
	global_store_dwordx4 v[16:17], v[6:9], off offset:48
                                        ; implicit-def: $vgpr16_vgpr17
                                        ; implicit-def: $vgpr0_vgpr1
                                        ; implicit-def: $vgpr14_vgpr15
                                        ; implicit-def: $vgpr8_vgpr9
                                        ; implicit-def: $vgpr4_vgpr5
.LBB137_19:
	s_andn2_saveexec_b64 s[0:1], s[0:1]
	s_cbranch_execz .LBB137_21
; %bb.20:
	v_lshlrev_b32_e32 v24, 2, v26
	v_ashrrev_i32_e32 v25, 31, v24
	s_waitcnt lgkmcnt(0)
	v_lshl_add_u64 v[44:45], v[24:25], 4, s[2:3]
	global_load_dwordx4 v[24:27], v[44:45], off
	global_load_dwordx4 v[28:31], v[44:45], off offset:16
	global_load_dwordx4 v[32:35], v[44:45], off offset:32
	global_load_dwordx4 v[36:39], v[44:45], off offset:48
	v_mul_f64 v[40:41], v[22:23], -v[4:5]
	v_mul_f64 v[22:23], v[2:3], v[22:23]
	v_mul_f64 v[46:47], v[20:21], -v[4:5]
	v_mul_f64 v[42:43], v[2:3], v[20:21]
	;; [unrolled: 2-line block ×4, first 2 shown]
	v_fmac_f64_e32 v[40:41], v[2:3], v[16:17]
	v_fmac_f64_e32 v[22:23], v[4:5], v[16:17]
	;; [unrolled: 1-line block ×8, first 2 shown]
	s_waitcnt vmcnt(3)
	v_fmac_f64_e32 v[40:41], v[6:7], v[24:25]
	v_fmac_f64_e32 v[22:23], v[8:9], v[24:25]
	s_waitcnt vmcnt(2)
	v_fmac_f64_e32 v[46:47], v[6:7], v[28:29]
	v_fmac_f64_e32 v[42:43], v[8:9], v[28:29]
	;; [unrolled: 3-line block ×4, first 2 shown]
	v_fma_f64 v[20:21], -v[8:9], v[26:27], v[40:41]
	v_fmac_f64_e32 v[22:23], v[6:7], v[26:27]
	v_fma_f64 v[40:41], -v[8:9], v[30:31], v[46:47]
	v_fmac_f64_e32 v[42:43], v[6:7], v[30:31]
	;; [unrolled: 2-line block ×4, first 2 shown]
	global_store_dwordx4 v[44:45], v[20:23], off
	global_store_dwordx4 v[44:45], v[40:43], off offset:16
	global_store_dwordx4 v[44:45], v[16:19], off offset:32
	;; [unrolled: 1-line block ×3, first 2 shown]
.LBB137_21:
	s_endpgm
	.section	.rodata,"a",@progbits
	.p2align	6, 0x0
	.amdhsa_kernel _ZN9rocsparseL19gebsrmvn_4xn_kernelILj128ELj7ELj8E21rocsparse_complex_numIdEEEvi20rocsparse_direction_NS_24const_host_device_scalarIT2_EEPKiS8_PKS5_SA_S6_PS5_21rocsparse_index_base_b
		.amdhsa_group_segment_fixed_size 0
		.amdhsa_private_segment_fixed_size 0
		.amdhsa_kernarg_size 88
		.amdhsa_user_sgpr_count 2
		.amdhsa_user_sgpr_dispatch_ptr 0
		.amdhsa_user_sgpr_queue_ptr 0
		.amdhsa_user_sgpr_kernarg_segment_ptr 1
		.amdhsa_user_sgpr_dispatch_id 0
		.amdhsa_user_sgpr_kernarg_preload_length 0
		.amdhsa_user_sgpr_kernarg_preload_offset 0
		.amdhsa_user_sgpr_private_segment_size 0
		.amdhsa_uses_dynamic_stack 0
		.amdhsa_enable_private_segment 0
		.amdhsa_system_sgpr_workgroup_id_x 1
		.amdhsa_system_sgpr_workgroup_id_y 0
		.amdhsa_system_sgpr_workgroup_id_z 0
		.amdhsa_system_sgpr_workgroup_info 0
		.amdhsa_system_vgpr_workitem_id 0
		.amdhsa_next_free_vgpr 92
		.amdhsa_next_free_sgpr 16
		.amdhsa_accum_offset 92
		.amdhsa_reserve_vcc 1
		.amdhsa_float_round_mode_32 0
		.amdhsa_float_round_mode_16_64 0
		.amdhsa_float_denorm_mode_32 3
		.amdhsa_float_denorm_mode_16_64 3
		.amdhsa_dx10_clamp 1
		.amdhsa_ieee_mode 1
		.amdhsa_fp16_overflow 0
		.amdhsa_tg_split 0
		.amdhsa_exception_fp_ieee_invalid_op 0
		.amdhsa_exception_fp_denorm_src 0
		.amdhsa_exception_fp_ieee_div_zero 0
		.amdhsa_exception_fp_ieee_overflow 0
		.amdhsa_exception_fp_ieee_underflow 0
		.amdhsa_exception_fp_ieee_inexact 0
		.amdhsa_exception_int_div_zero 0
	.end_amdhsa_kernel
	.section	.text._ZN9rocsparseL19gebsrmvn_4xn_kernelILj128ELj7ELj8E21rocsparse_complex_numIdEEEvi20rocsparse_direction_NS_24const_host_device_scalarIT2_EEPKiS8_PKS5_SA_S6_PS5_21rocsparse_index_base_b,"axG",@progbits,_ZN9rocsparseL19gebsrmvn_4xn_kernelILj128ELj7ELj8E21rocsparse_complex_numIdEEEvi20rocsparse_direction_NS_24const_host_device_scalarIT2_EEPKiS8_PKS5_SA_S6_PS5_21rocsparse_index_base_b,comdat
.Lfunc_end137:
	.size	_ZN9rocsparseL19gebsrmvn_4xn_kernelILj128ELj7ELj8E21rocsparse_complex_numIdEEEvi20rocsparse_direction_NS_24const_host_device_scalarIT2_EEPKiS8_PKS5_SA_S6_PS5_21rocsparse_index_base_b, .Lfunc_end137-_ZN9rocsparseL19gebsrmvn_4xn_kernelILj128ELj7ELj8E21rocsparse_complex_numIdEEEvi20rocsparse_direction_NS_24const_host_device_scalarIT2_EEPKiS8_PKS5_SA_S6_PS5_21rocsparse_index_base_b
                                        ; -- End function
	.set _ZN9rocsparseL19gebsrmvn_4xn_kernelILj128ELj7ELj8E21rocsparse_complex_numIdEEEvi20rocsparse_direction_NS_24const_host_device_scalarIT2_EEPKiS8_PKS5_SA_S6_PS5_21rocsparse_index_base_b.num_vgpr, 92
	.set _ZN9rocsparseL19gebsrmvn_4xn_kernelILj128ELj7ELj8E21rocsparse_complex_numIdEEEvi20rocsparse_direction_NS_24const_host_device_scalarIT2_EEPKiS8_PKS5_SA_S6_PS5_21rocsparse_index_base_b.num_agpr, 0
	.set _ZN9rocsparseL19gebsrmvn_4xn_kernelILj128ELj7ELj8E21rocsparse_complex_numIdEEEvi20rocsparse_direction_NS_24const_host_device_scalarIT2_EEPKiS8_PKS5_SA_S6_PS5_21rocsparse_index_base_b.numbered_sgpr, 16
	.set _ZN9rocsparseL19gebsrmvn_4xn_kernelILj128ELj7ELj8E21rocsparse_complex_numIdEEEvi20rocsparse_direction_NS_24const_host_device_scalarIT2_EEPKiS8_PKS5_SA_S6_PS5_21rocsparse_index_base_b.num_named_barrier, 0
	.set _ZN9rocsparseL19gebsrmvn_4xn_kernelILj128ELj7ELj8E21rocsparse_complex_numIdEEEvi20rocsparse_direction_NS_24const_host_device_scalarIT2_EEPKiS8_PKS5_SA_S6_PS5_21rocsparse_index_base_b.private_seg_size, 0
	.set _ZN9rocsparseL19gebsrmvn_4xn_kernelILj128ELj7ELj8E21rocsparse_complex_numIdEEEvi20rocsparse_direction_NS_24const_host_device_scalarIT2_EEPKiS8_PKS5_SA_S6_PS5_21rocsparse_index_base_b.uses_vcc, 1
	.set _ZN9rocsparseL19gebsrmvn_4xn_kernelILj128ELj7ELj8E21rocsparse_complex_numIdEEEvi20rocsparse_direction_NS_24const_host_device_scalarIT2_EEPKiS8_PKS5_SA_S6_PS5_21rocsparse_index_base_b.uses_flat_scratch, 0
	.set _ZN9rocsparseL19gebsrmvn_4xn_kernelILj128ELj7ELj8E21rocsparse_complex_numIdEEEvi20rocsparse_direction_NS_24const_host_device_scalarIT2_EEPKiS8_PKS5_SA_S6_PS5_21rocsparse_index_base_b.has_dyn_sized_stack, 0
	.set _ZN9rocsparseL19gebsrmvn_4xn_kernelILj128ELj7ELj8E21rocsparse_complex_numIdEEEvi20rocsparse_direction_NS_24const_host_device_scalarIT2_EEPKiS8_PKS5_SA_S6_PS5_21rocsparse_index_base_b.has_recursion, 0
	.set _ZN9rocsparseL19gebsrmvn_4xn_kernelILj128ELj7ELj8E21rocsparse_complex_numIdEEEvi20rocsparse_direction_NS_24const_host_device_scalarIT2_EEPKiS8_PKS5_SA_S6_PS5_21rocsparse_index_base_b.has_indirect_call, 0
	.section	.AMDGPU.csdata,"",@progbits
; Kernel info:
; codeLenInByte = 4032
; TotalNumSgprs: 22
; NumVgprs: 92
; NumAgprs: 0
; TotalNumVgprs: 92
; ScratchSize: 0
; MemoryBound: 0
; FloatMode: 240
; IeeeMode: 1
; LDSByteSize: 0 bytes/workgroup (compile time only)
; SGPRBlocks: 2
; VGPRBlocks: 11
; NumSGPRsForWavesPerEU: 22
; NumVGPRsForWavesPerEU: 92
; AccumOffset: 92
; Occupancy: 5
; WaveLimiterHint : 1
; COMPUTE_PGM_RSRC2:SCRATCH_EN: 0
; COMPUTE_PGM_RSRC2:USER_SGPR: 2
; COMPUTE_PGM_RSRC2:TRAP_HANDLER: 0
; COMPUTE_PGM_RSRC2:TGID_X_EN: 1
; COMPUTE_PGM_RSRC2:TGID_Y_EN: 0
; COMPUTE_PGM_RSRC2:TGID_Z_EN: 0
; COMPUTE_PGM_RSRC2:TIDIG_COMP_CNT: 0
; COMPUTE_PGM_RSRC3_GFX90A:ACCUM_OFFSET: 22
; COMPUTE_PGM_RSRC3_GFX90A:TG_SPLIT: 0
	.section	.text._ZN9rocsparseL19gebsrmvn_4xn_kernelILj128ELj7ELj16E21rocsparse_complex_numIdEEEvi20rocsparse_direction_NS_24const_host_device_scalarIT2_EEPKiS8_PKS5_SA_S6_PS5_21rocsparse_index_base_b,"axG",@progbits,_ZN9rocsparseL19gebsrmvn_4xn_kernelILj128ELj7ELj16E21rocsparse_complex_numIdEEEvi20rocsparse_direction_NS_24const_host_device_scalarIT2_EEPKiS8_PKS5_SA_S6_PS5_21rocsparse_index_base_b,comdat
	.globl	_ZN9rocsparseL19gebsrmvn_4xn_kernelILj128ELj7ELj16E21rocsparse_complex_numIdEEEvi20rocsparse_direction_NS_24const_host_device_scalarIT2_EEPKiS8_PKS5_SA_S6_PS5_21rocsparse_index_base_b ; -- Begin function _ZN9rocsparseL19gebsrmvn_4xn_kernelILj128ELj7ELj16E21rocsparse_complex_numIdEEEvi20rocsparse_direction_NS_24const_host_device_scalarIT2_EEPKiS8_PKS5_SA_S6_PS5_21rocsparse_index_base_b
	.p2align	8
	.type	_ZN9rocsparseL19gebsrmvn_4xn_kernelILj128ELj7ELj16E21rocsparse_complex_numIdEEEvi20rocsparse_direction_NS_24const_host_device_scalarIT2_EEPKiS8_PKS5_SA_S6_PS5_21rocsparse_index_base_b,@function
_ZN9rocsparseL19gebsrmvn_4xn_kernelILj128ELj7ELj16E21rocsparse_complex_numIdEEEvi20rocsparse_direction_NS_24const_host_device_scalarIT2_EEPKiS8_PKS5_SA_S6_PS5_21rocsparse_index_base_b: ; @_ZN9rocsparseL19gebsrmvn_4xn_kernelILj128ELj7ELj16E21rocsparse_complex_numIdEEEvi20rocsparse_direction_NS_24const_host_device_scalarIT2_EEPKiS8_PKS5_SA_S6_PS5_21rocsparse_index_base_b
; %bb.0:
	s_load_dwordx2 s[4:5], s[0:1], 0x8
	s_load_dwordx2 s[6:7], s[0:1], 0x38
	;; [unrolled: 1-line block ×3, first 2 shown]
	s_add_u32 s3, s0, 8
	s_addc_u32 s8, s1, 0
	s_add_u32 s9, s0, 56
	s_addc_u32 s10, s1, 0
	s_waitcnt lgkmcnt(0)
	s_bitcmp1_b32 s13, 0
	s_cselect_b32 s5, s8, s5
	s_cselect_b32 s3, s3, s4
	v_mov_b32_e32 v2, s3
	v_mov_b32_e32 v3, s5
	flat_load_dwordx4 v[2:5], v[2:3]
	s_cselect_b32 s3, s10, s7
	s_cselect_b32 s4, s9, s6
	v_mov_b32_e32 v6, s4
	v_mov_b32_e32 v7, s3
	flat_load_dwordx4 v[6:9], v[6:7]
	s_waitcnt vmcnt(0) lgkmcnt(0)
	v_cmp_eq_f64_e32 vcc, 0, v[2:3]
	v_cmp_eq_f64_e64 s[4:5], 0, v[4:5]
	s_and_b64 s[8:9], vcc, s[4:5]
	s_mov_b64 s[4:5], -1
	s_and_saveexec_b64 s[6:7], s[8:9]
; %bb.1:
	v_cmp_neq_f64_e32 vcc, 1.0, v[6:7]
	v_cmp_neq_f64_e64 s[4:5], 0, v[8:9]
	s_or_b64 s[4:5], vcc, s[4:5]
	s_orn2_b64 s[4:5], s[4:5], exec
; %bb.2:
	s_or_b64 exec, exec, s[6:7]
	s_and_saveexec_b64 s[6:7], s[4:5]
	s_cbranch_execz .LBB138_21
; %bb.3:
	s_load_dwordx2 s[14:15], s[0:1], 0x0
	v_lshrrev_b32_e32 v1, 4, v0
	v_lshl_or_b32 v26, s2, 3, v1
	s_waitcnt lgkmcnt(0)
	v_cmp_gt_i32_e32 vcc, s14, v26
	s_and_b64 exec, exec, vcc
	s_cbranch_execz .LBB138_21
; %bb.4:
	s_load_dwordx8 s[4:11], s[0:1], 0x18
	v_ashrrev_i32_e32 v27, 31, v26
	s_cmp_lg_u32 s15, 0
	s_waitcnt lgkmcnt(0)
	v_lshl_add_u64 v[10:11], v[26:27], 2, s[4:5]
	global_load_dwordx2 v[10:11], v[10:11], off
	v_and_b32_e32 v27, 15, v0
	s_waitcnt vmcnt(0)
	v_subrev_u32_e32 v0, s12, v10
	v_subrev_u32_e32 v52, s12, v11
	v_add_u32_e32 v34, v0, v27
	v_cmp_lt_i32_e64 s[2:3], v34, v52
	s_cbranch_scc0 .LBB138_10
; %bb.5:
	v_mov_b64_e32 v[30:31], 0
	v_mov_b64_e32 v[42:43], 0
	;; [unrolled: 1-line block ×8, first 2 shown]
	s_and_saveexec_b64 s[4:5], s[2:3]
	s_cbranch_execz .LBB138_9
; %bb.6:
	v_mad_u64_u32 v[44:45], s[14:15], v34, 28, 24
	v_mov_b64_e32 v[30:31], 0
	s_mov_b64 s[14:15], 0
	v_mov_b32_e32 v47, 0
	v_mov_b32_e32 v48, v34
	v_mov_b64_e32 v[42:43], 0
	v_mov_b64_e32 v[36:37], 0
	;; [unrolled: 1-line block ×7, first 2 shown]
.LBB138_7:                              ; =>This Inner Loop Header: Depth=1
	v_ashrrev_i32_e32 v49, 31, v48
	v_subrev_u32_e32 v46, 24, v44
	v_lshl_add_u64 v[10:11], v[48:49], 2, s[6:7]
	v_lshl_add_u64 v[12:13], v[46:47], 4, s[8:9]
	global_load_dword v35, v[10:11], off
	global_load_dwordx4 v[54:57], v[12:13], off offset:48
	global_load_dwordx4 v[58:61], v[12:13], off offset:32
	;; [unrolled: 1-line block ×3, first 2 shown]
	global_load_dwordx4 v[66:69], v[12:13], off
	v_mov_b32_e32 v45, v47
	v_mov_b32_e32 v51, v47
	v_subrev_u32_e32 v46, 20, v44
	v_lshl_add_u64 v[82:83], v[44:45], 4, s[8:9]
	v_lshl_add_u64 v[86:87], v[46:47], 4, s[8:9]
	global_load_dwordx4 v[10:13], v[82:83], off offset:48
	global_load_dwordx4 v[14:17], v[82:83], off offset:32
	;; [unrolled: 1-line block ×3, first 2 shown]
	global_load_dwordx4 v[22:25], v[82:83], off
	global_load_dwordx4 v[70:73], v[86:87], off offset:48
	global_load_dwordx4 v[74:77], v[86:87], off offset:32
	;; [unrolled: 1-line block ×3, first 2 shown]
	v_add_u32_e32 v48, 16, v48
	v_cmp_ge_i32_e32 vcc, v48, v52
	s_or_b64 s[14:15], vcc, s[14:15]
	s_waitcnt vmcnt(11)
	v_subrev_u32_e32 v35, s12, v35
	v_mul_lo_u32 v50, v35, 7
	v_lshl_add_u64 v[82:83], v[50:51], 4, s[10:11]
	global_load_dwordx4 v[82:85], v[82:83], off
	v_add_u32_e32 v46, 1, v50
	s_waitcnt vmcnt(0)
	v_fmac_f64_e32 v[42:43], v[66:67], v[82:83]
	v_fma_f64 v[88:89], -v[68:69], v[84:85], v[42:43]
	v_lshl_add_u64 v[42:43], v[46:47], 4, s[10:11]
	v_add_u32_e32 v46, -16, v44
	v_fmac_f64_e32 v[32:33], v[64:65], v[82:83]
	v_fmac_f64_e32 v[30:31], v[68:69], v[82:83]
	;; [unrolled: 1-line block ×4, first 2 shown]
	v_lshl_add_u64 v[62:63], v[46:47], 4, s[8:9]
	v_fmac_f64_e32 v[38:39], v[58:59], v[82:83]
	v_fmac_f64_e32 v[28:29], v[60:61], v[82:83]
	;; [unrolled: 1-line block ×3, first 2 shown]
	global_load_dwordx4 v[66:69], v[86:87], off
	v_fma_f64 v[90:91], -v[60:61], v[84:85], v[38:39]
	v_fmac_f64_e32 v[28:29], v[58:59], v[84:85]
	global_load_dwordx4 v[58:61], v[62:63], off offset:48
	v_fma_f64 v[86:87], -v[64:65], v[84:85], v[40:41]
	global_load_dwordx4 v[40:43], v[42:43], off
	v_add_u32_e32 v46, 2, v50
	v_fmac_f64_e32 v[36:37], v[54:55], v[82:83]
	v_fmac_f64_e32 v[0:1], v[56:57], v[82:83]
	v_fma_f64 v[82:83], -v[56:57], v[84:85], v[36:37]
	v_fmac_f64_e32 v[0:1], v[54:55], v[84:85]
	global_load_dwordx4 v[36:39], v[62:63], off offset:32
	global_load_dwordx4 v[54:57], v[62:63], off offset:16
	s_waitcnt vmcnt(2)
	v_fmac_f64_e32 v[30:31], v[68:69], v[40:41]
	v_fmac_f64_e32 v[88:89], v[66:67], v[40:41]
	;; [unrolled: 1-line block ×3, first 2 shown]
	v_lshl_add_u64 v[66:67], v[46:47], 4, s[10:11]
	v_fma_f64 v[84:85], -v[68:69], v[42:43], v[88:89]
	global_load_dwordx4 v[62:65], v[62:63], off
	v_add_u32_e32 v46, -12, v44
	global_load_dwordx4 v[66:69], v[66:67], off
	v_fmac_f64_e32 v[86:87], v[78:79], v[40:41]
	v_fmac_f64_e32 v[32:33], v[80:81], v[40:41]
	v_fma_f64 v[80:81], -v[80:81], v[42:43], v[86:87]
	v_fmac_f64_e32 v[32:33], v[78:79], v[42:43]
	v_lshl_add_u64 v[78:79], v[46:47], 4, s[8:9]
	v_add_u32_e32 v46, 3, v50
	v_fmac_f64_e32 v[90:91], v[74:75], v[40:41]
	v_fmac_f64_e32 v[28:29], v[76:77], v[40:41]
	;; [unrolled: 1-line block ×4, first 2 shown]
	v_fma_f64 v[86:87], -v[76:77], v[42:43], v[90:91]
	v_fmac_f64_e32 v[28:29], v[74:75], v[42:43]
	global_load_dwordx4 v[74:77], v[78:79], off offset:48
	v_fma_f64 v[82:83], -v[72:73], v[42:43], v[82:83]
	v_fmac_f64_e32 v[0:1], v[70:71], v[42:43]
	global_load_dwordx4 v[40:43], v[78:79], off offset:32
	global_load_dwordx4 v[70:73], v[78:79], off offset:16
	s_waitcnt vmcnt(3)
	v_fmac_f64_e32 v[84:85], v[62:63], v[66:67]
	v_fmac_f64_e32 v[30:31], v[64:65], v[66:67]
	v_fma_f64 v[84:85], -v[64:65], v[68:69], v[84:85]
	v_fmac_f64_e32 v[30:31], v[62:63], v[68:69]
	global_load_dwordx4 v[62:65], v[78:79], off
	v_lshl_add_u64 v[78:79], v[46:47], 4, s[10:11]
	v_fmac_f64_e32 v[80:81], v[54:55], v[66:67]
	v_fmac_f64_e32 v[32:33], v[56:57], v[66:67]
	v_fma_f64 v[80:81], -v[56:57], v[68:69], v[80:81]
	v_fmac_f64_e32 v[32:33], v[54:55], v[68:69]
	global_load_dwordx4 v[54:57], v[78:79], off
	v_add_u32_e32 v46, -8, v44
	v_lshl_add_u64 v[78:79], v[46:47], 4, s[8:9]
	v_add_u32_e32 v46, 4, v50
	v_fmac_f64_e32 v[86:87], v[36:37], v[66:67]
	v_fmac_f64_e32 v[28:29], v[38:39], v[66:67]
	;; [unrolled: 1-line block ×4, first 2 shown]
	v_fma_f64 v[86:87], -v[38:39], v[68:69], v[86:87]
	v_fmac_f64_e32 v[28:29], v[36:37], v[68:69]
	global_load_dwordx4 v[36:39], v[78:79], off offset:48
	v_fma_f64 v[82:83], -v[60:61], v[68:69], v[82:83]
	v_fmac_f64_e32 v[0:1], v[58:59], v[68:69]
	global_load_dwordx4 v[58:61], v[78:79], off offset:32
	global_load_dwordx4 v[66:69], v[78:79], off offset:16
	s_waitcnt vmcnt(3)
	v_fmac_f64_e32 v[84:85], v[62:63], v[54:55]
	v_fmac_f64_e32 v[30:31], v[64:65], v[54:55]
	v_fma_f64 v[84:85], -v[64:65], v[56:57], v[84:85]
	v_fmac_f64_e32 v[30:31], v[62:63], v[56:57]
	global_load_dwordx4 v[62:65], v[78:79], off
	v_lshl_add_u64 v[78:79], v[46:47], 4, s[10:11]
	v_fmac_f64_e32 v[80:81], v[70:71], v[54:55]
	v_fmac_f64_e32 v[32:33], v[72:73], v[54:55]
	v_fma_f64 v[88:89], -v[72:73], v[56:57], v[80:81]
	v_fmac_f64_e32 v[32:33], v[70:71], v[56:57]
	global_load_dwordx4 v[70:73], v[78:79], off
	v_add_u32_e32 v46, -4, v44
	v_lshl_add_u64 v[78:79], v[46:47], 4, s[8:9]
	v_add_u32_e32 v46, 5, v50
	v_fmac_f64_e32 v[86:87], v[40:41], v[54:55]
	v_fmac_f64_e32 v[28:29], v[42:43], v[54:55]
	;; [unrolled: 1-line block ×4, first 2 shown]
	v_fma_f64 v[86:87], -v[42:43], v[56:57], v[86:87]
	v_fmac_f64_e32 v[28:29], v[40:41], v[56:57]
	global_load_dwordx4 v[40:43], v[78:79], off offset:48
	v_fma_f64 v[82:83], -v[76:77], v[56:57], v[82:83]
	v_fmac_f64_e32 v[0:1], v[74:75], v[56:57]
	global_load_dwordx4 v[54:57], v[78:79], off offset:32
	global_load_dwordx4 v[74:77], v[78:79], off offset:16
	v_add_u32_e32 v44, 0x1c0, v44
	s_waitcnt vmcnt(3)
	v_fmac_f64_e32 v[84:85], v[62:63], v[70:71]
	v_fmac_f64_e32 v[30:31], v[64:65], v[70:71]
	v_fma_f64 v[84:85], -v[64:65], v[72:73], v[84:85]
	v_fmac_f64_e32 v[30:31], v[62:63], v[72:73]
	global_load_dwordx4 v[62:65], v[78:79], off
	v_lshl_add_u64 v[78:79], v[46:47], 4, s[10:11]
	v_add_u32_e32 v46, 6, v50
	global_load_dwordx4 v[78:81], v[78:79], off
	v_fmac_f64_e32 v[32:33], v[68:69], v[70:71]
	v_fmac_f64_e32 v[88:89], v[66:67], v[70:71]
	;; [unrolled: 1-line block ×3, first 2 shown]
	v_lshl_add_u64 v[66:67], v[46:47], 4, s[10:11]
	v_fma_f64 v[50:51], -v[68:69], v[72:73], v[88:89]
	global_load_dwordx4 v[66:69], v[66:67], off
	v_fmac_f64_e32 v[86:87], v[58:59], v[70:71]
	v_fmac_f64_e32 v[28:29], v[60:61], v[70:71]
	;; [unrolled: 1-line block ×4, first 2 shown]
	v_fma_f64 v[60:61], -v[60:61], v[72:73], v[86:87]
	v_fmac_f64_e32 v[28:29], v[58:59], v[72:73]
	v_fma_f64 v[38:39], -v[38:39], v[72:73], v[82:83]
	v_fmac_f64_e32 v[0:1], v[36:37], v[72:73]
	s_waitcnt vmcnt(1)
	v_fmac_f64_e32 v[84:85], v[62:63], v[78:79]
	v_fmac_f64_e32 v[30:31], v[64:65], v[78:79]
	;; [unrolled: 1-line block ×8, first 2 shown]
	v_fma_f64 v[36:37], -v[64:65], v[80:81], v[84:85]
	v_fmac_f64_e32 v[30:31], v[62:63], v[80:81]
	v_fma_f64 v[50:51], -v[76:77], v[80:81], v[50:51]
	v_fmac_f64_e32 v[32:33], v[74:75], v[80:81]
	;; [unrolled: 2-line block ×4, first 2 shown]
	s_waitcnt vmcnt(0)
	v_fmac_f64_e32 v[36:37], v[22:23], v[66:67]
	v_fmac_f64_e32 v[30:31], v[24:25], v[66:67]
	;; [unrolled: 1-line block ×8, first 2 shown]
	v_fma_f64 v[42:43], -v[24:25], v[68:69], v[36:37]
	v_fmac_f64_e32 v[30:31], v[22:23], v[68:69]
	v_fma_f64 v[40:41], -v[20:21], v[68:69], v[50:51]
	v_fmac_f64_e32 v[32:33], v[18:19], v[68:69]
	;; [unrolled: 2-line block ×4, first 2 shown]
	s_andn2_b64 exec, exec, s[14:15]
	s_cbranch_execnz .LBB138_7
; %bb.8:
	s_or_b64 exec, exec, s[14:15]
.LBB138_9:
	s_or_b64 exec, exec, s[4:5]
	s_cbranch_execz .LBB138_11
	s_branch .LBB138_16
.LBB138_10:
                                        ; implicit-def: $vgpr30_vgpr31
                                        ; implicit-def: $vgpr42_vgpr43
                                        ; implicit-def: $vgpr36_vgpr37
                                        ; implicit-def: $vgpr0_vgpr1
                                        ; implicit-def: $vgpr38_vgpr39
                                        ; implicit-def: $vgpr28_vgpr29
                                        ; implicit-def: $vgpr40_vgpr41
                                        ; implicit-def: $vgpr32_vgpr33
.LBB138_11:
	v_mov_b64_e32 v[30:31], 0
	v_mov_b64_e32 v[42:43], 0
	;; [unrolled: 1-line block ×8, first 2 shown]
	s_and_saveexec_b64 s[4:5], s[2:3]
	s_cbranch_execz .LBB138_15
; %bb.12:
	v_mad_u64_u32 v[14:15], s[2:3], v34, 28, 27
	v_mov_b64_e32 v[30:31], 0
	s_mov_b64 s[2:3], 0
	v_mov_b32_e32 v17, 0
	v_mov_b64_e32 v[42:43], 0
	v_mov_b64_e32 v[36:37], 0
	;; [unrolled: 1-line block ×7, first 2 shown]
.LBB138_13:                             ; =>This Inner Loop Header: Depth=1
	v_ashrrev_i32_e32 v35, 31, v34
	v_subrev_u32_e32 v16, 27, v14
	v_subrev_u32_e32 v20, 20, v14
	v_add_u32_e32 v12, -13, v14
	v_add_u32_e32 v10, -6, v14
	v_mov_b32_e32 v21, v17
	v_mov_b32_e32 v13, v17
	;; [unrolled: 1-line block ×4, first 2 shown]
	v_lshl_add_u64 v[24:25], v[34:35], 2, s[6:7]
	v_lshl_add_u64 v[70:71], v[16:17], 4, s[8:9]
	;; [unrolled: 1-line block ×6, first 2 shown]
	global_load_dword v15, v[24:25], off
	global_load_dwordx4 v[20:23], v[70:71], off offset:48
	global_load_dwordx4 v[44:47], v[70:71], off offset:32
	;; [unrolled: 1-line block ×3, first 2 shown]
	global_load_dwordx4 v[54:57], v[70:71], off
	global_load_dwordx4 v[58:61], v[72:73], off
	;; [unrolled: 1-line block ×5, first 2 shown]
	v_mov_b32_e32 v19, v17
	v_add_u32_e32 v34, 16, v34
	v_cmp_ge_i32_e32 vcc, v34, v52
	s_or_b64 s[2:3], vcc, s[2:3]
	s_waitcnt vmcnt(8)
	v_subrev_u32_e32 v15, s12, v15
	v_mul_lo_u32 v18, v15, 7
	v_lshl_add_u64 v[24:25], v[18:19], 4, s[10:11]
	global_load_dwordx4 v[70:73], v[24:25], off
	v_add_u32_e32 v16, 1, v18
	v_lshl_add_u64 v[24:25], v[16:17], 4, s[10:11]
	v_subrev_u32_e32 v16, 19, v14
	global_load_dwordx4 v[74:77], v[24:25], off
	v_lshl_add_u64 v[24:25], v[16:17], 4, s[8:9]
	v_add_u32_e32 v16, -12, v14
	s_waitcnt vmcnt(1)
	v_fmac_f64_e32 v[42:43], v[54:55], v[70:71]
	v_fmac_f64_e32 v[30:31], v[56:57], v[70:71]
	v_fma_f64 v[78:79], -v[56:57], v[72:73], v[42:43]
	v_fmac_f64_e32 v[30:31], v[54:55], v[72:73]
	global_load_dwordx4 v[54:57], v[24:25], off
	v_lshl_add_u64 v[24:25], v[16:17], 4, s[8:9]
	v_fmac_f64_e32 v[40:41], v[58:59], v[70:71]
	v_fma_f64 v[80:81], -v[60:61], v[72:73], v[40:41]
	global_load_dwordx4 v[40:43], v[24:25], off
	v_add_u32_e32 v16, -5, v14
	v_fmac_f64_e32 v[32:33], v[60:61], v[70:71]
	v_lshl_add_u64 v[24:25], v[16:17], 4, s[8:9]
	v_fmac_f64_e32 v[32:33], v[58:59], v[72:73]
	v_add_u32_e32 v16, 2, v18
	global_load_dwordx4 v[58:61], v[24:25], off
	v_fmac_f64_e32 v[38:39], v[62:63], v[70:71]
	v_lshl_add_u64 v[24:25], v[16:17], 4, s[10:11]
	v_fmac_f64_e32 v[36:37], v[66:67], v[70:71]
	v_fma_f64 v[82:83], -v[64:65], v[72:73], v[38:39]
	v_subrev_u32_e32 v16, 18, v14
	v_fmac_f64_e32 v[0:1], v[68:69], v[70:71]
	v_fma_f64 v[68:69], -v[68:69], v[72:73], v[36:37]
	global_load_dwordx4 v[36:39], v[24:25], off
	v_fmac_f64_e32 v[28:29], v[64:65], v[70:71]
	v_lshl_add_u64 v[24:25], v[16:17], 4, s[8:9]
	v_add_u32_e32 v16, -11, v14
	v_fmac_f64_e32 v[28:29], v[62:63], v[72:73]
	global_load_dwordx4 v[62:65], v[24:25], off
	v_lshl_add_u64 v[24:25], v[16:17], 4, s[8:9]
	v_add_u32_e32 v16, -4, v14
	s_waitcnt vmcnt(5)
	v_fmac_f64_e32 v[78:79], v[48:49], v[74:75]
	v_fmac_f64_e32 v[30:31], v[50:51], v[74:75]
	v_fma_f64 v[70:71], -v[50:51], v[76:77], v[78:79]
	v_fmac_f64_e32 v[30:31], v[48:49], v[76:77]
	global_load_dwordx4 v[48:51], v[24:25], off
	v_lshl_add_u64 v[24:25], v[16:17], 4, s[8:9]
	v_fmac_f64_e32 v[0:1], v[66:67], v[72:73]
	v_add_u32_e32 v16, 3, v18
	s_waitcnt vmcnt(5)
	v_fmac_f64_e32 v[80:81], v[54:55], v[74:75]
	v_fmac_f64_e32 v[32:33], v[56:57], v[74:75]
	v_fma_f64 v[72:73], -v[56:57], v[76:77], v[80:81]
	v_fmac_f64_e32 v[32:33], v[54:55], v[76:77]
	global_load_dwordx4 v[54:57], v[24:25], off
	v_lshl_add_u64 v[24:25], v[16:17], 4, s[10:11]
	s_waitcnt vmcnt(5)
	v_fmac_f64_e32 v[82:83], v[40:41], v[74:75]
	v_fmac_f64_e32 v[28:29], v[42:43], v[74:75]
	v_fma_f64 v[78:79], -v[42:43], v[76:77], v[82:83]
	v_fmac_f64_e32 v[28:29], v[40:41], v[76:77]
	global_load_dwordx4 v[40:43], v[24:25], off
	v_subrev_u32_e32 v16, 17, v14
	v_lshl_add_u64 v[24:25], v[16:17], 4, s[8:9]
	v_add_u32_e32 v16, -10, v14
	s_waitcnt vmcnt(5)
	v_fmac_f64_e32 v[68:69], v[58:59], v[74:75]
	v_fmac_f64_e32 v[0:1], v[60:61], v[74:75]
	v_fma_f64 v[74:75], -v[60:61], v[76:77], v[68:69]
	v_fmac_f64_e32 v[0:1], v[58:59], v[76:77]
	global_load_dwordx4 v[58:61], v[24:25], off
	v_lshl_add_u64 v[24:25], v[16:17], 4, s[8:9]
	v_add_u32_e32 v16, -3, v14
	global_load_dwordx4 v[66:69], v[24:25], off
	v_lshl_add_u64 v[24:25], v[16:17], 4, s[8:9]
	s_waitcnt vmcnt(6)
	v_fmac_f64_e32 v[70:71], v[44:45], v[36:37]
	v_fmac_f64_e32 v[30:31], v[46:47], v[36:37]
	v_subrev_u32_e32 v16, 23, v14
	v_fma_f64 v[70:71], -v[46:47], v[38:39], v[70:71]
	v_fmac_f64_e32 v[30:31], v[44:45], v[38:39]
	global_load_dwordx4 v[44:47], v[24:25], off
	v_lshl_add_u64 v[24:25], v[16:17], 4, s[8:9]
	v_add_u32_e32 v16, 4, v18
	s_waitcnt vmcnt(6)
	v_fmac_f64_e32 v[72:73], v[62:63], v[36:37]
	v_fmac_f64_e32 v[32:33], v[64:65], v[36:37]
	v_fma_f64 v[72:73], -v[64:65], v[38:39], v[72:73]
	v_fmac_f64_e32 v[32:33], v[62:63], v[38:39]
	global_load_dwordx4 v[62:65], v[24:25], off
	v_lshl_add_u64 v[24:25], v[16:17], 4, s[10:11]
	v_add_u32_e32 v16, -16, v14
	s_waitcnt vmcnt(6)
	v_fmac_f64_e32 v[78:79], v[48:49], v[36:37]
	v_fmac_f64_e32 v[28:29], v[50:51], v[36:37]
	v_fma_f64 v[76:77], -v[50:51], v[38:39], v[78:79]
	v_fmac_f64_e32 v[28:29], v[48:49], v[38:39]
	global_load_dwordx4 v[48:51], v[24:25], off
	v_lshl_add_u64 v[24:25], v[16:17], 4, s[8:9]
	v_add_u32_e32 v16, -9, v14
	;; [unrolled: 8-line block ×3, first 2 shown]
	global_load_dwordx4 v[54:57], v[24:25], off
	v_lshl_add_u64 v[24:25], v[16:17], 4, s[8:9]
	s_waitcnt vmcnt(7)
	v_fmac_f64_e32 v[70:71], v[20:21], v[40:41]
	v_fmac_f64_e32 v[30:31], v[22:23], v[40:41]
	v_fma_f64 v[70:71], -v[22:23], v[42:43], v[70:71]
	v_fmac_f64_e32 v[30:31], v[20:21], v[42:43]
	global_load_dwordx4 v[20:23], v[24:25], off
	v_subrev_u32_e32 v16, 22, v14
	v_lshl_add_u64 v[24:25], v[16:17], 4, s[8:9]
	v_add_u32_e32 v16, 5, v18
	s_waitcnt vmcnt(7)
	v_fmac_f64_e32 v[72:73], v[58:59], v[40:41]
	v_fmac_f64_e32 v[32:33], v[60:61], v[40:41]
	v_fma_f64 v[78:79], -v[60:61], v[42:43], v[72:73]
	v_fmac_f64_e32 v[32:33], v[58:59], v[42:43]
	global_load_dwordx4 v[58:61], v[24:25], off
	v_lshl_add_u64 v[24:25], v[16:17], 4, s[10:11]
	v_add_u32_e32 v16, -15, v14
	s_waitcnt vmcnt(7)
	v_fmac_f64_e32 v[76:77], v[66:67], v[40:41]
	v_fmac_f64_e32 v[28:29], v[68:69], v[40:41]
	v_fma_f64 v[80:81], -v[68:69], v[42:43], v[76:77]
	v_fmac_f64_e32 v[28:29], v[66:67], v[42:43]
	global_load_dwordx4 v[66:69], v[24:25], off
	v_lshl_add_u64 v[24:25], v[16:17], 4, s[8:9]
	v_add_u32_e32 v16, -8, v14
	;; [unrolled: 8-line block ×3, first 2 shown]
	v_lshl_add_u64 v[74:75], v[16:17], 4, s[8:9]
	v_subrev_u32_e32 v16, 21, v14
	v_lshl_add_u64 v[76:77], v[16:17], 4, s[8:9]
	v_add_u32_e32 v16, 6, v18
	s_waitcnt vmcnt(6)
	v_fmac_f64_e32 v[70:71], v[62:63], v[48:49]
	v_fmac_f64_e32 v[30:31], v[64:65], v[48:49]
	v_lshl_add_u64 v[18:19], v[16:17], 4, s[10:11]
	v_add_u32_e32 v16, -14, v14
	global_load_dwordx4 v[44:47], v[24:25], off
	v_fma_f64 v[24:25], -v[64:65], v[50:51], v[70:71]
	v_fmac_f64_e32 v[30:31], v[62:63], v[50:51]
	global_load_dwordx4 v[62:65], v[74:75], off
	global_load_dwordx4 v[70:73], v[76:77], off
	s_waitcnt vmcnt(8)
	v_fmac_f64_e32 v[32:33], v[38:39], v[48:49]
	global_load_dwordx4 v[74:77], v[18:19], off
	v_lshl_add_u64 v[18:19], v[16:17], 4, s[8:9]
	s_waitcnt vmcnt(8)
	v_fmac_f64_e32 v[80:81], v[54:55], v[48:49]
	v_fmac_f64_e32 v[28:29], v[56:57], v[48:49]
	v_add_u32_e32 v16, -7, v14
	v_fmac_f64_e32 v[78:79], v[36:37], v[48:49]
	v_fmac_f64_e32 v[32:33], v[36:37], v[50:51]
	v_fma_f64 v[36:37], -v[56:57], v[50:51], v[80:81]
	v_fmac_f64_e32 v[28:29], v[54:55], v[50:51]
	global_load_dwordx4 v[54:57], v[18:19], off
	s_waitcnt vmcnt(8)
	v_fmac_f64_e32 v[0:1], v[22:23], v[48:49]
	v_lshl_add_u64 v[18:19], v[16:17], 4, s[8:9]
	v_fmac_f64_e32 v[82:83], v[20:21], v[48:49]
	v_fmac_f64_e32 v[0:1], v[20:21], v[50:51]
	global_load_dwordx4 v[18:21], v[18:19], off
	v_fma_f64 v[38:39], -v[38:39], v[50:51], v[78:79]
	v_fma_f64 v[22:23], -v[22:23], v[50:51], v[82:83]
	v_add_u32_e32 v14, 0x1c0, v14
	s_waitcnt vmcnt(7)
	v_fmac_f64_e32 v[24:25], v[58:59], v[66:67]
	v_fmac_f64_e32 v[30:31], v[60:61], v[66:67]
	v_fma_f64 v[24:25], -v[60:61], v[68:69], v[24:25]
	v_fmac_f64_e32 v[30:31], v[58:59], v[68:69]
	s_waitcnt vmcnt(6)
	v_fmac_f64_e32 v[38:39], v[40:41], v[66:67]
	v_fmac_f64_e32 v[32:33], v[42:43], v[66:67]
	v_fma_f64 v[38:39], -v[42:43], v[68:69], v[38:39]
	v_fmac_f64_e32 v[32:33], v[40:41], v[68:69]
	s_waitcnt vmcnt(5)
	v_fmac_f64_e32 v[36:37], v[44:45], v[66:67]
	v_fmac_f64_e32 v[28:29], v[46:47], v[66:67]
	s_waitcnt vmcnt(4)
	v_fmac_f64_e32 v[22:23], v[62:63], v[66:67]
	v_fmac_f64_e32 v[0:1], v[64:65], v[66:67]
	v_fma_f64 v[46:47], -v[46:47], v[68:69], v[36:37]
	v_fmac_f64_e32 v[28:29], v[44:45], v[68:69]
	v_fma_f64 v[22:23], -v[64:65], v[68:69], v[22:23]
	v_fmac_f64_e32 v[0:1], v[62:63], v[68:69]
	s_waitcnt vmcnt(2)
	v_fmac_f64_e32 v[24:25], v[70:71], v[74:75]
	v_fmac_f64_e32 v[30:31], v[72:73], v[74:75]
	;; [unrolled: 1-line block ×4, first 2 shown]
	v_fma_f64 v[42:43], -v[72:73], v[76:77], v[24:25]
	v_fmac_f64_e32 v[30:31], v[70:71], v[76:77]
	v_fma_f64 v[36:37], -v[12:13], v[76:77], v[22:23]
	v_fmac_f64_e32 v[0:1], v[10:11], v[76:77]
	s_waitcnt vmcnt(1)
	v_fmac_f64_e32 v[38:39], v[54:55], v[74:75]
	v_fmac_f64_e32 v[32:33], v[56:57], v[74:75]
	v_fma_f64 v[40:41], -v[56:57], v[76:77], v[38:39]
	v_fmac_f64_e32 v[32:33], v[54:55], v[76:77]
	s_waitcnt vmcnt(0)
	v_fmac_f64_e32 v[46:47], v[18:19], v[74:75]
	v_fmac_f64_e32 v[28:29], v[20:21], v[74:75]
	v_fma_f64 v[38:39], -v[20:21], v[76:77], v[46:47]
	v_fmac_f64_e32 v[28:29], v[18:19], v[76:77]
	s_andn2_b64 exec, exec, s[2:3]
	s_cbranch_execnz .LBB138_13
; %bb.14:
	s_or_b64 exec, exec, s[2:3]
.LBB138_15:
	s_or_b64 exec, exec, s[4:5]
.LBB138_16:
	v_mov_b32_dpp v14, v30 row_shr:1 row_mask:0xf bank_mask:0xf
	v_mov_b32_dpp v15, v31 row_shr:1 row_mask:0xf bank_mask:0xf
	v_add_f64 v[14:15], v[30:31], v[14:15]
	v_mov_b32_dpp v10, v42 row_shr:1 row_mask:0xf bank_mask:0xf
	v_mov_b32_dpp v11, v43 row_shr:1 row_mask:0xf bank_mask:0xf
	;; [unrolled: 1-line block ×4, first 2 shown]
	v_add_f64 v[14:15], v[14:15], v[16:17]
	v_add_f64 v[10:11], v[42:43], v[10:11]
	v_cmp_eq_u32_e32 vcc, 15, v27
	v_mov_b32_dpp v16, v14 row_shr:4 row_mask:0xf bank_mask:0xe
	v_mov_b32_dpp v17, v15 row_shr:4 row_mask:0xf bank_mask:0xe
	v_add_f64 v[14:15], v[14:15], v[16:17]
	v_mov_b32_dpp v16, v40 row_shr:1 row_mask:0xf bank_mask:0xf
	v_mov_b32_dpp v17, v41 row_shr:1 row_mask:0xf bank_mask:0xf
	v_add_f64 v[16:17], v[40:41], v[16:17]
	v_mov_b32_dpp v12, v10 row_shr:2 row_mask:0xf bank_mask:0xf
	v_mov_b32_dpp v13, v11 row_shr:2 row_mask:0xf bank_mask:0xf
	;; [unrolled: 1-line block ×4, first 2 shown]
	v_add_f64 v[16:17], v[16:17], v[20:21]
	v_add_f64 v[10:11], v[10:11], v[12:13]
	v_mov_b32_dpp v18, v14 row_shr:8 row_mask:0xf bank_mask:0xc
	v_mov_b32_dpp v20, v16 row_shr:4 row_mask:0xf bank_mask:0xe
	;; [unrolled: 1-line block ×3, first 2 shown]
	v_add_f64 v[20:21], v[16:17], v[20:21]
	v_mov_b32_dpp v16, v32 row_shr:1 row_mask:0xf bank_mask:0xf
	v_mov_b32_dpp v17, v33 row_shr:1 row_mask:0xf bank_mask:0xf
	v_add_f64 v[16:17], v[32:33], v[16:17]
	v_mov_b32_dpp v12, v10 row_shr:4 row_mask:0xf bank_mask:0xe
	v_mov_b32_dpp v13, v11 row_shr:4 row_mask:0xf bank_mask:0xe
	;; [unrolled: 1-line block ×4, first 2 shown]
	v_add_f64 v[16:17], v[16:17], v[22:23]
	v_add_f64 v[10:11], v[10:11], v[12:13]
	v_mov_b32_dpp v19, v15 row_shr:8 row_mask:0xf bank_mask:0xc
	v_mov_b32_dpp v22, v16 row_shr:4 row_mask:0xf bank_mask:0xe
	;; [unrolled: 1-line block ×3, first 2 shown]
	v_add_f64 v[30:31], v[16:17], v[22:23]
	v_mov_b32_dpp v16, v38 row_shr:1 row_mask:0xf bank_mask:0xf
	v_mov_b32_dpp v17, v39 row_shr:1 row_mask:0xf bank_mask:0xf
	v_add_f64 v[16:17], v[38:39], v[16:17]
	v_mov_b32_dpp v12, v10 row_shr:8 row_mask:0xf bank_mask:0xc
	v_mov_b32_dpp v13, v11 row_shr:8 row_mask:0xf bank_mask:0xc
	v_mov_b32_dpp v22, v16 row_shr:2 row_mask:0xf bank_mask:0xf
	v_mov_b32_dpp v23, v17 row_shr:2 row_mask:0xf bank_mask:0xf
	v_add_f64 v[16:17], v[16:17], v[22:23]
	v_mov_b32_dpp v24, v20 row_shr:8 row_mask:0xf bank_mask:0xc
	v_mov_b32_dpp v25, v21 row_shr:8 row_mask:0xf bank_mask:0xc
	;; [unrolled: 5-line block ×3, first 2 shown]
	v_add_f64 v[16:17], v[28:29], v[16:17]
	v_mov_b32_dpp v32, v30 row_shr:8 row_mask:0xf bank_mask:0xc
	v_mov_b32_dpp v33, v31 row_shr:8 row_mask:0xf bank_mask:0xc
	;; [unrolled: 1-line block ×4, first 2 shown]
	v_add_f64 v[16:17], v[16:17], v[22:23]
	v_mov_b32_dpp v38, v34 row_shr:8 row_mask:0xf bank_mask:0xc
	v_mov_b32_dpp v39, v35 row_shr:8 row_mask:0xf bank_mask:0xc
	;; [unrolled: 1-line block ×4, first 2 shown]
	v_add_f64 v[28:29], v[16:17], v[22:23]
	v_mov_b32_dpp v16, v36 row_shr:1 row_mask:0xf bank_mask:0xf
	v_mov_b32_dpp v17, v37 row_shr:1 row_mask:0xf bank_mask:0xf
	v_add_f64 v[16:17], v[36:37], v[16:17]
	v_mov_b32_dpp v40, v28 row_shr:8 row_mask:0xf bank_mask:0xc
	v_mov_b32_dpp v41, v29 row_shr:8 row_mask:0xf bank_mask:0xc
	;; [unrolled: 1-line block ×4, first 2 shown]
	v_add_f64 v[16:17], v[16:17], v[22:23]
	s_nop 1
	v_mov_b32_dpp v22, v16 row_shr:4 row_mask:0xf bank_mask:0xe
	v_mov_b32_dpp v23, v17 row_shr:4 row_mask:0xf bank_mask:0xe
	v_add_f64 v[36:37], v[16:17], v[22:23]
	v_mov_b32_dpp v16, v0 row_shr:1 row_mask:0xf bank_mask:0xf
	v_mov_b32_dpp v17, v1 row_shr:1 row_mask:0xf bank_mask:0xf
	v_add_f64 v[0:1], v[0:1], v[16:17]
	v_mov_b32_dpp v42, v36 row_shr:8 row_mask:0xf bank_mask:0xc
	v_mov_b32_dpp v43, v37 row_shr:8 row_mask:0xf bank_mask:0xc
	;; [unrolled: 1-line block ×4, first 2 shown]
	v_add_f64 v[0:1], v[0:1], v[16:17]
	s_nop 1
	v_mov_b32_dpp v16, v0 row_shr:4 row_mask:0xf bank_mask:0xe
	v_mov_b32_dpp v17, v1 row_shr:4 row_mask:0xf bank_mask:0xe
	v_add_f64 v[44:45], v[0:1], v[16:17]
	s_nop 1
	v_mov_b32_dpp v46, v44 row_shr:8 row_mask:0xf bank_mask:0xc
	v_mov_b32_dpp v47, v45 row_shr:8 row_mask:0xf bank_mask:0xc
	s_and_b64 exec, exec, vcc
	s_cbranch_execz .LBB138_21
; %bb.17:
	s_load_dwordx2 s[2:3], s[0:1], 0x48
	v_cmp_eq_f64_e32 vcc, 0, v[6:7]
	v_cmp_eq_f64_e64 s[0:1], 0, v[8:9]
	v_add_f64 v[16:17], v[10:11], v[12:13]
	v_add_f64 v[22:23], v[14:15], v[18:19]
	;; [unrolled: 1-line block ×8, first 2 shown]
	s_and_b64 s[0:1], vcc, s[0:1]
	s_and_saveexec_b64 s[4:5], s[0:1]
	s_xor_b64 s[0:1], exec, s[4:5]
	s_cbranch_execz .LBB138_19
; %bb.18:
	v_mul_f64 v[6:7], v[22:23], -v[4:5]
	v_mul_f64 v[8:9], v[2:3], v[22:23]
	v_fmac_f64_e32 v[6:7], v[2:3], v[16:17]
	v_fmac_f64_e32 v[8:9], v[4:5], v[16:17]
	v_lshlrev_b32_e32 v16, 2, v26
	v_ashrrev_i32_e32 v17, 31, v16
	s_waitcnt lgkmcnt(0)
	v_lshl_add_u64 v[16:17], v[16:17], 4, s[2:3]
	global_store_dwordx4 v[16:17], v[6:9], off
                                        ; implicit-def: $vgpr26
                                        ; implicit-def: $vgpr22_vgpr23
	s_nop 1
	v_mul_f64 v[6:7], v[20:21], -v[4:5]
	v_mul_f64 v[8:9], v[2:3], v[20:21]
	v_fmac_f64_e32 v[6:7], v[2:3], v[12:13]
	v_fmac_f64_e32 v[8:9], v[4:5], v[12:13]
	global_store_dwordx4 v[16:17], v[6:9], off offset:16
                                        ; implicit-def: $vgpr12_vgpr13
                                        ; implicit-def: $vgpr20_vgpr21
	s_nop 1
	v_mul_f64 v[6:7], v[18:19], -v[4:5]
	v_mul_f64 v[8:9], v[2:3], v[18:19]
	v_fmac_f64_e32 v[6:7], v[2:3], v[10:11]
	v_fmac_f64_e32 v[8:9], v[4:5], v[10:11]
	global_store_dwordx4 v[16:17], v[6:9], off offset:32
                                        ; implicit-def: $vgpr10_vgpr11
                                        ; implicit-def: $vgpr18_vgpr19
	s_nop 1
	v_mul_f64 v[6:7], v[14:15], -v[4:5]
	v_mul_f64 v[8:9], v[2:3], v[14:15]
	v_fmac_f64_e32 v[6:7], v[2:3], v[0:1]
	v_fmac_f64_e32 v[8:9], v[4:5], v[0:1]
	global_store_dwordx4 v[16:17], v[6:9], off offset:48
                                        ; implicit-def: $vgpr16_vgpr17
                                        ; implicit-def: $vgpr0_vgpr1
                                        ; implicit-def: $vgpr14_vgpr15
                                        ; implicit-def: $vgpr8_vgpr9
                                        ; implicit-def: $vgpr4_vgpr5
.LBB138_19:
	s_andn2_saveexec_b64 s[0:1], s[0:1]
	s_cbranch_execz .LBB138_21
; %bb.20:
	v_lshlrev_b32_e32 v24, 2, v26
	v_ashrrev_i32_e32 v25, 31, v24
	s_waitcnt lgkmcnt(0)
	v_lshl_add_u64 v[44:45], v[24:25], 4, s[2:3]
	global_load_dwordx4 v[24:27], v[44:45], off
	global_load_dwordx4 v[28:31], v[44:45], off offset:16
	global_load_dwordx4 v[32:35], v[44:45], off offset:32
	;; [unrolled: 1-line block ×3, first 2 shown]
	v_mul_f64 v[40:41], v[22:23], -v[4:5]
	v_mul_f64 v[22:23], v[2:3], v[22:23]
	v_mul_f64 v[46:47], v[20:21], -v[4:5]
	v_mul_f64 v[42:43], v[2:3], v[20:21]
	;; [unrolled: 2-line block ×4, first 2 shown]
	v_fmac_f64_e32 v[40:41], v[2:3], v[16:17]
	v_fmac_f64_e32 v[22:23], v[4:5], v[16:17]
	;; [unrolled: 1-line block ×8, first 2 shown]
	s_waitcnt vmcnt(3)
	v_fmac_f64_e32 v[40:41], v[6:7], v[24:25]
	v_fmac_f64_e32 v[22:23], v[8:9], v[24:25]
	s_waitcnt vmcnt(2)
	v_fmac_f64_e32 v[46:47], v[6:7], v[28:29]
	v_fmac_f64_e32 v[42:43], v[8:9], v[28:29]
	s_waitcnt vmcnt(1)
	v_fmac_f64_e32 v[48:49], v[6:7], v[32:33]
	v_fmac_f64_e32 v[18:19], v[8:9], v[32:33]
	s_waitcnt vmcnt(0)
	v_fmac_f64_e32 v[50:51], v[6:7], v[36:37]
	v_fmac_f64_e32 v[14:15], v[8:9], v[36:37]
	v_fma_f64 v[20:21], -v[8:9], v[26:27], v[40:41]
	v_fmac_f64_e32 v[22:23], v[6:7], v[26:27]
	v_fma_f64 v[40:41], -v[8:9], v[30:31], v[46:47]
	v_fmac_f64_e32 v[42:43], v[6:7], v[30:31]
	;; [unrolled: 2-line block ×4, first 2 shown]
	global_store_dwordx4 v[44:45], v[20:23], off
	global_store_dwordx4 v[44:45], v[40:43], off offset:16
	global_store_dwordx4 v[44:45], v[16:19], off offset:32
	;; [unrolled: 1-line block ×3, first 2 shown]
.LBB138_21:
	s_endpgm
	.section	.rodata,"a",@progbits
	.p2align	6, 0x0
	.amdhsa_kernel _ZN9rocsparseL19gebsrmvn_4xn_kernelILj128ELj7ELj16E21rocsparse_complex_numIdEEEvi20rocsparse_direction_NS_24const_host_device_scalarIT2_EEPKiS8_PKS5_SA_S6_PS5_21rocsparse_index_base_b
		.amdhsa_group_segment_fixed_size 0
		.amdhsa_private_segment_fixed_size 0
		.amdhsa_kernarg_size 88
		.amdhsa_user_sgpr_count 2
		.amdhsa_user_sgpr_dispatch_ptr 0
		.amdhsa_user_sgpr_queue_ptr 0
		.amdhsa_user_sgpr_kernarg_segment_ptr 1
		.amdhsa_user_sgpr_dispatch_id 0
		.amdhsa_user_sgpr_kernarg_preload_length 0
		.amdhsa_user_sgpr_kernarg_preload_offset 0
		.amdhsa_user_sgpr_private_segment_size 0
		.amdhsa_uses_dynamic_stack 0
		.amdhsa_enable_private_segment 0
		.amdhsa_system_sgpr_workgroup_id_x 1
		.amdhsa_system_sgpr_workgroup_id_y 0
		.amdhsa_system_sgpr_workgroup_id_z 0
		.amdhsa_system_sgpr_workgroup_info 0
		.amdhsa_system_vgpr_workitem_id 0
		.amdhsa_next_free_vgpr 92
		.amdhsa_next_free_sgpr 16
		.amdhsa_accum_offset 92
		.amdhsa_reserve_vcc 1
		.amdhsa_float_round_mode_32 0
		.amdhsa_float_round_mode_16_64 0
		.amdhsa_float_denorm_mode_32 3
		.amdhsa_float_denorm_mode_16_64 3
		.amdhsa_dx10_clamp 1
		.amdhsa_ieee_mode 1
		.amdhsa_fp16_overflow 0
		.amdhsa_tg_split 0
		.amdhsa_exception_fp_ieee_invalid_op 0
		.amdhsa_exception_fp_denorm_src 0
		.amdhsa_exception_fp_ieee_div_zero 0
		.amdhsa_exception_fp_ieee_overflow 0
		.amdhsa_exception_fp_ieee_underflow 0
		.amdhsa_exception_fp_ieee_inexact 0
		.amdhsa_exception_int_div_zero 0
	.end_amdhsa_kernel
	.section	.text._ZN9rocsparseL19gebsrmvn_4xn_kernelILj128ELj7ELj16E21rocsparse_complex_numIdEEEvi20rocsparse_direction_NS_24const_host_device_scalarIT2_EEPKiS8_PKS5_SA_S6_PS5_21rocsparse_index_base_b,"axG",@progbits,_ZN9rocsparseL19gebsrmvn_4xn_kernelILj128ELj7ELj16E21rocsparse_complex_numIdEEEvi20rocsparse_direction_NS_24const_host_device_scalarIT2_EEPKiS8_PKS5_SA_S6_PS5_21rocsparse_index_base_b,comdat
.Lfunc_end138:
	.size	_ZN9rocsparseL19gebsrmvn_4xn_kernelILj128ELj7ELj16E21rocsparse_complex_numIdEEEvi20rocsparse_direction_NS_24const_host_device_scalarIT2_EEPKiS8_PKS5_SA_S6_PS5_21rocsparse_index_base_b, .Lfunc_end138-_ZN9rocsparseL19gebsrmvn_4xn_kernelILj128ELj7ELj16E21rocsparse_complex_numIdEEEvi20rocsparse_direction_NS_24const_host_device_scalarIT2_EEPKiS8_PKS5_SA_S6_PS5_21rocsparse_index_base_b
                                        ; -- End function
	.set _ZN9rocsparseL19gebsrmvn_4xn_kernelILj128ELj7ELj16E21rocsparse_complex_numIdEEEvi20rocsparse_direction_NS_24const_host_device_scalarIT2_EEPKiS8_PKS5_SA_S6_PS5_21rocsparse_index_base_b.num_vgpr, 92
	.set _ZN9rocsparseL19gebsrmvn_4xn_kernelILj128ELj7ELj16E21rocsparse_complex_numIdEEEvi20rocsparse_direction_NS_24const_host_device_scalarIT2_EEPKiS8_PKS5_SA_S6_PS5_21rocsparse_index_base_b.num_agpr, 0
	.set _ZN9rocsparseL19gebsrmvn_4xn_kernelILj128ELj7ELj16E21rocsparse_complex_numIdEEEvi20rocsparse_direction_NS_24const_host_device_scalarIT2_EEPKiS8_PKS5_SA_S6_PS5_21rocsparse_index_base_b.numbered_sgpr, 16
	.set _ZN9rocsparseL19gebsrmvn_4xn_kernelILj128ELj7ELj16E21rocsparse_complex_numIdEEEvi20rocsparse_direction_NS_24const_host_device_scalarIT2_EEPKiS8_PKS5_SA_S6_PS5_21rocsparse_index_base_b.num_named_barrier, 0
	.set _ZN9rocsparseL19gebsrmvn_4xn_kernelILj128ELj7ELj16E21rocsparse_complex_numIdEEEvi20rocsparse_direction_NS_24const_host_device_scalarIT2_EEPKiS8_PKS5_SA_S6_PS5_21rocsparse_index_base_b.private_seg_size, 0
	.set _ZN9rocsparseL19gebsrmvn_4xn_kernelILj128ELj7ELj16E21rocsparse_complex_numIdEEEvi20rocsparse_direction_NS_24const_host_device_scalarIT2_EEPKiS8_PKS5_SA_S6_PS5_21rocsparse_index_base_b.uses_vcc, 1
	.set _ZN9rocsparseL19gebsrmvn_4xn_kernelILj128ELj7ELj16E21rocsparse_complex_numIdEEEvi20rocsparse_direction_NS_24const_host_device_scalarIT2_EEPKiS8_PKS5_SA_S6_PS5_21rocsparse_index_base_b.uses_flat_scratch, 0
	.set _ZN9rocsparseL19gebsrmvn_4xn_kernelILj128ELj7ELj16E21rocsparse_complex_numIdEEEvi20rocsparse_direction_NS_24const_host_device_scalarIT2_EEPKiS8_PKS5_SA_S6_PS5_21rocsparse_index_base_b.has_dyn_sized_stack, 0
	.set _ZN9rocsparseL19gebsrmvn_4xn_kernelILj128ELj7ELj16E21rocsparse_complex_numIdEEEvi20rocsparse_direction_NS_24const_host_device_scalarIT2_EEPKiS8_PKS5_SA_S6_PS5_21rocsparse_index_base_b.has_recursion, 0
	.set _ZN9rocsparseL19gebsrmvn_4xn_kernelILj128ELj7ELj16E21rocsparse_complex_numIdEEEvi20rocsparse_direction_NS_24const_host_device_scalarIT2_EEPKiS8_PKS5_SA_S6_PS5_21rocsparse_index_base_b.has_indirect_call, 0
	.section	.AMDGPU.csdata,"",@progbits
; Kernel info:
; codeLenInByte = 4236
; TotalNumSgprs: 22
; NumVgprs: 92
; NumAgprs: 0
; TotalNumVgprs: 92
; ScratchSize: 0
; MemoryBound: 0
; FloatMode: 240
; IeeeMode: 1
; LDSByteSize: 0 bytes/workgroup (compile time only)
; SGPRBlocks: 2
; VGPRBlocks: 11
; NumSGPRsForWavesPerEU: 22
; NumVGPRsForWavesPerEU: 92
; AccumOffset: 92
; Occupancy: 5
; WaveLimiterHint : 1
; COMPUTE_PGM_RSRC2:SCRATCH_EN: 0
; COMPUTE_PGM_RSRC2:USER_SGPR: 2
; COMPUTE_PGM_RSRC2:TRAP_HANDLER: 0
; COMPUTE_PGM_RSRC2:TGID_X_EN: 1
; COMPUTE_PGM_RSRC2:TGID_Y_EN: 0
; COMPUTE_PGM_RSRC2:TGID_Z_EN: 0
; COMPUTE_PGM_RSRC2:TIDIG_COMP_CNT: 0
; COMPUTE_PGM_RSRC3_GFX90A:ACCUM_OFFSET: 22
; COMPUTE_PGM_RSRC3_GFX90A:TG_SPLIT: 0
	.section	.text._ZN9rocsparseL19gebsrmvn_4xn_kernelILj128ELj7ELj32E21rocsparse_complex_numIdEEEvi20rocsparse_direction_NS_24const_host_device_scalarIT2_EEPKiS8_PKS5_SA_S6_PS5_21rocsparse_index_base_b,"axG",@progbits,_ZN9rocsparseL19gebsrmvn_4xn_kernelILj128ELj7ELj32E21rocsparse_complex_numIdEEEvi20rocsparse_direction_NS_24const_host_device_scalarIT2_EEPKiS8_PKS5_SA_S6_PS5_21rocsparse_index_base_b,comdat
	.globl	_ZN9rocsparseL19gebsrmvn_4xn_kernelILj128ELj7ELj32E21rocsparse_complex_numIdEEEvi20rocsparse_direction_NS_24const_host_device_scalarIT2_EEPKiS8_PKS5_SA_S6_PS5_21rocsparse_index_base_b ; -- Begin function _ZN9rocsparseL19gebsrmvn_4xn_kernelILj128ELj7ELj32E21rocsparse_complex_numIdEEEvi20rocsparse_direction_NS_24const_host_device_scalarIT2_EEPKiS8_PKS5_SA_S6_PS5_21rocsparse_index_base_b
	.p2align	8
	.type	_ZN9rocsparseL19gebsrmvn_4xn_kernelILj128ELj7ELj32E21rocsparse_complex_numIdEEEvi20rocsparse_direction_NS_24const_host_device_scalarIT2_EEPKiS8_PKS5_SA_S6_PS5_21rocsparse_index_base_b,@function
_ZN9rocsparseL19gebsrmvn_4xn_kernelILj128ELj7ELj32E21rocsparse_complex_numIdEEEvi20rocsparse_direction_NS_24const_host_device_scalarIT2_EEPKiS8_PKS5_SA_S6_PS5_21rocsparse_index_base_b: ; @_ZN9rocsparseL19gebsrmvn_4xn_kernelILj128ELj7ELj32E21rocsparse_complex_numIdEEEvi20rocsparse_direction_NS_24const_host_device_scalarIT2_EEPKiS8_PKS5_SA_S6_PS5_21rocsparse_index_base_b
; %bb.0:
	s_load_dwordx2 s[4:5], s[0:1], 0x8
	s_load_dwordx2 s[6:7], s[0:1], 0x38
	;; [unrolled: 1-line block ×3, first 2 shown]
	s_add_u32 s3, s0, 8
	s_addc_u32 s8, s1, 0
	s_add_u32 s9, s0, 56
	s_addc_u32 s10, s1, 0
	s_waitcnt lgkmcnt(0)
	s_bitcmp1_b32 s13, 0
	s_cselect_b32 s5, s8, s5
	s_cselect_b32 s3, s3, s4
	v_mov_b32_e32 v2, s3
	v_mov_b32_e32 v3, s5
	flat_load_dwordx4 v[2:5], v[2:3]
	s_cselect_b32 s3, s10, s7
	s_cselect_b32 s4, s9, s6
	v_mov_b32_e32 v6, s4
	v_mov_b32_e32 v7, s3
	flat_load_dwordx4 v[6:9], v[6:7]
	s_waitcnt vmcnt(0) lgkmcnt(0)
	v_cmp_eq_f64_e32 vcc, 0, v[2:3]
	v_cmp_eq_f64_e64 s[4:5], 0, v[4:5]
	s_and_b64 s[8:9], vcc, s[4:5]
	s_mov_b64 s[4:5], -1
	s_and_saveexec_b64 s[6:7], s[8:9]
; %bb.1:
	v_cmp_neq_f64_e32 vcc, 1.0, v[6:7]
	v_cmp_neq_f64_e64 s[4:5], 0, v[8:9]
	s_or_b64 s[4:5], vcc, s[4:5]
	s_orn2_b64 s[4:5], s[4:5], exec
; %bb.2:
	s_or_b64 exec, exec, s[6:7]
	s_and_saveexec_b64 s[6:7], s[4:5]
	s_cbranch_execz .LBB139_21
; %bb.3:
	s_load_dwordx2 s[14:15], s[0:1], 0x0
	v_lshrrev_b32_e32 v1, 5, v0
	v_lshl_or_b32 v26, s2, 2, v1
	s_waitcnt lgkmcnt(0)
	v_cmp_gt_i32_e32 vcc, s14, v26
	s_and_b64 exec, exec, vcc
	s_cbranch_execz .LBB139_21
; %bb.4:
	s_load_dwordx8 s[4:11], s[0:1], 0x18
	v_ashrrev_i32_e32 v27, 31, v26
	s_cmp_lg_u32 s15, 0
	s_waitcnt lgkmcnt(0)
	v_lshl_add_u64 v[10:11], v[26:27], 2, s[4:5]
	global_load_dwordx2 v[10:11], v[10:11], off
	v_and_b32_e32 v27, 31, v0
	s_waitcnt vmcnt(0)
	v_subrev_u32_e32 v0, s12, v10
	v_subrev_u32_e32 v52, s12, v11
	v_add_u32_e32 v34, v0, v27
	v_cmp_lt_i32_e64 s[2:3], v34, v52
	s_cbranch_scc0 .LBB139_10
; %bb.5:
	v_mov_b64_e32 v[30:31], 0
	v_mov_b64_e32 v[42:43], 0
	;; [unrolled: 1-line block ×8, first 2 shown]
	s_and_saveexec_b64 s[4:5], s[2:3]
	s_cbranch_execz .LBB139_9
; %bb.6:
	v_mad_u64_u32 v[44:45], s[14:15], v34, 28, 24
	v_mov_b64_e32 v[30:31], 0
	s_mov_b64 s[14:15], 0
	v_mov_b32_e32 v47, 0
	v_mov_b32_e32 v48, v34
	v_mov_b64_e32 v[42:43], 0
	v_mov_b64_e32 v[36:37], 0
	;; [unrolled: 1-line block ×7, first 2 shown]
.LBB139_7:                              ; =>This Inner Loop Header: Depth=1
	v_ashrrev_i32_e32 v49, 31, v48
	v_subrev_u32_e32 v46, 24, v44
	v_lshl_add_u64 v[10:11], v[48:49], 2, s[6:7]
	v_lshl_add_u64 v[12:13], v[46:47], 4, s[8:9]
	global_load_dword v35, v[10:11], off
	global_load_dwordx4 v[54:57], v[12:13], off offset:48
	global_load_dwordx4 v[58:61], v[12:13], off offset:32
	;; [unrolled: 1-line block ×3, first 2 shown]
	global_load_dwordx4 v[66:69], v[12:13], off
	v_mov_b32_e32 v45, v47
	v_mov_b32_e32 v51, v47
	v_subrev_u32_e32 v46, 20, v44
	v_lshl_add_u64 v[82:83], v[44:45], 4, s[8:9]
	v_lshl_add_u64 v[86:87], v[46:47], 4, s[8:9]
	global_load_dwordx4 v[10:13], v[82:83], off offset:48
	global_load_dwordx4 v[14:17], v[82:83], off offset:32
	;; [unrolled: 1-line block ×3, first 2 shown]
	global_load_dwordx4 v[22:25], v[82:83], off
	global_load_dwordx4 v[70:73], v[86:87], off offset:48
	global_load_dwordx4 v[74:77], v[86:87], off offset:32
	;; [unrolled: 1-line block ×3, first 2 shown]
	v_add_u32_e32 v48, 32, v48
	v_cmp_ge_i32_e32 vcc, v48, v52
	s_or_b64 s[14:15], vcc, s[14:15]
	s_waitcnt vmcnt(11)
	v_subrev_u32_e32 v35, s12, v35
	v_mul_lo_u32 v50, v35, 7
	v_lshl_add_u64 v[82:83], v[50:51], 4, s[10:11]
	global_load_dwordx4 v[82:85], v[82:83], off
	v_add_u32_e32 v46, 1, v50
	s_waitcnt vmcnt(0)
	v_fmac_f64_e32 v[42:43], v[66:67], v[82:83]
	v_fma_f64 v[88:89], -v[68:69], v[84:85], v[42:43]
	v_lshl_add_u64 v[42:43], v[46:47], 4, s[10:11]
	v_add_u32_e32 v46, -16, v44
	v_fmac_f64_e32 v[32:33], v[64:65], v[82:83]
	v_fmac_f64_e32 v[30:31], v[68:69], v[82:83]
	v_fmac_f64_e32 v[40:41], v[62:63], v[82:83]
	v_fmac_f64_e32 v[32:33], v[62:63], v[84:85]
	v_lshl_add_u64 v[62:63], v[46:47], 4, s[8:9]
	v_fmac_f64_e32 v[38:39], v[58:59], v[82:83]
	v_fmac_f64_e32 v[28:29], v[60:61], v[82:83]
	;; [unrolled: 1-line block ×3, first 2 shown]
	global_load_dwordx4 v[66:69], v[86:87], off
	v_fma_f64 v[90:91], -v[60:61], v[84:85], v[38:39]
	v_fmac_f64_e32 v[28:29], v[58:59], v[84:85]
	global_load_dwordx4 v[58:61], v[62:63], off offset:48
	v_fma_f64 v[86:87], -v[64:65], v[84:85], v[40:41]
	global_load_dwordx4 v[40:43], v[42:43], off
	v_add_u32_e32 v46, 2, v50
	v_fmac_f64_e32 v[36:37], v[54:55], v[82:83]
	v_fmac_f64_e32 v[0:1], v[56:57], v[82:83]
	v_fma_f64 v[82:83], -v[56:57], v[84:85], v[36:37]
	v_fmac_f64_e32 v[0:1], v[54:55], v[84:85]
	global_load_dwordx4 v[36:39], v[62:63], off offset:32
	global_load_dwordx4 v[54:57], v[62:63], off offset:16
	s_waitcnt vmcnt(2)
	v_fmac_f64_e32 v[30:31], v[68:69], v[40:41]
	v_fmac_f64_e32 v[88:89], v[66:67], v[40:41]
	;; [unrolled: 1-line block ×3, first 2 shown]
	v_lshl_add_u64 v[66:67], v[46:47], 4, s[10:11]
	v_fma_f64 v[84:85], -v[68:69], v[42:43], v[88:89]
	global_load_dwordx4 v[62:65], v[62:63], off
	v_add_u32_e32 v46, -12, v44
	global_load_dwordx4 v[66:69], v[66:67], off
	v_fmac_f64_e32 v[86:87], v[78:79], v[40:41]
	v_fmac_f64_e32 v[32:33], v[80:81], v[40:41]
	v_fma_f64 v[80:81], -v[80:81], v[42:43], v[86:87]
	v_fmac_f64_e32 v[32:33], v[78:79], v[42:43]
	v_lshl_add_u64 v[78:79], v[46:47], 4, s[8:9]
	v_add_u32_e32 v46, 3, v50
	v_fmac_f64_e32 v[90:91], v[74:75], v[40:41]
	v_fmac_f64_e32 v[28:29], v[76:77], v[40:41]
	;; [unrolled: 1-line block ×4, first 2 shown]
	v_fma_f64 v[86:87], -v[76:77], v[42:43], v[90:91]
	v_fmac_f64_e32 v[28:29], v[74:75], v[42:43]
	global_load_dwordx4 v[74:77], v[78:79], off offset:48
	v_fma_f64 v[82:83], -v[72:73], v[42:43], v[82:83]
	v_fmac_f64_e32 v[0:1], v[70:71], v[42:43]
	global_load_dwordx4 v[40:43], v[78:79], off offset:32
	global_load_dwordx4 v[70:73], v[78:79], off offset:16
	s_waitcnt vmcnt(3)
	v_fmac_f64_e32 v[84:85], v[62:63], v[66:67]
	v_fmac_f64_e32 v[30:31], v[64:65], v[66:67]
	v_fma_f64 v[84:85], -v[64:65], v[68:69], v[84:85]
	v_fmac_f64_e32 v[30:31], v[62:63], v[68:69]
	global_load_dwordx4 v[62:65], v[78:79], off
	v_lshl_add_u64 v[78:79], v[46:47], 4, s[10:11]
	v_fmac_f64_e32 v[80:81], v[54:55], v[66:67]
	v_fmac_f64_e32 v[32:33], v[56:57], v[66:67]
	v_fma_f64 v[80:81], -v[56:57], v[68:69], v[80:81]
	v_fmac_f64_e32 v[32:33], v[54:55], v[68:69]
	global_load_dwordx4 v[54:57], v[78:79], off
	v_add_u32_e32 v46, -8, v44
	v_lshl_add_u64 v[78:79], v[46:47], 4, s[8:9]
	v_add_u32_e32 v46, 4, v50
	v_fmac_f64_e32 v[86:87], v[36:37], v[66:67]
	v_fmac_f64_e32 v[28:29], v[38:39], v[66:67]
	;; [unrolled: 1-line block ×4, first 2 shown]
	v_fma_f64 v[86:87], -v[38:39], v[68:69], v[86:87]
	v_fmac_f64_e32 v[28:29], v[36:37], v[68:69]
	global_load_dwordx4 v[36:39], v[78:79], off offset:48
	v_fma_f64 v[82:83], -v[60:61], v[68:69], v[82:83]
	v_fmac_f64_e32 v[0:1], v[58:59], v[68:69]
	global_load_dwordx4 v[58:61], v[78:79], off offset:32
	global_load_dwordx4 v[66:69], v[78:79], off offset:16
	s_waitcnt vmcnt(3)
	v_fmac_f64_e32 v[84:85], v[62:63], v[54:55]
	v_fmac_f64_e32 v[30:31], v[64:65], v[54:55]
	v_fma_f64 v[84:85], -v[64:65], v[56:57], v[84:85]
	v_fmac_f64_e32 v[30:31], v[62:63], v[56:57]
	global_load_dwordx4 v[62:65], v[78:79], off
	v_lshl_add_u64 v[78:79], v[46:47], 4, s[10:11]
	v_fmac_f64_e32 v[80:81], v[70:71], v[54:55]
	v_fmac_f64_e32 v[32:33], v[72:73], v[54:55]
	v_fma_f64 v[88:89], -v[72:73], v[56:57], v[80:81]
	v_fmac_f64_e32 v[32:33], v[70:71], v[56:57]
	global_load_dwordx4 v[70:73], v[78:79], off
	v_add_u32_e32 v46, -4, v44
	v_lshl_add_u64 v[78:79], v[46:47], 4, s[8:9]
	v_add_u32_e32 v46, 5, v50
	v_fmac_f64_e32 v[86:87], v[40:41], v[54:55]
	v_fmac_f64_e32 v[28:29], v[42:43], v[54:55]
	;; [unrolled: 1-line block ×4, first 2 shown]
	v_fma_f64 v[86:87], -v[42:43], v[56:57], v[86:87]
	v_fmac_f64_e32 v[28:29], v[40:41], v[56:57]
	global_load_dwordx4 v[40:43], v[78:79], off offset:48
	v_fma_f64 v[82:83], -v[76:77], v[56:57], v[82:83]
	v_fmac_f64_e32 v[0:1], v[74:75], v[56:57]
	global_load_dwordx4 v[54:57], v[78:79], off offset:32
	global_load_dwordx4 v[74:77], v[78:79], off offset:16
	v_add_u32_e32 v44, 0x380, v44
	s_waitcnt vmcnt(3)
	v_fmac_f64_e32 v[84:85], v[62:63], v[70:71]
	v_fmac_f64_e32 v[30:31], v[64:65], v[70:71]
	v_fma_f64 v[84:85], -v[64:65], v[72:73], v[84:85]
	v_fmac_f64_e32 v[30:31], v[62:63], v[72:73]
	global_load_dwordx4 v[62:65], v[78:79], off
	v_lshl_add_u64 v[78:79], v[46:47], 4, s[10:11]
	v_add_u32_e32 v46, 6, v50
	global_load_dwordx4 v[78:81], v[78:79], off
	v_fmac_f64_e32 v[32:33], v[68:69], v[70:71]
	v_fmac_f64_e32 v[88:89], v[66:67], v[70:71]
	;; [unrolled: 1-line block ×3, first 2 shown]
	v_lshl_add_u64 v[66:67], v[46:47], 4, s[10:11]
	v_fma_f64 v[50:51], -v[68:69], v[72:73], v[88:89]
	global_load_dwordx4 v[66:69], v[66:67], off
	v_fmac_f64_e32 v[86:87], v[58:59], v[70:71]
	v_fmac_f64_e32 v[28:29], v[60:61], v[70:71]
	;; [unrolled: 1-line block ×4, first 2 shown]
	v_fma_f64 v[60:61], -v[60:61], v[72:73], v[86:87]
	v_fmac_f64_e32 v[28:29], v[58:59], v[72:73]
	v_fma_f64 v[38:39], -v[38:39], v[72:73], v[82:83]
	v_fmac_f64_e32 v[0:1], v[36:37], v[72:73]
	s_waitcnt vmcnt(1)
	v_fmac_f64_e32 v[84:85], v[62:63], v[78:79]
	v_fmac_f64_e32 v[30:31], v[64:65], v[78:79]
	;; [unrolled: 1-line block ×8, first 2 shown]
	v_fma_f64 v[36:37], -v[64:65], v[80:81], v[84:85]
	v_fmac_f64_e32 v[30:31], v[62:63], v[80:81]
	v_fma_f64 v[50:51], -v[76:77], v[80:81], v[50:51]
	v_fmac_f64_e32 v[32:33], v[74:75], v[80:81]
	;; [unrolled: 2-line block ×4, first 2 shown]
	s_waitcnt vmcnt(0)
	v_fmac_f64_e32 v[36:37], v[22:23], v[66:67]
	v_fmac_f64_e32 v[30:31], v[24:25], v[66:67]
	;; [unrolled: 1-line block ×8, first 2 shown]
	v_fma_f64 v[42:43], -v[24:25], v[68:69], v[36:37]
	v_fmac_f64_e32 v[30:31], v[22:23], v[68:69]
	v_fma_f64 v[40:41], -v[20:21], v[68:69], v[50:51]
	v_fmac_f64_e32 v[32:33], v[18:19], v[68:69]
	;; [unrolled: 2-line block ×4, first 2 shown]
	s_andn2_b64 exec, exec, s[14:15]
	s_cbranch_execnz .LBB139_7
; %bb.8:
	s_or_b64 exec, exec, s[14:15]
.LBB139_9:
	s_or_b64 exec, exec, s[4:5]
	s_cbranch_execz .LBB139_11
	s_branch .LBB139_16
.LBB139_10:
                                        ; implicit-def: $vgpr30_vgpr31
                                        ; implicit-def: $vgpr42_vgpr43
                                        ; implicit-def: $vgpr36_vgpr37
                                        ; implicit-def: $vgpr0_vgpr1
                                        ; implicit-def: $vgpr38_vgpr39
                                        ; implicit-def: $vgpr28_vgpr29
                                        ; implicit-def: $vgpr40_vgpr41
                                        ; implicit-def: $vgpr32_vgpr33
.LBB139_11:
	v_mov_b64_e32 v[30:31], 0
	v_mov_b64_e32 v[42:43], 0
	;; [unrolled: 1-line block ×8, first 2 shown]
	s_and_saveexec_b64 s[4:5], s[2:3]
	s_cbranch_execz .LBB139_15
; %bb.12:
	v_mad_u64_u32 v[14:15], s[2:3], v34, 28, 27
	v_mov_b64_e32 v[30:31], 0
	s_mov_b64 s[2:3], 0
	v_mov_b32_e32 v17, 0
	v_mov_b64_e32 v[42:43], 0
	v_mov_b64_e32 v[36:37], 0
	;; [unrolled: 1-line block ×7, first 2 shown]
.LBB139_13:                             ; =>This Inner Loop Header: Depth=1
	v_ashrrev_i32_e32 v35, 31, v34
	v_subrev_u32_e32 v16, 27, v14
	v_subrev_u32_e32 v20, 20, v14
	v_add_u32_e32 v12, -13, v14
	v_add_u32_e32 v10, -6, v14
	v_mov_b32_e32 v21, v17
	v_mov_b32_e32 v13, v17
	;; [unrolled: 1-line block ×4, first 2 shown]
	v_lshl_add_u64 v[24:25], v[34:35], 2, s[6:7]
	v_lshl_add_u64 v[70:71], v[16:17], 4, s[8:9]
	;; [unrolled: 1-line block ×6, first 2 shown]
	global_load_dword v15, v[24:25], off
	global_load_dwordx4 v[20:23], v[70:71], off offset:48
	global_load_dwordx4 v[44:47], v[70:71], off offset:32
	;; [unrolled: 1-line block ×3, first 2 shown]
	global_load_dwordx4 v[54:57], v[70:71], off
	global_load_dwordx4 v[58:61], v[72:73], off
	;; [unrolled: 1-line block ×5, first 2 shown]
	v_mov_b32_e32 v19, v17
	v_add_u32_e32 v34, 32, v34
	v_cmp_ge_i32_e32 vcc, v34, v52
	s_or_b64 s[2:3], vcc, s[2:3]
	s_waitcnt vmcnt(8)
	v_subrev_u32_e32 v15, s12, v15
	v_mul_lo_u32 v18, v15, 7
	v_lshl_add_u64 v[24:25], v[18:19], 4, s[10:11]
	global_load_dwordx4 v[70:73], v[24:25], off
	v_add_u32_e32 v16, 1, v18
	v_lshl_add_u64 v[24:25], v[16:17], 4, s[10:11]
	v_subrev_u32_e32 v16, 19, v14
	global_load_dwordx4 v[74:77], v[24:25], off
	v_lshl_add_u64 v[24:25], v[16:17], 4, s[8:9]
	v_add_u32_e32 v16, -12, v14
	s_waitcnt vmcnt(1)
	v_fmac_f64_e32 v[42:43], v[54:55], v[70:71]
	v_fmac_f64_e32 v[30:31], v[56:57], v[70:71]
	v_fma_f64 v[78:79], -v[56:57], v[72:73], v[42:43]
	v_fmac_f64_e32 v[30:31], v[54:55], v[72:73]
	global_load_dwordx4 v[54:57], v[24:25], off
	v_lshl_add_u64 v[24:25], v[16:17], 4, s[8:9]
	v_fmac_f64_e32 v[40:41], v[58:59], v[70:71]
	v_fma_f64 v[80:81], -v[60:61], v[72:73], v[40:41]
	global_load_dwordx4 v[40:43], v[24:25], off
	v_add_u32_e32 v16, -5, v14
	v_fmac_f64_e32 v[32:33], v[60:61], v[70:71]
	v_lshl_add_u64 v[24:25], v[16:17], 4, s[8:9]
	v_fmac_f64_e32 v[32:33], v[58:59], v[72:73]
	v_add_u32_e32 v16, 2, v18
	global_load_dwordx4 v[58:61], v[24:25], off
	v_fmac_f64_e32 v[38:39], v[62:63], v[70:71]
	v_lshl_add_u64 v[24:25], v[16:17], 4, s[10:11]
	v_fmac_f64_e32 v[36:37], v[66:67], v[70:71]
	v_fma_f64 v[82:83], -v[64:65], v[72:73], v[38:39]
	v_subrev_u32_e32 v16, 18, v14
	v_fmac_f64_e32 v[0:1], v[68:69], v[70:71]
	v_fma_f64 v[68:69], -v[68:69], v[72:73], v[36:37]
	global_load_dwordx4 v[36:39], v[24:25], off
	v_fmac_f64_e32 v[28:29], v[64:65], v[70:71]
	v_lshl_add_u64 v[24:25], v[16:17], 4, s[8:9]
	v_add_u32_e32 v16, -11, v14
	v_fmac_f64_e32 v[28:29], v[62:63], v[72:73]
	global_load_dwordx4 v[62:65], v[24:25], off
	v_lshl_add_u64 v[24:25], v[16:17], 4, s[8:9]
	v_add_u32_e32 v16, -4, v14
	s_waitcnt vmcnt(5)
	v_fmac_f64_e32 v[78:79], v[48:49], v[74:75]
	v_fmac_f64_e32 v[30:31], v[50:51], v[74:75]
	v_fma_f64 v[70:71], -v[50:51], v[76:77], v[78:79]
	v_fmac_f64_e32 v[30:31], v[48:49], v[76:77]
	global_load_dwordx4 v[48:51], v[24:25], off
	v_lshl_add_u64 v[24:25], v[16:17], 4, s[8:9]
	v_fmac_f64_e32 v[0:1], v[66:67], v[72:73]
	v_add_u32_e32 v16, 3, v18
	s_waitcnt vmcnt(5)
	v_fmac_f64_e32 v[80:81], v[54:55], v[74:75]
	v_fmac_f64_e32 v[32:33], v[56:57], v[74:75]
	v_fma_f64 v[72:73], -v[56:57], v[76:77], v[80:81]
	v_fmac_f64_e32 v[32:33], v[54:55], v[76:77]
	global_load_dwordx4 v[54:57], v[24:25], off
	v_lshl_add_u64 v[24:25], v[16:17], 4, s[10:11]
	s_waitcnt vmcnt(5)
	v_fmac_f64_e32 v[82:83], v[40:41], v[74:75]
	v_fmac_f64_e32 v[28:29], v[42:43], v[74:75]
	v_fma_f64 v[78:79], -v[42:43], v[76:77], v[82:83]
	v_fmac_f64_e32 v[28:29], v[40:41], v[76:77]
	global_load_dwordx4 v[40:43], v[24:25], off
	v_subrev_u32_e32 v16, 17, v14
	v_lshl_add_u64 v[24:25], v[16:17], 4, s[8:9]
	v_add_u32_e32 v16, -10, v14
	s_waitcnt vmcnt(5)
	v_fmac_f64_e32 v[68:69], v[58:59], v[74:75]
	v_fmac_f64_e32 v[0:1], v[60:61], v[74:75]
	v_fma_f64 v[74:75], -v[60:61], v[76:77], v[68:69]
	v_fmac_f64_e32 v[0:1], v[58:59], v[76:77]
	global_load_dwordx4 v[58:61], v[24:25], off
	v_lshl_add_u64 v[24:25], v[16:17], 4, s[8:9]
	v_add_u32_e32 v16, -3, v14
	global_load_dwordx4 v[66:69], v[24:25], off
	v_lshl_add_u64 v[24:25], v[16:17], 4, s[8:9]
	s_waitcnt vmcnt(6)
	v_fmac_f64_e32 v[70:71], v[44:45], v[36:37]
	v_fmac_f64_e32 v[30:31], v[46:47], v[36:37]
	v_subrev_u32_e32 v16, 23, v14
	v_fma_f64 v[70:71], -v[46:47], v[38:39], v[70:71]
	v_fmac_f64_e32 v[30:31], v[44:45], v[38:39]
	global_load_dwordx4 v[44:47], v[24:25], off
	v_lshl_add_u64 v[24:25], v[16:17], 4, s[8:9]
	v_add_u32_e32 v16, 4, v18
	s_waitcnt vmcnt(6)
	v_fmac_f64_e32 v[72:73], v[62:63], v[36:37]
	v_fmac_f64_e32 v[32:33], v[64:65], v[36:37]
	v_fma_f64 v[72:73], -v[64:65], v[38:39], v[72:73]
	v_fmac_f64_e32 v[32:33], v[62:63], v[38:39]
	global_load_dwordx4 v[62:65], v[24:25], off
	v_lshl_add_u64 v[24:25], v[16:17], 4, s[10:11]
	v_add_u32_e32 v16, -16, v14
	s_waitcnt vmcnt(6)
	v_fmac_f64_e32 v[78:79], v[48:49], v[36:37]
	v_fmac_f64_e32 v[28:29], v[50:51], v[36:37]
	v_fma_f64 v[76:77], -v[50:51], v[38:39], v[78:79]
	v_fmac_f64_e32 v[28:29], v[48:49], v[38:39]
	global_load_dwordx4 v[48:51], v[24:25], off
	v_lshl_add_u64 v[24:25], v[16:17], 4, s[8:9]
	v_add_u32_e32 v16, -9, v14
	;; [unrolled: 8-line block ×3, first 2 shown]
	global_load_dwordx4 v[54:57], v[24:25], off
	v_lshl_add_u64 v[24:25], v[16:17], 4, s[8:9]
	s_waitcnt vmcnt(7)
	v_fmac_f64_e32 v[70:71], v[20:21], v[40:41]
	v_fmac_f64_e32 v[30:31], v[22:23], v[40:41]
	v_fma_f64 v[70:71], -v[22:23], v[42:43], v[70:71]
	v_fmac_f64_e32 v[30:31], v[20:21], v[42:43]
	global_load_dwordx4 v[20:23], v[24:25], off
	v_subrev_u32_e32 v16, 22, v14
	v_lshl_add_u64 v[24:25], v[16:17], 4, s[8:9]
	v_add_u32_e32 v16, 5, v18
	s_waitcnt vmcnt(7)
	v_fmac_f64_e32 v[72:73], v[58:59], v[40:41]
	v_fmac_f64_e32 v[32:33], v[60:61], v[40:41]
	v_fma_f64 v[78:79], -v[60:61], v[42:43], v[72:73]
	v_fmac_f64_e32 v[32:33], v[58:59], v[42:43]
	global_load_dwordx4 v[58:61], v[24:25], off
	v_lshl_add_u64 v[24:25], v[16:17], 4, s[10:11]
	v_add_u32_e32 v16, -15, v14
	s_waitcnt vmcnt(7)
	v_fmac_f64_e32 v[76:77], v[66:67], v[40:41]
	v_fmac_f64_e32 v[28:29], v[68:69], v[40:41]
	v_fma_f64 v[80:81], -v[68:69], v[42:43], v[76:77]
	v_fmac_f64_e32 v[28:29], v[66:67], v[42:43]
	global_load_dwordx4 v[66:69], v[24:25], off
	v_lshl_add_u64 v[24:25], v[16:17], 4, s[8:9]
	v_add_u32_e32 v16, -8, v14
	;; [unrolled: 8-line block ×3, first 2 shown]
	v_lshl_add_u64 v[74:75], v[16:17], 4, s[8:9]
	v_subrev_u32_e32 v16, 21, v14
	v_lshl_add_u64 v[76:77], v[16:17], 4, s[8:9]
	v_add_u32_e32 v16, 6, v18
	s_waitcnt vmcnt(6)
	v_fmac_f64_e32 v[70:71], v[62:63], v[48:49]
	v_fmac_f64_e32 v[30:31], v[64:65], v[48:49]
	v_lshl_add_u64 v[18:19], v[16:17], 4, s[10:11]
	v_add_u32_e32 v16, -14, v14
	global_load_dwordx4 v[44:47], v[24:25], off
	v_fma_f64 v[24:25], -v[64:65], v[50:51], v[70:71]
	v_fmac_f64_e32 v[30:31], v[62:63], v[50:51]
	global_load_dwordx4 v[62:65], v[74:75], off
	global_load_dwordx4 v[70:73], v[76:77], off
	s_waitcnt vmcnt(8)
	v_fmac_f64_e32 v[32:33], v[38:39], v[48:49]
	global_load_dwordx4 v[74:77], v[18:19], off
	v_lshl_add_u64 v[18:19], v[16:17], 4, s[8:9]
	s_waitcnt vmcnt(8)
	v_fmac_f64_e32 v[80:81], v[54:55], v[48:49]
	v_fmac_f64_e32 v[28:29], v[56:57], v[48:49]
	v_add_u32_e32 v16, -7, v14
	v_fmac_f64_e32 v[78:79], v[36:37], v[48:49]
	v_fmac_f64_e32 v[32:33], v[36:37], v[50:51]
	v_fma_f64 v[36:37], -v[56:57], v[50:51], v[80:81]
	v_fmac_f64_e32 v[28:29], v[54:55], v[50:51]
	global_load_dwordx4 v[54:57], v[18:19], off
	s_waitcnt vmcnt(8)
	v_fmac_f64_e32 v[0:1], v[22:23], v[48:49]
	v_lshl_add_u64 v[18:19], v[16:17], 4, s[8:9]
	v_fmac_f64_e32 v[82:83], v[20:21], v[48:49]
	v_fmac_f64_e32 v[0:1], v[20:21], v[50:51]
	global_load_dwordx4 v[18:21], v[18:19], off
	v_fma_f64 v[38:39], -v[38:39], v[50:51], v[78:79]
	v_fma_f64 v[22:23], -v[22:23], v[50:51], v[82:83]
	v_add_u32_e32 v14, 0x380, v14
	s_waitcnt vmcnt(7)
	v_fmac_f64_e32 v[24:25], v[58:59], v[66:67]
	v_fmac_f64_e32 v[30:31], v[60:61], v[66:67]
	v_fma_f64 v[24:25], -v[60:61], v[68:69], v[24:25]
	v_fmac_f64_e32 v[30:31], v[58:59], v[68:69]
	s_waitcnt vmcnt(6)
	v_fmac_f64_e32 v[38:39], v[40:41], v[66:67]
	v_fmac_f64_e32 v[32:33], v[42:43], v[66:67]
	v_fma_f64 v[38:39], -v[42:43], v[68:69], v[38:39]
	v_fmac_f64_e32 v[32:33], v[40:41], v[68:69]
	s_waitcnt vmcnt(5)
	v_fmac_f64_e32 v[36:37], v[44:45], v[66:67]
	v_fmac_f64_e32 v[28:29], v[46:47], v[66:67]
	s_waitcnt vmcnt(4)
	v_fmac_f64_e32 v[22:23], v[62:63], v[66:67]
	v_fmac_f64_e32 v[0:1], v[64:65], v[66:67]
	v_fma_f64 v[46:47], -v[46:47], v[68:69], v[36:37]
	v_fmac_f64_e32 v[28:29], v[44:45], v[68:69]
	v_fma_f64 v[22:23], -v[64:65], v[68:69], v[22:23]
	v_fmac_f64_e32 v[0:1], v[62:63], v[68:69]
	s_waitcnt vmcnt(2)
	v_fmac_f64_e32 v[24:25], v[70:71], v[74:75]
	v_fmac_f64_e32 v[30:31], v[72:73], v[74:75]
	;; [unrolled: 1-line block ×4, first 2 shown]
	v_fma_f64 v[42:43], -v[72:73], v[76:77], v[24:25]
	v_fmac_f64_e32 v[30:31], v[70:71], v[76:77]
	v_fma_f64 v[36:37], -v[12:13], v[76:77], v[22:23]
	v_fmac_f64_e32 v[0:1], v[10:11], v[76:77]
	s_waitcnt vmcnt(1)
	v_fmac_f64_e32 v[38:39], v[54:55], v[74:75]
	v_fmac_f64_e32 v[32:33], v[56:57], v[74:75]
	v_fma_f64 v[40:41], -v[56:57], v[76:77], v[38:39]
	v_fmac_f64_e32 v[32:33], v[54:55], v[76:77]
	s_waitcnt vmcnt(0)
	v_fmac_f64_e32 v[46:47], v[18:19], v[74:75]
	v_fmac_f64_e32 v[28:29], v[20:21], v[74:75]
	v_fma_f64 v[38:39], -v[20:21], v[76:77], v[46:47]
	v_fmac_f64_e32 v[28:29], v[18:19], v[76:77]
	s_andn2_b64 exec, exec, s[2:3]
	s_cbranch_execnz .LBB139_13
; %bb.14:
	s_or_b64 exec, exec, s[2:3]
.LBB139_15:
	s_or_b64 exec, exec, s[4:5]
.LBB139_16:
	v_mov_b32_dpp v14, v30 row_shr:1 row_mask:0xf bank_mask:0xf
	v_mov_b32_dpp v15, v31 row_shr:1 row_mask:0xf bank_mask:0xf
	v_add_f64 v[14:15], v[30:31], v[14:15]
	v_mov_b32_dpp v10, v42 row_shr:1 row_mask:0xf bank_mask:0xf
	v_mov_b32_dpp v11, v43 row_shr:1 row_mask:0xf bank_mask:0xf
	;; [unrolled: 1-line block ×4, first 2 shown]
	v_add_f64 v[14:15], v[14:15], v[16:17]
	v_add_f64 v[10:11], v[42:43], v[10:11]
	v_cmp_eq_u32_e32 vcc, 31, v27
	v_mov_b32_dpp v16, v14 row_shr:4 row_mask:0xf bank_mask:0xe
	v_mov_b32_dpp v17, v15 row_shr:4 row_mask:0xf bank_mask:0xe
	v_add_f64 v[14:15], v[14:15], v[16:17]
	v_mov_b32_dpp v12, v10 row_shr:2 row_mask:0xf bank_mask:0xf
	v_mov_b32_dpp v13, v11 row_shr:2 row_mask:0xf bank_mask:0xf
	;; [unrolled: 1-line block ×4, first 2 shown]
	v_add_f64 v[14:15], v[14:15], v[16:17]
	v_mov_b32_dpp v16, v40 row_shr:1 row_mask:0xf bank_mask:0xf
	v_mov_b32_dpp v17, v41 row_shr:1 row_mask:0xf bank_mask:0xf
	v_add_f64 v[16:17], v[40:41], v[16:17]
	v_add_f64 v[10:11], v[10:11], v[12:13]
	v_mov_b32_dpp v18, v14 row_bcast:15 row_mask:0xa bank_mask:0xf
	v_mov_b32_dpp v20, v16 row_shr:2 row_mask:0xf bank_mask:0xf
	v_mov_b32_dpp v21, v17 row_shr:2 row_mask:0xf bank_mask:0xf
	v_add_f64 v[16:17], v[16:17], v[20:21]
	v_mov_b32_dpp v12, v10 row_shr:4 row_mask:0xf bank_mask:0xe
	v_mov_b32_dpp v13, v11 row_shr:4 row_mask:0xf bank_mask:0xe
	;; [unrolled: 1-line block ×4, first 2 shown]
	v_add_f64 v[16:17], v[16:17], v[20:21]
	v_add_f64 v[10:11], v[10:11], v[12:13]
	v_mov_b32_dpp v19, v15 row_bcast:15 row_mask:0xa bank_mask:0xf
	v_mov_b32_dpp v20, v16 row_shr:8 row_mask:0xf bank_mask:0xc
	v_mov_b32_dpp v21, v17 row_shr:8 row_mask:0xf bank_mask:0xc
	v_add_f64 v[20:21], v[16:17], v[20:21]
	v_mov_b32_dpp v16, v32 row_shr:1 row_mask:0xf bank_mask:0xf
	v_mov_b32_dpp v17, v33 row_shr:1 row_mask:0xf bank_mask:0xf
	v_add_f64 v[16:17], v[32:33], v[16:17]
	v_mov_b32_dpp v12, v10 row_shr:8 row_mask:0xf bank_mask:0xc
	v_mov_b32_dpp v13, v11 row_shr:8 row_mask:0xf bank_mask:0xc
	;; [unrolled: 1-line block ×4, first 2 shown]
	v_add_f64 v[16:17], v[16:17], v[24:25]
	v_add_f64 v[10:11], v[10:11], v[12:13]
	v_mov_b32_dpp v22, v20 row_bcast:15 row_mask:0xa bank_mask:0xf
	v_mov_b32_dpp v24, v16 row_shr:4 row_mask:0xf bank_mask:0xe
	v_mov_b32_dpp v25, v17 row_shr:4 row_mask:0xf bank_mask:0xe
	v_add_f64 v[16:17], v[16:17], v[24:25]
	v_mov_b32_dpp v12, v10 row_bcast:15 row_mask:0xa bank_mask:0xf
	v_mov_b32_dpp v13, v11 row_bcast:15 row_mask:0xa bank_mask:0xf
	v_mov_b32_dpp v24, v16 row_shr:8 row_mask:0xf bank_mask:0xc
	v_mov_b32_dpp v25, v17 row_shr:8 row_mask:0xf bank_mask:0xc
	v_add_f64 v[24:25], v[16:17], v[24:25]
	v_mov_b32_dpp v16, v38 row_shr:1 row_mask:0xf bank_mask:0xf
	v_mov_b32_dpp v17, v39 row_shr:1 row_mask:0xf bank_mask:0xf
	v_add_f64 v[16:17], v[38:39], v[16:17]
	v_mov_b32_dpp v23, v21 row_bcast:15 row_mask:0xa bank_mask:0xf
	v_mov_b32_dpp v30, v24 row_bcast:15 row_mask:0xa bank_mask:0xf
	v_mov_b32_dpp v32, v16 row_shr:2 row_mask:0xf bank_mask:0xf
	v_mov_b32_dpp v33, v17 row_shr:2 row_mask:0xf bank_mask:0xf
	v_add_f64 v[16:17], v[16:17], v[32:33]
	v_mov_b32_dpp v31, v25 row_bcast:15 row_mask:0xa bank_mask:0xf
	s_nop 0
	v_mov_b32_dpp v32, v16 row_shr:4 row_mask:0xf bank_mask:0xe
	v_mov_b32_dpp v33, v17 row_shr:4 row_mask:0xf bank_mask:0xe
	v_add_f64 v[16:17], v[16:17], v[32:33]
	s_nop 1
	v_mov_b32_dpp v32, v16 row_shr:8 row_mask:0xf bank_mask:0xc
	v_mov_b32_dpp v33, v17 row_shr:8 row_mask:0xf bank_mask:0xc
	v_add_f64 v[32:33], v[16:17], v[32:33]
	v_mov_b32_dpp v16, v28 row_shr:1 row_mask:0xf bank_mask:0xf
	v_mov_b32_dpp v17, v29 row_shr:1 row_mask:0xf bank_mask:0xf
	v_add_f64 v[16:17], v[28:29], v[16:17]
	v_mov_b32_dpp v34, v32 row_bcast:15 row_mask:0xa bank_mask:0xf
	v_mov_b32_dpp v35, v33 row_bcast:15 row_mask:0xa bank_mask:0xf
	v_mov_b32_dpp v28, v16 row_shr:2 row_mask:0xf bank_mask:0xf
	v_mov_b32_dpp v29, v17 row_shr:2 row_mask:0xf bank_mask:0xf
	v_add_f64 v[16:17], v[16:17], v[28:29]
	s_nop 1
	v_mov_b32_dpp v28, v16 row_shr:4 row_mask:0xf bank_mask:0xe
	v_mov_b32_dpp v29, v17 row_shr:4 row_mask:0xf bank_mask:0xe
	v_add_f64 v[16:17], v[16:17], v[28:29]
	s_nop 1
	v_mov_b32_dpp v28, v16 row_shr:8 row_mask:0xf bank_mask:0xc
	v_mov_b32_dpp v29, v17 row_shr:8 row_mask:0xf bank_mask:0xc
	v_add_f64 v[38:39], v[16:17], v[28:29]
	v_mov_b32_dpp v16, v36 row_shr:1 row_mask:0xf bank_mask:0xf
	v_mov_b32_dpp v17, v37 row_shr:1 row_mask:0xf bank_mask:0xf
	v_add_f64 v[16:17], v[36:37], v[16:17]
	v_mov_b32_dpp v40, v38 row_bcast:15 row_mask:0xa bank_mask:0xf
	v_mov_b32_dpp v41, v39 row_bcast:15 row_mask:0xa bank_mask:0xf
	v_mov_b32_dpp v28, v16 row_shr:2 row_mask:0xf bank_mask:0xf
	v_mov_b32_dpp v29, v17 row_shr:2 row_mask:0xf bank_mask:0xf
	v_add_f64 v[16:17], v[16:17], v[28:29]
	;; [unrolled: 16-line block ×3, first 2 shown]
	s_nop 1
	v_mov_b32_dpp v16, v0 row_shr:4 row_mask:0xf bank_mask:0xe
	v_mov_b32_dpp v17, v1 row_shr:4 row_mask:0xf bank_mask:0xe
	v_add_f64 v[0:1], v[0:1], v[16:17]
	s_nop 1
	v_mov_b32_dpp v16, v0 row_shr:8 row_mask:0xf bank_mask:0xc
	v_mov_b32_dpp v17, v1 row_shr:8 row_mask:0xf bank_mask:0xc
	v_add_f64 v[44:45], v[0:1], v[16:17]
	s_nop 1
	v_mov_b32_dpp v46, v44 row_bcast:15 row_mask:0xa bank_mask:0xf
	v_mov_b32_dpp v47, v45 row_bcast:15 row_mask:0xa bank_mask:0xf
	s_and_b64 exec, exec, vcc
	s_cbranch_execz .LBB139_21
; %bb.17:
	s_load_dwordx2 s[2:3], s[0:1], 0x48
	v_cmp_eq_f64_e32 vcc, 0, v[6:7]
	v_cmp_eq_f64_e64 s[0:1], 0, v[8:9]
	v_add_f64 v[16:17], v[10:11], v[12:13]
	v_add_f64 v[28:29], v[14:15], v[18:19]
	v_add_f64 v[12:13], v[20:21], v[22:23]
	v_add_f64 v[20:21], v[24:25], v[30:31]
	v_add_f64 v[10:11], v[32:33], v[34:35]
	v_add_f64 v[18:19], v[38:39], v[40:41]
	v_add_f64 v[0:1], v[36:37], v[42:43]
	v_add_f64 v[14:15], v[44:45], v[46:47]
	s_and_b64 s[0:1], vcc, s[0:1]
	s_and_saveexec_b64 s[4:5], s[0:1]
	s_xor_b64 s[0:1], exec, s[4:5]
	s_cbranch_execz .LBB139_19
; %bb.18:
	v_mul_f64 v[6:7], v[28:29], -v[4:5]
	v_mul_f64 v[8:9], v[2:3], v[28:29]
	v_fmac_f64_e32 v[6:7], v[2:3], v[16:17]
	v_fmac_f64_e32 v[8:9], v[4:5], v[16:17]
	v_lshlrev_b32_e32 v16, 2, v26
	v_ashrrev_i32_e32 v17, 31, v16
	s_waitcnt lgkmcnt(0)
	v_lshl_add_u64 v[16:17], v[16:17], 4, s[2:3]
	global_store_dwordx4 v[16:17], v[6:9], off
                                        ; implicit-def: $vgpr26
                                        ; implicit-def: $vgpr28_vgpr29
	s_nop 1
	v_mul_f64 v[6:7], v[20:21], -v[4:5]
	v_mul_f64 v[8:9], v[2:3], v[20:21]
	v_fmac_f64_e32 v[6:7], v[2:3], v[12:13]
	v_fmac_f64_e32 v[8:9], v[4:5], v[12:13]
	global_store_dwordx4 v[16:17], v[6:9], off offset:16
                                        ; implicit-def: $vgpr12_vgpr13
                                        ; implicit-def: $vgpr20_vgpr21
	s_nop 1
	v_mul_f64 v[6:7], v[18:19], -v[4:5]
	v_mul_f64 v[8:9], v[2:3], v[18:19]
	v_fmac_f64_e32 v[6:7], v[2:3], v[10:11]
	v_fmac_f64_e32 v[8:9], v[4:5], v[10:11]
	global_store_dwordx4 v[16:17], v[6:9], off offset:32
                                        ; implicit-def: $vgpr10_vgpr11
                                        ; implicit-def: $vgpr18_vgpr19
	s_nop 1
	v_mul_f64 v[6:7], v[14:15], -v[4:5]
	v_mul_f64 v[8:9], v[2:3], v[14:15]
	v_fmac_f64_e32 v[6:7], v[2:3], v[0:1]
	v_fmac_f64_e32 v[8:9], v[4:5], v[0:1]
	global_store_dwordx4 v[16:17], v[6:9], off offset:48
                                        ; implicit-def: $vgpr16_vgpr17
                                        ; implicit-def: $vgpr0_vgpr1
                                        ; implicit-def: $vgpr14_vgpr15
                                        ; implicit-def: $vgpr8_vgpr9
                                        ; implicit-def: $vgpr4_vgpr5
.LBB139_19:
	s_andn2_saveexec_b64 s[0:1], s[0:1]
	s_cbranch_execz .LBB139_21
; %bb.20:
	v_lshlrev_b32_e32 v22, 2, v26
	v_ashrrev_i32_e32 v23, 31, v22
	s_waitcnt lgkmcnt(0)
	v_lshl_add_u64 v[46:47], v[22:23], 4, s[2:3]
	global_load_dwordx4 v[22:25], v[46:47], off
	global_load_dwordx4 v[30:33], v[46:47], off offset:16
	global_load_dwordx4 v[34:37], v[46:47], off offset:32
	;; [unrolled: 1-line block ×3, first 2 shown]
	v_mul_f64 v[26:27], v[28:29], -v[4:5]
	v_mul_f64 v[28:29], v[2:3], v[28:29]
	v_mul_f64 v[42:43], v[20:21], -v[4:5]
	v_mul_f64 v[20:21], v[2:3], v[20:21]
	;; [unrolled: 2-line block ×4, first 2 shown]
	v_fmac_f64_e32 v[26:27], v[2:3], v[16:17]
	v_fmac_f64_e32 v[28:29], v[4:5], v[16:17]
	;; [unrolled: 1-line block ×8, first 2 shown]
	s_waitcnt vmcnt(3)
	v_fmac_f64_e32 v[26:27], v[6:7], v[22:23]
	v_fmac_f64_e32 v[28:29], v[8:9], v[22:23]
	s_waitcnt vmcnt(2)
	v_fmac_f64_e32 v[42:43], v[6:7], v[30:31]
	v_fmac_f64_e32 v[20:21], v[8:9], v[30:31]
	;; [unrolled: 3-line block ×4, first 2 shown]
	v_fma_f64 v[26:27], -v[8:9], v[24:25], v[26:27]
	v_fmac_f64_e32 v[28:29], v[6:7], v[24:25]
	v_fma_f64 v[18:19], -v[8:9], v[32:33], v[42:43]
	v_fmac_f64_e32 v[20:21], v[6:7], v[32:33]
	;; [unrolled: 2-line block ×4, first 2 shown]
	global_store_dwordx4 v[46:47], v[26:29], off
	global_store_dwordx4 v[46:47], v[18:21], off offset:16
	global_store_dwordx4 v[46:47], v[42:45], off offset:32
	;; [unrolled: 1-line block ×3, first 2 shown]
.LBB139_21:
	s_endpgm
	.section	.rodata,"a",@progbits
	.p2align	6, 0x0
	.amdhsa_kernel _ZN9rocsparseL19gebsrmvn_4xn_kernelILj128ELj7ELj32E21rocsparse_complex_numIdEEEvi20rocsparse_direction_NS_24const_host_device_scalarIT2_EEPKiS8_PKS5_SA_S6_PS5_21rocsparse_index_base_b
		.amdhsa_group_segment_fixed_size 0
		.amdhsa_private_segment_fixed_size 0
		.amdhsa_kernarg_size 88
		.amdhsa_user_sgpr_count 2
		.amdhsa_user_sgpr_dispatch_ptr 0
		.amdhsa_user_sgpr_queue_ptr 0
		.amdhsa_user_sgpr_kernarg_segment_ptr 1
		.amdhsa_user_sgpr_dispatch_id 0
		.amdhsa_user_sgpr_kernarg_preload_length 0
		.amdhsa_user_sgpr_kernarg_preload_offset 0
		.amdhsa_user_sgpr_private_segment_size 0
		.amdhsa_uses_dynamic_stack 0
		.amdhsa_enable_private_segment 0
		.amdhsa_system_sgpr_workgroup_id_x 1
		.amdhsa_system_sgpr_workgroup_id_y 0
		.amdhsa_system_sgpr_workgroup_id_z 0
		.amdhsa_system_sgpr_workgroup_info 0
		.amdhsa_system_vgpr_workitem_id 0
		.amdhsa_next_free_vgpr 92
		.amdhsa_next_free_sgpr 16
		.amdhsa_accum_offset 92
		.amdhsa_reserve_vcc 1
		.amdhsa_float_round_mode_32 0
		.amdhsa_float_round_mode_16_64 0
		.amdhsa_float_denorm_mode_32 3
		.amdhsa_float_denorm_mode_16_64 3
		.amdhsa_dx10_clamp 1
		.amdhsa_ieee_mode 1
		.amdhsa_fp16_overflow 0
		.amdhsa_tg_split 0
		.amdhsa_exception_fp_ieee_invalid_op 0
		.amdhsa_exception_fp_denorm_src 0
		.amdhsa_exception_fp_ieee_div_zero 0
		.amdhsa_exception_fp_ieee_overflow 0
		.amdhsa_exception_fp_ieee_underflow 0
		.amdhsa_exception_fp_ieee_inexact 0
		.amdhsa_exception_int_div_zero 0
	.end_amdhsa_kernel
	.section	.text._ZN9rocsparseL19gebsrmvn_4xn_kernelILj128ELj7ELj32E21rocsparse_complex_numIdEEEvi20rocsparse_direction_NS_24const_host_device_scalarIT2_EEPKiS8_PKS5_SA_S6_PS5_21rocsparse_index_base_b,"axG",@progbits,_ZN9rocsparseL19gebsrmvn_4xn_kernelILj128ELj7ELj32E21rocsparse_complex_numIdEEEvi20rocsparse_direction_NS_24const_host_device_scalarIT2_EEPKiS8_PKS5_SA_S6_PS5_21rocsparse_index_base_b,comdat
.Lfunc_end139:
	.size	_ZN9rocsparseL19gebsrmvn_4xn_kernelILj128ELj7ELj32E21rocsparse_complex_numIdEEEvi20rocsparse_direction_NS_24const_host_device_scalarIT2_EEPKiS8_PKS5_SA_S6_PS5_21rocsparse_index_base_b, .Lfunc_end139-_ZN9rocsparseL19gebsrmvn_4xn_kernelILj128ELj7ELj32E21rocsparse_complex_numIdEEEvi20rocsparse_direction_NS_24const_host_device_scalarIT2_EEPKiS8_PKS5_SA_S6_PS5_21rocsparse_index_base_b
                                        ; -- End function
	.set _ZN9rocsparseL19gebsrmvn_4xn_kernelILj128ELj7ELj32E21rocsparse_complex_numIdEEEvi20rocsparse_direction_NS_24const_host_device_scalarIT2_EEPKiS8_PKS5_SA_S6_PS5_21rocsparse_index_base_b.num_vgpr, 92
	.set _ZN9rocsparseL19gebsrmvn_4xn_kernelILj128ELj7ELj32E21rocsparse_complex_numIdEEEvi20rocsparse_direction_NS_24const_host_device_scalarIT2_EEPKiS8_PKS5_SA_S6_PS5_21rocsparse_index_base_b.num_agpr, 0
	.set _ZN9rocsparseL19gebsrmvn_4xn_kernelILj128ELj7ELj32E21rocsparse_complex_numIdEEEvi20rocsparse_direction_NS_24const_host_device_scalarIT2_EEPKiS8_PKS5_SA_S6_PS5_21rocsparse_index_base_b.numbered_sgpr, 16
	.set _ZN9rocsparseL19gebsrmvn_4xn_kernelILj128ELj7ELj32E21rocsparse_complex_numIdEEEvi20rocsparse_direction_NS_24const_host_device_scalarIT2_EEPKiS8_PKS5_SA_S6_PS5_21rocsparse_index_base_b.num_named_barrier, 0
	.set _ZN9rocsparseL19gebsrmvn_4xn_kernelILj128ELj7ELj32E21rocsparse_complex_numIdEEEvi20rocsparse_direction_NS_24const_host_device_scalarIT2_EEPKiS8_PKS5_SA_S6_PS5_21rocsparse_index_base_b.private_seg_size, 0
	.set _ZN9rocsparseL19gebsrmvn_4xn_kernelILj128ELj7ELj32E21rocsparse_complex_numIdEEEvi20rocsparse_direction_NS_24const_host_device_scalarIT2_EEPKiS8_PKS5_SA_S6_PS5_21rocsparse_index_base_b.uses_vcc, 1
	.set _ZN9rocsparseL19gebsrmvn_4xn_kernelILj128ELj7ELj32E21rocsparse_complex_numIdEEEvi20rocsparse_direction_NS_24const_host_device_scalarIT2_EEPKiS8_PKS5_SA_S6_PS5_21rocsparse_index_base_b.uses_flat_scratch, 0
	.set _ZN9rocsparseL19gebsrmvn_4xn_kernelILj128ELj7ELj32E21rocsparse_complex_numIdEEEvi20rocsparse_direction_NS_24const_host_device_scalarIT2_EEPKiS8_PKS5_SA_S6_PS5_21rocsparse_index_base_b.has_dyn_sized_stack, 0
	.set _ZN9rocsparseL19gebsrmvn_4xn_kernelILj128ELj7ELj32E21rocsparse_complex_numIdEEEvi20rocsparse_direction_NS_24const_host_device_scalarIT2_EEPKiS8_PKS5_SA_S6_PS5_21rocsparse_index_base_b.has_recursion, 0
	.set _ZN9rocsparseL19gebsrmvn_4xn_kernelILj128ELj7ELj32E21rocsparse_complex_numIdEEEvi20rocsparse_direction_NS_24const_host_device_scalarIT2_EEPKiS8_PKS5_SA_S6_PS5_21rocsparse_index_base_b.has_indirect_call, 0
	.section	.AMDGPU.csdata,"",@progbits
; Kernel info:
; codeLenInByte = 4452
; TotalNumSgprs: 22
; NumVgprs: 92
; NumAgprs: 0
; TotalNumVgprs: 92
; ScratchSize: 0
; MemoryBound: 0
; FloatMode: 240
; IeeeMode: 1
; LDSByteSize: 0 bytes/workgroup (compile time only)
; SGPRBlocks: 2
; VGPRBlocks: 11
; NumSGPRsForWavesPerEU: 22
; NumVGPRsForWavesPerEU: 92
; AccumOffset: 92
; Occupancy: 5
; WaveLimiterHint : 1
; COMPUTE_PGM_RSRC2:SCRATCH_EN: 0
; COMPUTE_PGM_RSRC2:USER_SGPR: 2
; COMPUTE_PGM_RSRC2:TRAP_HANDLER: 0
; COMPUTE_PGM_RSRC2:TGID_X_EN: 1
; COMPUTE_PGM_RSRC2:TGID_Y_EN: 0
; COMPUTE_PGM_RSRC2:TGID_Z_EN: 0
; COMPUTE_PGM_RSRC2:TIDIG_COMP_CNT: 0
; COMPUTE_PGM_RSRC3_GFX90A:ACCUM_OFFSET: 22
; COMPUTE_PGM_RSRC3_GFX90A:TG_SPLIT: 0
	.section	.text._ZN9rocsparseL19gebsrmvn_4xn_kernelILj128ELj7ELj64E21rocsparse_complex_numIdEEEvi20rocsparse_direction_NS_24const_host_device_scalarIT2_EEPKiS8_PKS5_SA_S6_PS5_21rocsparse_index_base_b,"axG",@progbits,_ZN9rocsparseL19gebsrmvn_4xn_kernelILj128ELj7ELj64E21rocsparse_complex_numIdEEEvi20rocsparse_direction_NS_24const_host_device_scalarIT2_EEPKiS8_PKS5_SA_S6_PS5_21rocsparse_index_base_b,comdat
	.globl	_ZN9rocsparseL19gebsrmvn_4xn_kernelILj128ELj7ELj64E21rocsparse_complex_numIdEEEvi20rocsparse_direction_NS_24const_host_device_scalarIT2_EEPKiS8_PKS5_SA_S6_PS5_21rocsparse_index_base_b ; -- Begin function _ZN9rocsparseL19gebsrmvn_4xn_kernelILj128ELj7ELj64E21rocsparse_complex_numIdEEEvi20rocsparse_direction_NS_24const_host_device_scalarIT2_EEPKiS8_PKS5_SA_S6_PS5_21rocsparse_index_base_b
	.p2align	8
	.type	_ZN9rocsparseL19gebsrmvn_4xn_kernelILj128ELj7ELj64E21rocsparse_complex_numIdEEEvi20rocsparse_direction_NS_24const_host_device_scalarIT2_EEPKiS8_PKS5_SA_S6_PS5_21rocsparse_index_base_b,@function
_ZN9rocsparseL19gebsrmvn_4xn_kernelILj128ELj7ELj64E21rocsparse_complex_numIdEEEvi20rocsparse_direction_NS_24const_host_device_scalarIT2_EEPKiS8_PKS5_SA_S6_PS5_21rocsparse_index_base_b: ; @_ZN9rocsparseL19gebsrmvn_4xn_kernelILj128ELj7ELj64E21rocsparse_complex_numIdEEEvi20rocsparse_direction_NS_24const_host_device_scalarIT2_EEPKiS8_PKS5_SA_S6_PS5_21rocsparse_index_base_b
; %bb.0:
	s_load_dwordx2 s[4:5], s[0:1], 0x8
	s_load_dwordx2 s[6:7], s[0:1], 0x38
	;; [unrolled: 1-line block ×3, first 2 shown]
	s_add_u32 s3, s0, 8
	s_addc_u32 s8, s1, 0
	s_add_u32 s9, s0, 56
	s_addc_u32 s10, s1, 0
	s_waitcnt lgkmcnt(0)
	s_bitcmp1_b32 s13, 0
	s_cselect_b32 s5, s8, s5
	s_cselect_b32 s3, s3, s4
	v_mov_b32_e32 v2, s3
	v_mov_b32_e32 v3, s5
	flat_load_dwordx4 v[2:5], v[2:3]
	s_cselect_b32 s3, s10, s7
	s_cselect_b32 s4, s9, s6
	v_mov_b32_e32 v6, s4
	v_mov_b32_e32 v7, s3
	flat_load_dwordx4 v[6:9], v[6:7]
	s_waitcnt vmcnt(0) lgkmcnt(0)
	v_cmp_eq_f64_e32 vcc, 0, v[2:3]
	v_cmp_eq_f64_e64 s[4:5], 0, v[4:5]
	s_and_b64 s[8:9], vcc, s[4:5]
	s_mov_b64 s[4:5], -1
	s_and_saveexec_b64 s[6:7], s[8:9]
; %bb.1:
	v_cmp_neq_f64_e32 vcc, 1.0, v[6:7]
	v_cmp_neq_f64_e64 s[4:5], 0, v[8:9]
	s_or_b64 s[4:5], vcc, s[4:5]
	s_orn2_b64 s[4:5], s[4:5], exec
; %bb.2:
	s_or_b64 exec, exec, s[6:7]
	s_and_saveexec_b64 s[6:7], s[4:5]
	s_cbranch_execz .LBB140_21
; %bb.3:
	s_load_dwordx2 s[14:15], s[0:1], 0x0
	v_lshrrev_b32_e32 v1, 6, v0
	v_lshl_or_b32 v26, s2, 1, v1
	s_waitcnt lgkmcnt(0)
	v_cmp_gt_i32_e32 vcc, s14, v26
	s_and_b64 exec, exec, vcc
	s_cbranch_execz .LBB140_21
; %bb.4:
	s_load_dwordx8 s[4:11], s[0:1], 0x18
	v_ashrrev_i32_e32 v27, 31, v26
	s_cmp_lg_u32 s15, 0
	s_waitcnt lgkmcnt(0)
	v_lshl_add_u64 v[10:11], v[26:27], 2, s[4:5]
	global_load_dwordx2 v[10:11], v[10:11], off
	v_and_b32_e32 v27, 63, v0
	s_waitcnt vmcnt(0)
	v_subrev_u32_e32 v0, s12, v10
	v_subrev_u32_e32 v52, s12, v11
	v_add_u32_e32 v34, v0, v27
	v_cmp_lt_i32_e64 s[2:3], v34, v52
	s_cbranch_scc0 .LBB140_10
; %bb.5:
	v_mov_b64_e32 v[32:33], 0
	v_mov_b64_e32 v[42:43], 0
	;; [unrolled: 1-line block ×8, first 2 shown]
	s_and_saveexec_b64 s[4:5], s[2:3]
	s_cbranch_execz .LBB140_9
; %bb.6:
	v_mad_u64_u32 v[44:45], s[14:15], v34, 28, 24
	v_mov_b64_e32 v[32:33], 0
	s_mov_b64 s[14:15], 0
	v_mov_b32_e32 v47, 0
	v_mov_b32_e32 v48, v34
	v_mov_b64_e32 v[42:43], 0
	v_mov_b64_e32 v[36:37], 0
	;; [unrolled: 1-line block ×7, first 2 shown]
.LBB140_7:                              ; =>This Inner Loop Header: Depth=1
	v_ashrrev_i32_e32 v49, 31, v48
	v_subrev_u32_e32 v46, 24, v44
	v_lshl_add_u64 v[10:11], v[48:49], 2, s[6:7]
	v_lshl_add_u64 v[12:13], v[46:47], 4, s[8:9]
	global_load_dword v35, v[10:11], off
	global_load_dwordx4 v[54:57], v[12:13], off offset:48
	global_load_dwordx4 v[58:61], v[12:13], off offset:32
	;; [unrolled: 1-line block ×3, first 2 shown]
	global_load_dwordx4 v[66:69], v[12:13], off
	v_mov_b32_e32 v45, v47
	v_mov_b32_e32 v51, v47
	v_subrev_u32_e32 v46, 20, v44
	v_lshl_add_u64 v[82:83], v[44:45], 4, s[8:9]
	v_lshl_add_u64 v[86:87], v[46:47], 4, s[8:9]
	global_load_dwordx4 v[10:13], v[82:83], off offset:48
	global_load_dwordx4 v[14:17], v[82:83], off offset:32
	;; [unrolled: 1-line block ×3, first 2 shown]
	global_load_dwordx4 v[22:25], v[82:83], off
	global_load_dwordx4 v[70:73], v[86:87], off offset:48
	global_load_dwordx4 v[74:77], v[86:87], off offset:32
	;; [unrolled: 1-line block ×3, first 2 shown]
	v_add_u32_e32 v48, 64, v48
	v_cmp_ge_i32_e32 vcc, v48, v52
	s_or_b64 s[14:15], vcc, s[14:15]
	s_waitcnt vmcnt(11)
	v_subrev_u32_e32 v35, s12, v35
	v_mul_lo_u32 v50, v35, 7
	v_lshl_add_u64 v[82:83], v[50:51], 4, s[10:11]
	global_load_dwordx4 v[82:85], v[82:83], off
	v_add_u32_e32 v46, 1, v50
	s_waitcnt vmcnt(0)
	v_fmac_f64_e32 v[42:43], v[66:67], v[82:83]
	v_fma_f64 v[88:89], -v[68:69], v[84:85], v[42:43]
	v_lshl_add_u64 v[42:43], v[46:47], 4, s[10:11]
	v_add_u32_e32 v46, -16, v44
	v_fmac_f64_e32 v[30:31], v[64:65], v[82:83]
	v_fmac_f64_e32 v[32:33], v[68:69], v[82:83]
	;; [unrolled: 1-line block ×4, first 2 shown]
	v_lshl_add_u64 v[62:63], v[46:47], 4, s[8:9]
	v_fmac_f64_e32 v[38:39], v[58:59], v[82:83]
	v_fmac_f64_e32 v[28:29], v[60:61], v[82:83]
	;; [unrolled: 1-line block ×3, first 2 shown]
	global_load_dwordx4 v[66:69], v[86:87], off
	v_fma_f64 v[90:91], -v[60:61], v[84:85], v[38:39]
	v_fmac_f64_e32 v[28:29], v[58:59], v[84:85]
	global_load_dwordx4 v[58:61], v[62:63], off offset:48
	v_fma_f64 v[86:87], -v[64:65], v[84:85], v[40:41]
	global_load_dwordx4 v[40:43], v[42:43], off
	v_add_u32_e32 v46, 2, v50
	v_fmac_f64_e32 v[36:37], v[54:55], v[82:83]
	v_fmac_f64_e32 v[0:1], v[56:57], v[82:83]
	v_fma_f64 v[82:83], -v[56:57], v[84:85], v[36:37]
	v_fmac_f64_e32 v[0:1], v[54:55], v[84:85]
	global_load_dwordx4 v[36:39], v[62:63], off offset:32
	global_load_dwordx4 v[54:57], v[62:63], off offset:16
	s_waitcnt vmcnt(2)
	v_fmac_f64_e32 v[32:33], v[68:69], v[40:41]
	v_fmac_f64_e32 v[88:89], v[66:67], v[40:41]
	;; [unrolled: 1-line block ×3, first 2 shown]
	v_lshl_add_u64 v[66:67], v[46:47], 4, s[10:11]
	v_fma_f64 v[84:85], -v[68:69], v[42:43], v[88:89]
	global_load_dwordx4 v[62:65], v[62:63], off
	v_add_u32_e32 v46, -12, v44
	global_load_dwordx4 v[66:69], v[66:67], off
	v_fmac_f64_e32 v[86:87], v[78:79], v[40:41]
	v_fmac_f64_e32 v[30:31], v[80:81], v[40:41]
	v_fma_f64 v[80:81], -v[80:81], v[42:43], v[86:87]
	v_fmac_f64_e32 v[30:31], v[78:79], v[42:43]
	v_lshl_add_u64 v[78:79], v[46:47], 4, s[8:9]
	v_add_u32_e32 v46, 3, v50
	v_fmac_f64_e32 v[90:91], v[74:75], v[40:41]
	v_fmac_f64_e32 v[28:29], v[76:77], v[40:41]
	;; [unrolled: 1-line block ×4, first 2 shown]
	v_fma_f64 v[86:87], -v[76:77], v[42:43], v[90:91]
	v_fmac_f64_e32 v[28:29], v[74:75], v[42:43]
	global_load_dwordx4 v[74:77], v[78:79], off offset:48
	v_fma_f64 v[82:83], -v[72:73], v[42:43], v[82:83]
	v_fmac_f64_e32 v[0:1], v[70:71], v[42:43]
	global_load_dwordx4 v[40:43], v[78:79], off offset:32
	global_load_dwordx4 v[70:73], v[78:79], off offset:16
	s_waitcnt vmcnt(3)
	v_fmac_f64_e32 v[84:85], v[62:63], v[66:67]
	v_fmac_f64_e32 v[32:33], v[64:65], v[66:67]
	v_fma_f64 v[84:85], -v[64:65], v[68:69], v[84:85]
	v_fmac_f64_e32 v[32:33], v[62:63], v[68:69]
	global_load_dwordx4 v[62:65], v[78:79], off
	v_lshl_add_u64 v[78:79], v[46:47], 4, s[10:11]
	v_fmac_f64_e32 v[80:81], v[54:55], v[66:67]
	v_fmac_f64_e32 v[30:31], v[56:57], v[66:67]
	v_fma_f64 v[80:81], -v[56:57], v[68:69], v[80:81]
	v_fmac_f64_e32 v[30:31], v[54:55], v[68:69]
	global_load_dwordx4 v[54:57], v[78:79], off
	v_add_u32_e32 v46, -8, v44
	v_lshl_add_u64 v[78:79], v[46:47], 4, s[8:9]
	v_add_u32_e32 v46, 4, v50
	v_fmac_f64_e32 v[86:87], v[36:37], v[66:67]
	v_fmac_f64_e32 v[28:29], v[38:39], v[66:67]
	;; [unrolled: 1-line block ×4, first 2 shown]
	v_fma_f64 v[86:87], -v[38:39], v[68:69], v[86:87]
	v_fmac_f64_e32 v[28:29], v[36:37], v[68:69]
	global_load_dwordx4 v[36:39], v[78:79], off offset:48
	v_fma_f64 v[82:83], -v[60:61], v[68:69], v[82:83]
	v_fmac_f64_e32 v[0:1], v[58:59], v[68:69]
	global_load_dwordx4 v[58:61], v[78:79], off offset:32
	global_load_dwordx4 v[66:69], v[78:79], off offset:16
	s_waitcnt vmcnt(3)
	v_fmac_f64_e32 v[84:85], v[62:63], v[54:55]
	v_fmac_f64_e32 v[32:33], v[64:65], v[54:55]
	v_fma_f64 v[84:85], -v[64:65], v[56:57], v[84:85]
	v_fmac_f64_e32 v[32:33], v[62:63], v[56:57]
	global_load_dwordx4 v[62:65], v[78:79], off
	v_lshl_add_u64 v[78:79], v[46:47], 4, s[10:11]
	v_fmac_f64_e32 v[80:81], v[70:71], v[54:55]
	v_fmac_f64_e32 v[30:31], v[72:73], v[54:55]
	v_fma_f64 v[88:89], -v[72:73], v[56:57], v[80:81]
	v_fmac_f64_e32 v[30:31], v[70:71], v[56:57]
	global_load_dwordx4 v[70:73], v[78:79], off
	v_add_u32_e32 v46, -4, v44
	v_lshl_add_u64 v[78:79], v[46:47], 4, s[8:9]
	v_add_u32_e32 v46, 5, v50
	v_fmac_f64_e32 v[86:87], v[40:41], v[54:55]
	v_fmac_f64_e32 v[28:29], v[42:43], v[54:55]
	;; [unrolled: 1-line block ×4, first 2 shown]
	v_fma_f64 v[86:87], -v[42:43], v[56:57], v[86:87]
	v_fmac_f64_e32 v[28:29], v[40:41], v[56:57]
	global_load_dwordx4 v[40:43], v[78:79], off offset:48
	v_fma_f64 v[82:83], -v[76:77], v[56:57], v[82:83]
	v_fmac_f64_e32 v[0:1], v[74:75], v[56:57]
	global_load_dwordx4 v[54:57], v[78:79], off offset:32
	global_load_dwordx4 v[74:77], v[78:79], off offset:16
	v_add_u32_e32 v44, 0x700, v44
	s_waitcnt vmcnt(3)
	v_fmac_f64_e32 v[84:85], v[62:63], v[70:71]
	v_fmac_f64_e32 v[32:33], v[64:65], v[70:71]
	v_fma_f64 v[84:85], -v[64:65], v[72:73], v[84:85]
	v_fmac_f64_e32 v[32:33], v[62:63], v[72:73]
	global_load_dwordx4 v[62:65], v[78:79], off
	v_lshl_add_u64 v[78:79], v[46:47], 4, s[10:11]
	v_add_u32_e32 v46, 6, v50
	global_load_dwordx4 v[78:81], v[78:79], off
	v_fmac_f64_e32 v[30:31], v[68:69], v[70:71]
	v_fmac_f64_e32 v[88:89], v[66:67], v[70:71]
	;; [unrolled: 1-line block ×3, first 2 shown]
	v_lshl_add_u64 v[66:67], v[46:47], 4, s[10:11]
	v_fma_f64 v[50:51], -v[68:69], v[72:73], v[88:89]
	global_load_dwordx4 v[66:69], v[66:67], off
	v_fmac_f64_e32 v[86:87], v[58:59], v[70:71]
	v_fmac_f64_e32 v[28:29], v[60:61], v[70:71]
	;; [unrolled: 1-line block ×4, first 2 shown]
	v_fma_f64 v[60:61], -v[60:61], v[72:73], v[86:87]
	v_fmac_f64_e32 v[28:29], v[58:59], v[72:73]
	v_fma_f64 v[38:39], -v[38:39], v[72:73], v[82:83]
	v_fmac_f64_e32 v[0:1], v[36:37], v[72:73]
	s_waitcnt vmcnt(1)
	v_fmac_f64_e32 v[84:85], v[62:63], v[78:79]
	v_fmac_f64_e32 v[32:33], v[64:65], v[78:79]
	;; [unrolled: 1-line block ×8, first 2 shown]
	v_fma_f64 v[36:37], -v[64:65], v[80:81], v[84:85]
	v_fmac_f64_e32 v[32:33], v[62:63], v[80:81]
	v_fma_f64 v[50:51], -v[76:77], v[80:81], v[50:51]
	v_fmac_f64_e32 v[30:31], v[74:75], v[80:81]
	;; [unrolled: 2-line block ×4, first 2 shown]
	s_waitcnt vmcnt(0)
	v_fmac_f64_e32 v[36:37], v[22:23], v[66:67]
	v_fmac_f64_e32 v[32:33], v[24:25], v[66:67]
	;; [unrolled: 1-line block ×8, first 2 shown]
	v_fma_f64 v[42:43], -v[24:25], v[68:69], v[36:37]
	v_fmac_f64_e32 v[32:33], v[22:23], v[68:69]
	v_fma_f64 v[40:41], -v[20:21], v[68:69], v[50:51]
	v_fmac_f64_e32 v[30:31], v[18:19], v[68:69]
	;; [unrolled: 2-line block ×4, first 2 shown]
	s_andn2_b64 exec, exec, s[14:15]
	s_cbranch_execnz .LBB140_7
; %bb.8:
	s_or_b64 exec, exec, s[14:15]
.LBB140_9:
	s_or_b64 exec, exec, s[4:5]
	s_cbranch_execz .LBB140_11
	s_branch .LBB140_16
.LBB140_10:
                                        ; implicit-def: $vgpr32_vgpr33
                                        ; implicit-def: $vgpr42_vgpr43
                                        ; implicit-def: $vgpr36_vgpr37
                                        ; implicit-def: $vgpr0_vgpr1
                                        ; implicit-def: $vgpr38_vgpr39
                                        ; implicit-def: $vgpr28_vgpr29
                                        ; implicit-def: $vgpr40_vgpr41
                                        ; implicit-def: $vgpr30_vgpr31
.LBB140_11:
	v_mov_b64_e32 v[32:33], 0
	v_mov_b64_e32 v[42:43], 0
	;; [unrolled: 1-line block ×8, first 2 shown]
	s_and_saveexec_b64 s[4:5], s[2:3]
	s_cbranch_execz .LBB140_15
; %bb.12:
	v_mad_u64_u32 v[14:15], s[2:3], v34, 28, 27
	v_mov_b64_e32 v[32:33], 0
	s_mov_b64 s[2:3], 0
	v_mov_b32_e32 v17, 0
	v_mov_b64_e32 v[42:43], 0
	v_mov_b64_e32 v[36:37], 0
	;; [unrolled: 1-line block ×7, first 2 shown]
.LBB140_13:                             ; =>This Inner Loop Header: Depth=1
	v_ashrrev_i32_e32 v35, 31, v34
	v_subrev_u32_e32 v16, 27, v14
	v_subrev_u32_e32 v20, 20, v14
	v_add_u32_e32 v12, -13, v14
	v_add_u32_e32 v10, -6, v14
	v_mov_b32_e32 v21, v17
	v_mov_b32_e32 v13, v17
	;; [unrolled: 1-line block ×4, first 2 shown]
	v_lshl_add_u64 v[24:25], v[34:35], 2, s[6:7]
	v_lshl_add_u64 v[70:71], v[16:17], 4, s[8:9]
	;; [unrolled: 1-line block ×6, first 2 shown]
	global_load_dword v15, v[24:25], off
	global_load_dwordx4 v[20:23], v[70:71], off offset:48
	global_load_dwordx4 v[44:47], v[70:71], off offset:32
	;; [unrolled: 1-line block ×3, first 2 shown]
	global_load_dwordx4 v[54:57], v[70:71], off
	global_load_dwordx4 v[58:61], v[72:73], off
	;; [unrolled: 1-line block ×5, first 2 shown]
	v_mov_b32_e32 v19, v17
	v_add_u32_e32 v34, 64, v34
	v_cmp_ge_i32_e32 vcc, v34, v52
	s_or_b64 s[2:3], vcc, s[2:3]
	s_waitcnt vmcnt(8)
	v_subrev_u32_e32 v15, s12, v15
	v_mul_lo_u32 v18, v15, 7
	v_lshl_add_u64 v[24:25], v[18:19], 4, s[10:11]
	global_load_dwordx4 v[70:73], v[24:25], off
	v_add_u32_e32 v16, 1, v18
	v_lshl_add_u64 v[24:25], v[16:17], 4, s[10:11]
	v_subrev_u32_e32 v16, 19, v14
	global_load_dwordx4 v[74:77], v[24:25], off
	v_lshl_add_u64 v[24:25], v[16:17], 4, s[8:9]
	v_add_u32_e32 v16, -12, v14
	s_waitcnt vmcnt(1)
	v_fmac_f64_e32 v[42:43], v[54:55], v[70:71]
	v_fmac_f64_e32 v[32:33], v[56:57], v[70:71]
	v_fma_f64 v[78:79], -v[56:57], v[72:73], v[42:43]
	v_fmac_f64_e32 v[32:33], v[54:55], v[72:73]
	global_load_dwordx4 v[54:57], v[24:25], off
	v_lshl_add_u64 v[24:25], v[16:17], 4, s[8:9]
	v_fmac_f64_e32 v[40:41], v[58:59], v[70:71]
	v_fma_f64 v[80:81], -v[60:61], v[72:73], v[40:41]
	global_load_dwordx4 v[40:43], v[24:25], off
	v_add_u32_e32 v16, -5, v14
	v_fmac_f64_e32 v[30:31], v[60:61], v[70:71]
	v_lshl_add_u64 v[24:25], v[16:17], 4, s[8:9]
	v_fmac_f64_e32 v[30:31], v[58:59], v[72:73]
	v_add_u32_e32 v16, 2, v18
	global_load_dwordx4 v[58:61], v[24:25], off
	v_fmac_f64_e32 v[38:39], v[62:63], v[70:71]
	v_lshl_add_u64 v[24:25], v[16:17], 4, s[10:11]
	v_fmac_f64_e32 v[36:37], v[66:67], v[70:71]
	v_fma_f64 v[82:83], -v[64:65], v[72:73], v[38:39]
	v_subrev_u32_e32 v16, 18, v14
	v_fmac_f64_e32 v[0:1], v[68:69], v[70:71]
	v_fma_f64 v[68:69], -v[68:69], v[72:73], v[36:37]
	global_load_dwordx4 v[36:39], v[24:25], off
	v_fmac_f64_e32 v[28:29], v[64:65], v[70:71]
	v_lshl_add_u64 v[24:25], v[16:17], 4, s[8:9]
	v_add_u32_e32 v16, -11, v14
	v_fmac_f64_e32 v[28:29], v[62:63], v[72:73]
	global_load_dwordx4 v[62:65], v[24:25], off
	v_lshl_add_u64 v[24:25], v[16:17], 4, s[8:9]
	v_add_u32_e32 v16, -4, v14
	s_waitcnt vmcnt(5)
	v_fmac_f64_e32 v[78:79], v[48:49], v[74:75]
	v_fmac_f64_e32 v[32:33], v[50:51], v[74:75]
	v_fma_f64 v[70:71], -v[50:51], v[76:77], v[78:79]
	v_fmac_f64_e32 v[32:33], v[48:49], v[76:77]
	global_load_dwordx4 v[48:51], v[24:25], off
	v_lshl_add_u64 v[24:25], v[16:17], 4, s[8:9]
	v_fmac_f64_e32 v[0:1], v[66:67], v[72:73]
	v_add_u32_e32 v16, 3, v18
	s_waitcnt vmcnt(5)
	v_fmac_f64_e32 v[80:81], v[54:55], v[74:75]
	v_fmac_f64_e32 v[30:31], v[56:57], v[74:75]
	v_fma_f64 v[72:73], -v[56:57], v[76:77], v[80:81]
	v_fmac_f64_e32 v[30:31], v[54:55], v[76:77]
	global_load_dwordx4 v[54:57], v[24:25], off
	v_lshl_add_u64 v[24:25], v[16:17], 4, s[10:11]
	s_waitcnt vmcnt(5)
	v_fmac_f64_e32 v[82:83], v[40:41], v[74:75]
	v_fmac_f64_e32 v[28:29], v[42:43], v[74:75]
	v_fma_f64 v[78:79], -v[42:43], v[76:77], v[82:83]
	v_fmac_f64_e32 v[28:29], v[40:41], v[76:77]
	global_load_dwordx4 v[40:43], v[24:25], off
	v_subrev_u32_e32 v16, 17, v14
	v_lshl_add_u64 v[24:25], v[16:17], 4, s[8:9]
	v_add_u32_e32 v16, -10, v14
	s_waitcnt vmcnt(5)
	v_fmac_f64_e32 v[68:69], v[58:59], v[74:75]
	v_fmac_f64_e32 v[0:1], v[60:61], v[74:75]
	v_fma_f64 v[74:75], -v[60:61], v[76:77], v[68:69]
	v_fmac_f64_e32 v[0:1], v[58:59], v[76:77]
	global_load_dwordx4 v[58:61], v[24:25], off
	v_lshl_add_u64 v[24:25], v[16:17], 4, s[8:9]
	v_add_u32_e32 v16, -3, v14
	global_load_dwordx4 v[66:69], v[24:25], off
	v_lshl_add_u64 v[24:25], v[16:17], 4, s[8:9]
	s_waitcnt vmcnt(6)
	v_fmac_f64_e32 v[70:71], v[44:45], v[36:37]
	v_fmac_f64_e32 v[32:33], v[46:47], v[36:37]
	v_subrev_u32_e32 v16, 23, v14
	v_fma_f64 v[70:71], -v[46:47], v[38:39], v[70:71]
	v_fmac_f64_e32 v[32:33], v[44:45], v[38:39]
	global_load_dwordx4 v[44:47], v[24:25], off
	v_lshl_add_u64 v[24:25], v[16:17], 4, s[8:9]
	v_add_u32_e32 v16, 4, v18
	s_waitcnt vmcnt(6)
	v_fmac_f64_e32 v[72:73], v[62:63], v[36:37]
	v_fmac_f64_e32 v[30:31], v[64:65], v[36:37]
	v_fma_f64 v[72:73], -v[64:65], v[38:39], v[72:73]
	v_fmac_f64_e32 v[30:31], v[62:63], v[38:39]
	global_load_dwordx4 v[62:65], v[24:25], off
	v_lshl_add_u64 v[24:25], v[16:17], 4, s[10:11]
	v_add_u32_e32 v16, -16, v14
	s_waitcnt vmcnt(6)
	v_fmac_f64_e32 v[78:79], v[48:49], v[36:37]
	v_fmac_f64_e32 v[28:29], v[50:51], v[36:37]
	v_fma_f64 v[76:77], -v[50:51], v[38:39], v[78:79]
	v_fmac_f64_e32 v[28:29], v[48:49], v[38:39]
	global_load_dwordx4 v[48:51], v[24:25], off
	v_lshl_add_u64 v[24:25], v[16:17], 4, s[8:9]
	v_add_u32_e32 v16, -9, v14
	;; [unrolled: 8-line block ×3, first 2 shown]
	global_load_dwordx4 v[54:57], v[24:25], off
	v_lshl_add_u64 v[24:25], v[16:17], 4, s[8:9]
	s_waitcnt vmcnt(7)
	v_fmac_f64_e32 v[70:71], v[20:21], v[40:41]
	v_fmac_f64_e32 v[32:33], v[22:23], v[40:41]
	v_fma_f64 v[70:71], -v[22:23], v[42:43], v[70:71]
	v_fmac_f64_e32 v[32:33], v[20:21], v[42:43]
	global_load_dwordx4 v[20:23], v[24:25], off
	v_subrev_u32_e32 v16, 22, v14
	v_lshl_add_u64 v[24:25], v[16:17], 4, s[8:9]
	v_add_u32_e32 v16, 5, v18
	s_waitcnt vmcnt(7)
	v_fmac_f64_e32 v[72:73], v[58:59], v[40:41]
	v_fmac_f64_e32 v[30:31], v[60:61], v[40:41]
	v_fma_f64 v[78:79], -v[60:61], v[42:43], v[72:73]
	v_fmac_f64_e32 v[30:31], v[58:59], v[42:43]
	global_load_dwordx4 v[58:61], v[24:25], off
	v_lshl_add_u64 v[24:25], v[16:17], 4, s[10:11]
	v_add_u32_e32 v16, -15, v14
	s_waitcnt vmcnt(7)
	v_fmac_f64_e32 v[76:77], v[66:67], v[40:41]
	v_fmac_f64_e32 v[28:29], v[68:69], v[40:41]
	v_fma_f64 v[80:81], -v[68:69], v[42:43], v[76:77]
	v_fmac_f64_e32 v[28:29], v[66:67], v[42:43]
	global_load_dwordx4 v[66:69], v[24:25], off
	v_lshl_add_u64 v[24:25], v[16:17], 4, s[8:9]
	v_add_u32_e32 v16, -8, v14
	;; [unrolled: 8-line block ×3, first 2 shown]
	v_lshl_add_u64 v[74:75], v[16:17], 4, s[8:9]
	v_subrev_u32_e32 v16, 21, v14
	v_lshl_add_u64 v[76:77], v[16:17], 4, s[8:9]
	v_add_u32_e32 v16, 6, v18
	s_waitcnt vmcnt(6)
	v_fmac_f64_e32 v[70:71], v[62:63], v[48:49]
	v_fmac_f64_e32 v[32:33], v[64:65], v[48:49]
	v_lshl_add_u64 v[18:19], v[16:17], 4, s[10:11]
	v_add_u32_e32 v16, -14, v14
	global_load_dwordx4 v[44:47], v[24:25], off
	v_fma_f64 v[24:25], -v[64:65], v[50:51], v[70:71]
	v_fmac_f64_e32 v[32:33], v[62:63], v[50:51]
	global_load_dwordx4 v[62:65], v[74:75], off
	global_load_dwordx4 v[70:73], v[76:77], off
	s_waitcnt vmcnt(8)
	v_fmac_f64_e32 v[30:31], v[38:39], v[48:49]
	global_load_dwordx4 v[74:77], v[18:19], off
	v_lshl_add_u64 v[18:19], v[16:17], 4, s[8:9]
	s_waitcnt vmcnt(8)
	v_fmac_f64_e32 v[80:81], v[54:55], v[48:49]
	v_fmac_f64_e32 v[28:29], v[56:57], v[48:49]
	v_add_u32_e32 v16, -7, v14
	v_fmac_f64_e32 v[78:79], v[36:37], v[48:49]
	v_fmac_f64_e32 v[30:31], v[36:37], v[50:51]
	v_fma_f64 v[36:37], -v[56:57], v[50:51], v[80:81]
	v_fmac_f64_e32 v[28:29], v[54:55], v[50:51]
	global_load_dwordx4 v[54:57], v[18:19], off
	s_waitcnt vmcnt(8)
	v_fmac_f64_e32 v[0:1], v[22:23], v[48:49]
	v_lshl_add_u64 v[18:19], v[16:17], 4, s[8:9]
	v_fmac_f64_e32 v[82:83], v[20:21], v[48:49]
	v_fmac_f64_e32 v[0:1], v[20:21], v[50:51]
	global_load_dwordx4 v[18:21], v[18:19], off
	v_fma_f64 v[38:39], -v[38:39], v[50:51], v[78:79]
	v_fma_f64 v[22:23], -v[22:23], v[50:51], v[82:83]
	v_add_u32_e32 v14, 0x700, v14
	s_waitcnt vmcnt(7)
	v_fmac_f64_e32 v[24:25], v[58:59], v[66:67]
	v_fmac_f64_e32 v[32:33], v[60:61], v[66:67]
	v_fma_f64 v[24:25], -v[60:61], v[68:69], v[24:25]
	v_fmac_f64_e32 v[32:33], v[58:59], v[68:69]
	s_waitcnt vmcnt(6)
	v_fmac_f64_e32 v[38:39], v[40:41], v[66:67]
	v_fmac_f64_e32 v[30:31], v[42:43], v[66:67]
	v_fma_f64 v[38:39], -v[42:43], v[68:69], v[38:39]
	v_fmac_f64_e32 v[30:31], v[40:41], v[68:69]
	s_waitcnt vmcnt(5)
	v_fmac_f64_e32 v[36:37], v[44:45], v[66:67]
	v_fmac_f64_e32 v[28:29], v[46:47], v[66:67]
	s_waitcnt vmcnt(4)
	v_fmac_f64_e32 v[22:23], v[62:63], v[66:67]
	v_fmac_f64_e32 v[0:1], v[64:65], v[66:67]
	v_fma_f64 v[46:47], -v[46:47], v[68:69], v[36:37]
	v_fmac_f64_e32 v[28:29], v[44:45], v[68:69]
	v_fma_f64 v[22:23], -v[64:65], v[68:69], v[22:23]
	v_fmac_f64_e32 v[0:1], v[62:63], v[68:69]
	s_waitcnt vmcnt(2)
	v_fmac_f64_e32 v[24:25], v[70:71], v[74:75]
	v_fmac_f64_e32 v[32:33], v[72:73], v[74:75]
	;; [unrolled: 1-line block ×4, first 2 shown]
	v_fma_f64 v[42:43], -v[72:73], v[76:77], v[24:25]
	v_fmac_f64_e32 v[32:33], v[70:71], v[76:77]
	v_fma_f64 v[36:37], -v[12:13], v[76:77], v[22:23]
	v_fmac_f64_e32 v[0:1], v[10:11], v[76:77]
	s_waitcnt vmcnt(1)
	v_fmac_f64_e32 v[38:39], v[54:55], v[74:75]
	v_fmac_f64_e32 v[30:31], v[56:57], v[74:75]
	v_fma_f64 v[40:41], -v[56:57], v[76:77], v[38:39]
	v_fmac_f64_e32 v[30:31], v[54:55], v[76:77]
	s_waitcnt vmcnt(0)
	v_fmac_f64_e32 v[46:47], v[18:19], v[74:75]
	v_fmac_f64_e32 v[28:29], v[20:21], v[74:75]
	v_fma_f64 v[38:39], -v[20:21], v[76:77], v[46:47]
	v_fmac_f64_e32 v[28:29], v[18:19], v[76:77]
	s_andn2_b64 exec, exec, s[2:3]
	s_cbranch_execnz .LBB140_13
; %bb.14:
	s_or_b64 exec, exec, s[2:3]
.LBB140_15:
	s_or_b64 exec, exec, s[4:5]
.LBB140_16:
	v_mov_b32_dpp v18, v40 row_shr:1 row_mask:0xf bank_mask:0xf
	v_mov_b32_dpp v19, v41 row_shr:1 row_mask:0xf bank_mask:0xf
	v_add_f64 v[18:19], v[40:41], v[18:19]
	v_mov_b32_dpp v14, v32 row_shr:1 row_mask:0xf bank_mask:0xf
	v_mov_b32_dpp v15, v33 row_shr:1 row_mask:0xf bank_mask:0xf
	;; [unrolled: 1-line block ×4, first 2 shown]
	v_add_f64 v[18:19], v[18:19], v[20:21]
	v_add_f64 v[14:15], v[32:33], v[14:15]
	v_mov_b32_dpp v10, v42 row_shr:1 row_mask:0xf bank_mask:0xf
	v_mov_b32_dpp v20, v18 row_shr:4 row_mask:0xf bank_mask:0xe
	v_mov_b32_dpp v21, v19 row_shr:4 row_mask:0xf bank_mask:0xe
	v_add_f64 v[18:19], v[18:19], v[20:21]
	v_mov_b32_dpp v11, v43 row_shr:1 row_mask:0xf bank_mask:0xf
	v_add_f64 v[10:11], v[42:43], v[10:11]
	v_mov_b32_dpp v20, v18 row_shr:8 row_mask:0xf bank_mask:0xc
	v_mov_b32_dpp v21, v19 row_shr:8 row_mask:0xf bank_mask:0xc
	v_add_f64 v[18:19], v[18:19], v[20:21]
	v_mov_b32_dpp v12, v10 row_shr:2 row_mask:0xf bank_mask:0xf
	v_mov_b32_dpp v13, v11 row_shr:2 row_mask:0xf bank_mask:0xf
	v_mov_b32_dpp v20, v18 row_bcast:15 row_mask:0xa bank_mask:0xf
	v_mov_b32_dpp v21, v19 row_bcast:15 row_mask:0xa bank_mask:0xf
	v_add_f64 v[20:21], v[18:19], v[20:21]
	v_mov_b32_dpp v18, v30 row_shr:1 row_mask:0xf bank_mask:0xf
	v_mov_b32_dpp v19, v31 row_shr:1 row_mask:0xf bank_mask:0xf
	v_add_f64 v[18:19], v[30:31], v[18:19]
	v_mov_b32_dpp v16, v14 row_shr:2 row_mask:0xf bank_mask:0xf
	v_mov_b32_dpp v17, v15 row_shr:2 row_mask:0xf bank_mask:0xf
	;; [unrolled: 1-line block ×4, first 2 shown]
	v_add_f64 v[18:19], v[18:19], v[24:25]
	v_add_f64 v[10:11], v[10:11], v[12:13]
	;; [unrolled: 1-line block ×3, first 2 shown]
	v_mov_b32_dpp v24, v18 row_shr:4 row_mask:0xf bank_mask:0xe
	v_mov_b32_dpp v25, v19 row_shr:4 row_mask:0xf bank_mask:0xe
	v_add_f64 v[18:19], v[18:19], v[24:25]
	v_mov_b32_dpp v12, v10 row_shr:4 row_mask:0xf bank_mask:0xe
	v_mov_b32_dpp v13, v11 row_shr:4 row_mask:0xf bank_mask:0xe
	;; [unrolled: 1-line block ×4, first 2 shown]
	v_add_f64 v[18:19], v[18:19], v[24:25]
	v_mov_b32_dpp v16, v14 row_shr:4 row_mask:0xf bank_mask:0xe
	v_mov_b32_dpp v17, v15 row_shr:4 row_mask:0xf bank_mask:0xe
	v_mov_b32_dpp v24, v18 row_bcast:15 row_mask:0xa bank_mask:0xf
	v_mov_b32_dpp v25, v19 row_bcast:15 row_mask:0xa bank_mask:0xf
	v_add_f64 v[24:25], v[18:19], v[24:25]
	v_mov_b32_dpp v18, v38 row_shr:1 row_mask:0xf bank_mask:0xf
	v_mov_b32_dpp v19, v39 row_shr:1 row_mask:0xf bank_mask:0xf
	v_add_f64 v[18:19], v[38:39], v[18:19]
	v_add_f64 v[10:11], v[10:11], v[12:13]
	;; [unrolled: 1-line block ×3, first 2 shown]
	v_mov_b32_dpp v32, v18 row_shr:2 row_mask:0xf bank_mask:0xf
	v_mov_b32_dpp v33, v19 row_shr:2 row_mask:0xf bank_mask:0xf
	v_add_f64 v[18:19], v[18:19], v[32:33]
	v_mov_b32_dpp v12, v10 row_shr:8 row_mask:0xf bank_mask:0xc
	v_mov_b32_dpp v13, v11 row_shr:8 row_mask:0xf bank_mask:0xc
	;; [unrolled: 1-line block ×4, first 2 shown]
	v_add_f64 v[18:19], v[18:19], v[32:33]
	v_mov_b32_dpp v16, v14 row_shr:8 row_mask:0xf bank_mask:0xc
	v_mov_b32_dpp v17, v15 row_shr:8 row_mask:0xf bank_mask:0xc
	;; [unrolled: 1-line block ×4, first 2 shown]
	v_add_f64 v[18:19], v[18:19], v[32:33]
	v_add_f64 v[10:11], v[10:11], v[12:13]
	;; [unrolled: 1-line block ×3, first 2 shown]
	v_mov_b32_dpp v32, v18 row_bcast:15 row_mask:0xa bank_mask:0xf
	v_mov_b32_dpp v33, v19 row_bcast:15 row_mask:0xa bank_mask:0xf
	v_add_f64 v[32:33], v[18:19], v[32:33]
	v_mov_b32_dpp v18, v28 row_shr:1 row_mask:0xf bank_mask:0xf
	v_mov_b32_dpp v19, v29 row_shr:1 row_mask:0xf bank_mask:0xf
	v_add_f64 v[18:19], v[28:29], v[18:19]
	v_mov_b32_dpp v12, v10 row_bcast:15 row_mask:0xa bank_mask:0xf
	v_mov_b32_dpp v13, v11 row_bcast:15 row_mask:0xa bank_mask:0xf
	v_mov_b32_dpp v28, v18 row_shr:2 row_mask:0xf bank_mask:0xf
	v_mov_b32_dpp v29, v19 row_shr:2 row_mask:0xf bank_mask:0xf
	v_add_f64 v[18:19], v[18:19], v[28:29]
	v_mov_b32_dpp v16, v14 row_bcast:15 row_mask:0xa bank_mask:0xf
	v_mov_b32_dpp v17, v15 row_bcast:15 row_mask:0xa bank_mask:0xf
	v_mov_b32_dpp v28, v18 row_shr:4 row_mask:0xf bank_mask:0xe
	v_mov_b32_dpp v29, v19 row_shr:4 row_mask:0xf bank_mask:0xe
	v_add_f64 v[18:19], v[18:19], v[28:29]
	v_add_f64 v[10:11], v[10:11], v[12:13]
	;; [unrolled: 1-line block ×3, first 2 shown]
	v_mov_b32_dpp v28, v18 row_shr:8 row_mask:0xf bank_mask:0xc
	v_mov_b32_dpp v29, v19 row_shr:8 row_mask:0xf bank_mask:0xc
	v_add_f64 v[18:19], v[18:19], v[28:29]
	v_mov_b32_dpp v12, v10 row_bcast:31 row_mask:0xc bank_mask:0xf
	v_mov_b32_dpp v13, v11 row_bcast:31 row_mask:0xc bank_mask:0xf
	;; [unrolled: 1-line block ×4, first 2 shown]
	v_add_f64 v[38:39], v[18:19], v[28:29]
	v_mov_b32_dpp v18, v36 row_shr:1 row_mask:0xf bank_mask:0xf
	v_mov_b32_dpp v19, v37 row_shr:1 row_mask:0xf bank_mask:0xf
	v_add_f64 v[18:19], v[36:37], v[18:19]
	v_mov_b32_dpp v16, v14 row_bcast:31 row_mask:0xc bank_mask:0xf
	v_mov_b32_dpp v17, v15 row_bcast:31 row_mask:0xc bank_mask:0xf
	v_mov_b32_dpp v28, v18 row_shr:2 row_mask:0xf bank_mask:0xf
	v_mov_b32_dpp v29, v19 row_shr:2 row_mask:0xf bank_mask:0xf
	v_add_f64 v[18:19], v[18:19], v[28:29]
	v_mov_b32_dpp v22, v20 row_bcast:31 row_mask:0xc bank_mask:0xf
	v_mov_b32_dpp v23, v21 row_bcast:31 row_mask:0xc bank_mask:0xf
	;; [unrolled: 5-line block ×4, first 2 shown]
	v_mov_b32_dpp v28, v18 row_bcast:15 row_mask:0xa bank_mask:0xf
	v_mov_b32_dpp v29, v19 row_bcast:15 row_mask:0xa bank_mask:0xf
	v_add_f64 v[36:37], v[18:19], v[28:29]
	v_mov_b32_dpp v18, v0 row_shr:1 row_mask:0xf bank_mask:0xf
	v_mov_b32_dpp v19, v1 row_shr:1 row_mask:0xf bank_mask:0xf
	v_add_f64 v[0:1], v[0:1], v[18:19]
	v_mov_b32_dpp v40, v38 row_bcast:31 row_mask:0xc bank_mask:0xf
	v_mov_b32_dpp v41, v39 row_bcast:31 row_mask:0xc bank_mask:0xf
	v_mov_b32_dpp v18, v0 row_shr:2 row_mask:0xf bank_mask:0xf
	v_mov_b32_dpp v19, v1 row_shr:2 row_mask:0xf bank_mask:0xf
	v_add_f64 v[0:1], v[0:1], v[18:19]
	v_mov_b32_dpp v42, v36 row_bcast:31 row_mask:0xc bank_mask:0xf
	v_mov_b32_dpp v43, v37 row_bcast:31 row_mask:0xc bank_mask:0xf
	v_mov_b32_dpp v18, v0 row_shr:4 row_mask:0xf bank_mask:0xe
	v_mov_b32_dpp v19, v1 row_shr:4 row_mask:0xf bank_mask:0xe
	v_add_f64 v[0:1], v[0:1], v[18:19]
	v_cmp_eq_u32_e32 vcc, 63, v27
	s_nop 0
	v_mov_b32_dpp v18, v0 row_shr:8 row_mask:0xf bank_mask:0xc
	v_mov_b32_dpp v19, v1 row_shr:8 row_mask:0xf bank_mask:0xc
	v_add_f64 v[0:1], v[0:1], v[18:19]
	s_nop 1
	v_mov_b32_dpp v18, v0 row_bcast:15 row_mask:0xa bank_mask:0xf
	v_mov_b32_dpp v19, v1 row_bcast:15 row_mask:0xa bank_mask:0xf
	v_add_f64 v[44:45], v[0:1], v[18:19]
	s_nop 1
	v_mov_b32_dpp v46, v44 row_bcast:31 row_mask:0xc bank_mask:0xf
	v_mov_b32_dpp v47, v45 row_bcast:31 row_mask:0xc bank_mask:0xf
	s_and_b64 exec, exec, vcc
	s_cbranch_execz .LBB140_21
; %bb.17:
	s_load_dwordx2 s[2:3], s[0:1], 0x48
	v_cmp_eq_f64_e32 vcc, 0, v[6:7]
	v_cmp_eq_f64_e64 s[0:1], 0, v[8:9]
	v_add_f64 v[18:19], v[10:11], v[12:13]
	v_add_f64 v[28:29], v[14:15], v[16:17]
	;; [unrolled: 1-line block ×8, first 2 shown]
	s_and_b64 s[0:1], vcc, s[0:1]
	s_and_saveexec_b64 s[4:5], s[0:1]
	s_xor_b64 s[0:1], exec, s[4:5]
	s_cbranch_execz .LBB140_19
; %bb.18:
	v_mul_f64 v[6:7], v[28:29], -v[4:5]
	v_mul_f64 v[8:9], v[2:3], v[28:29]
	v_fmac_f64_e32 v[6:7], v[2:3], v[18:19]
	v_fmac_f64_e32 v[8:9], v[4:5], v[18:19]
	v_lshlrev_b32_e32 v18, 2, v26
	v_ashrrev_i32_e32 v19, 31, v18
	s_waitcnt lgkmcnt(0)
	v_lshl_add_u64 v[18:19], v[18:19], 4, s[2:3]
	global_store_dwordx4 v[18:19], v[6:9], off
                                        ; implicit-def: $vgpr26
                                        ; implicit-def: $vgpr28_vgpr29
	s_nop 1
	v_mul_f64 v[6:7], v[20:21], -v[4:5]
	v_mul_f64 v[8:9], v[2:3], v[20:21]
	v_fmac_f64_e32 v[6:7], v[2:3], v[12:13]
	v_fmac_f64_e32 v[8:9], v[4:5], v[12:13]
	global_store_dwordx4 v[18:19], v[6:9], off offset:16
                                        ; implicit-def: $vgpr12_vgpr13
                                        ; implicit-def: $vgpr20_vgpr21
	s_nop 1
	v_mul_f64 v[6:7], v[16:17], -v[4:5]
	v_mul_f64 v[8:9], v[2:3], v[16:17]
	v_fmac_f64_e32 v[6:7], v[2:3], v[10:11]
	v_fmac_f64_e32 v[8:9], v[4:5], v[10:11]
	global_store_dwordx4 v[18:19], v[6:9], off offset:32
                                        ; implicit-def: $vgpr10_vgpr11
                                        ; implicit-def: $vgpr16_vgpr17
	s_nop 1
	v_mul_f64 v[6:7], v[14:15], -v[4:5]
	v_mul_f64 v[8:9], v[2:3], v[14:15]
	v_fmac_f64_e32 v[6:7], v[2:3], v[0:1]
	v_fmac_f64_e32 v[8:9], v[4:5], v[0:1]
	global_store_dwordx4 v[18:19], v[6:9], off offset:48
                                        ; implicit-def: $vgpr18_vgpr19
                                        ; implicit-def: $vgpr0_vgpr1
                                        ; implicit-def: $vgpr14_vgpr15
                                        ; implicit-def: $vgpr8_vgpr9
                                        ; implicit-def: $vgpr4_vgpr5
.LBB140_19:
	s_andn2_saveexec_b64 s[0:1], s[0:1]
	s_cbranch_execz .LBB140_21
; %bb.20:
	v_lshlrev_b32_e32 v22, 2, v26
	v_ashrrev_i32_e32 v23, 31, v22
	s_waitcnt lgkmcnt(0)
	v_lshl_add_u64 v[46:47], v[22:23], 4, s[2:3]
	global_load_dwordx4 v[22:25], v[46:47], off
	global_load_dwordx4 v[30:33], v[46:47], off offset:16
	global_load_dwordx4 v[34:37], v[46:47], off offset:32
	;; [unrolled: 1-line block ×3, first 2 shown]
	v_mul_f64 v[26:27], v[28:29], -v[4:5]
	v_mul_f64 v[28:29], v[2:3], v[28:29]
	v_mul_f64 v[42:43], v[20:21], -v[4:5]
	v_mul_f64 v[20:21], v[2:3], v[20:21]
	;; [unrolled: 2-line block ×4, first 2 shown]
	v_fmac_f64_e32 v[26:27], v[2:3], v[18:19]
	v_fmac_f64_e32 v[28:29], v[4:5], v[18:19]
	;; [unrolled: 1-line block ×8, first 2 shown]
	s_waitcnt vmcnt(3)
	v_fmac_f64_e32 v[26:27], v[6:7], v[22:23]
	v_fmac_f64_e32 v[28:29], v[8:9], v[22:23]
	s_waitcnt vmcnt(2)
	v_fmac_f64_e32 v[42:43], v[6:7], v[30:31]
	v_fmac_f64_e32 v[20:21], v[8:9], v[30:31]
	;; [unrolled: 3-line block ×4, first 2 shown]
	v_fma_f64 v[26:27], -v[8:9], v[24:25], v[26:27]
	v_fmac_f64_e32 v[28:29], v[6:7], v[24:25]
	v_fma_f64 v[18:19], -v[8:9], v[32:33], v[42:43]
	v_fmac_f64_e32 v[20:21], v[6:7], v[32:33]
	;; [unrolled: 2-line block ×4, first 2 shown]
	global_store_dwordx4 v[46:47], v[26:29], off
	global_store_dwordx4 v[46:47], v[18:21], off offset:16
	global_store_dwordx4 v[46:47], v[14:17], off offset:32
	;; [unrolled: 1-line block ×3, first 2 shown]
.LBB140_21:
	s_endpgm
	.section	.rodata,"a",@progbits
	.p2align	6, 0x0
	.amdhsa_kernel _ZN9rocsparseL19gebsrmvn_4xn_kernelILj128ELj7ELj64E21rocsparse_complex_numIdEEEvi20rocsparse_direction_NS_24const_host_device_scalarIT2_EEPKiS8_PKS5_SA_S6_PS5_21rocsparse_index_base_b
		.amdhsa_group_segment_fixed_size 0
		.amdhsa_private_segment_fixed_size 0
		.amdhsa_kernarg_size 88
		.amdhsa_user_sgpr_count 2
		.amdhsa_user_sgpr_dispatch_ptr 0
		.amdhsa_user_sgpr_queue_ptr 0
		.amdhsa_user_sgpr_kernarg_segment_ptr 1
		.amdhsa_user_sgpr_dispatch_id 0
		.amdhsa_user_sgpr_kernarg_preload_length 0
		.amdhsa_user_sgpr_kernarg_preload_offset 0
		.amdhsa_user_sgpr_private_segment_size 0
		.amdhsa_uses_dynamic_stack 0
		.amdhsa_enable_private_segment 0
		.amdhsa_system_sgpr_workgroup_id_x 1
		.amdhsa_system_sgpr_workgroup_id_y 0
		.amdhsa_system_sgpr_workgroup_id_z 0
		.amdhsa_system_sgpr_workgroup_info 0
		.amdhsa_system_vgpr_workitem_id 0
		.amdhsa_next_free_vgpr 92
		.amdhsa_next_free_sgpr 16
		.amdhsa_accum_offset 92
		.amdhsa_reserve_vcc 1
		.amdhsa_float_round_mode_32 0
		.amdhsa_float_round_mode_16_64 0
		.amdhsa_float_denorm_mode_32 3
		.amdhsa_float_denorm_mode_16_64 3
		.amdhsa_dx10_clamp 1
		.amdhsa_ieee_mode 1
		.amdhsa_fp16_overflow 0
		.amdhsa_tg_split 0
		.amdhsa_exception_fp_ieee_invalid_op 0
		.amdhsa_exception_fp_denorm_src 0
		.amdhsa_exception_fp_ieee_div_zero 0
		.amdhsa_exception_fp_ieee_overflow 0
		.amdhsa_exception_fp_ieee_underflow 0
		.amdhsa_exception_fp_ieee_inexact 0
		.amdhsa_exception_int_div_zero 0
	.end_amdhsa_kernel
	.section	.text._ZN9rocsparseL19gebsrmvn_4xn_kernelILj128ELj7ELj64E21rocsparse_complex_numIdEEEvi20rocsparse_direction_NS_24const_host_device_scalarIT2_EEPKiS8_PKS5_SA_S6_PS5_21rocsparse_index_base_b,"axG",@progbits,_ZN9rocsparseL19gebsrmvn_4xn_kernelILj128ELj7ELj64E21rocsparse_complex_numIdEEEvi20rocsparse_direction_NS_24const_host_device_scalarIT2_EEPKiS8_PKS5_SA_S6_PS5_21rocsparse_index_base_b,comdat
.Lfunc_end140:
	.size	_ZN9rocsparseL19gebsrmvn_4xn_kernelILj128ELj7ELj64E21rocsparse_complex_numIdEEEvi20rocsparse_direction_NS_24const_host_device_scalarIT2_EEPKiS8_PKS5_SA_S6_PS5_21rocsparse_index_base_b, .Lfunc_end140-_ZN9rocsparseL19gebsrmvn_4xn_kernelILj128ELj7ELj64E21rocsparse_complex_numIdEEEvi20rocsparse_direction_NS_24const_host_device_scalarIT2_EEPKiS8_PKS5_SA_S6_PS5_21rocsparse_index_base_b
                                        ; -- End function
	.set _ZN9rocsparseL19gebsrmvn_4xn_kernelILj128ELj7ELj64E21rocsparse_complex_numIdEEEvi20rocsparse_direction_NS_24const_host_device_scalarIT2_EEPKiS8_PKS5_SA_S6_PS5_21rocsparse_index_base_b.num_vgpr, 92
	.set _ZN9rocsparseL19gebsrmvn_4xn_kernelILj128ELj7ELj64E21rocsparse_complex_numIdEEEvi20rocsparse_direction_NS_24const_host_device_scalarIT2_EEPKiS8_PKS5_SA_S6_PS5_21rocsparse_index_base_b.num_agpr, 0
	.set _ZN9rocsparseL19gebsrmvn_4xn_kernelILj128ELj7ELj64E21rocsparse_complex_numIdEEEvi20rocsparse_direction_NS_24const_host_device_scalarIT2_EEPKiS8_PKS5_SA_S6_PS5_21rocsparse_index_base_b.numbered_sgpr, 16
	.set _ZN9rocsparseL19gebsrmvn_4xn_kernelILj128ELj7ELj64E21rocsparse_complex_numIdEEEvi20rocsparse_direction_NS_24const_host_device_scalarIT2_EEPKiS8_PKS5_SA_S6_PS5_21rocsparse_index_base_b.num_named_barrier, 0
	.set _ZN9rocsparseL19gebsrmvn_4xn_kernelILj128ELj7ELj64E21rocsparse_complex_numIdEEEvi20rocsparse_direction_NS_24const_host_device_scalarIT2_EEPKiS8_PKS5_SA_S6_PS5_21rocsparse_index_base_b.private_seg_size, 0
	.set _ZN9rocsparseL19gebsrmvn_4xn_kernelILj128ELj7ELj64E21rocsparse_complex_numIdEEEvi20rocsparse_direction_NS_24const_host_device_scalarIT2_EEPKiS8_PKS5_SA_S6_PS5_21rocsparse_index_base_b.uses_vcc, 1
	.set _ZN9rocsparseL19gebsrmvn_4xn_kernelILj128ELj7ELj64E21rocsparse_complex_numIdEEEvi20rocsparse_direction_NS_24const_host_device_scalarIT2_EEPKiS8_PKS5_SA_S6_PS5_21rocsparse_index_base_b.uses_flat_scratch, 0
	.set _ZN9rocsparseL19gebsrmvn_4xn_kernelILj128ELj7ELj64E21rocsparse_complex_numIdEEEvi20rocsparse_direction_NS_24const_host_device_scalarIT2_EEPKiS8_PKS5_SA_S6_PS5_21rocsparse_index_base_b.has_dyn_sized_stack, 0
	.set _ZN9rocsparseL19gebsrmvn_4xn_kernelILj128ELj7ELj64E21rocsparse_complex_numIdEEEvi20rocsparse_direction_NS_24const_host_device_scalarIT2_EEPKiS8_PKS5_SA_S6_PS5_21rocsparse_index_base_b.has_recursion, 0
	.set _ZN9rocsparseL19gebsrmvn_4xn_kernelILj128ELj7ELj64E21rocsparse_complex_numIdEEEvi20rocsparse_direction_NS_24const_host_device_scalarIT2_EEPKiS8_PKS5_SA_S6_PS5_21rocsparse_index_base_b.has_indirect_call, 0
	.section	.AMDGPU.csdata,"",@progbits
; Kernel info:
; codeLenInByte = 4620
; TotalNumSgprs: 22
; NumVgprs: 92
; NumAgprs: 0
; TotalNumVgprs: 92
; ScratchSize: 0
; MemoryBound: 0
; FloatMode: 240
; IeeeMode: 1
; LDSByteSize: 0 bytes/workgroup (compile time only)
; SGPRBlocks: 2
; VGPRBlocks: 11
; NumSGPRsForWavesPerEU: 22
; NumVGPRsForWavesPerEU: 92
; AccumOffset: 92
; Occupancy: 5
; WaveLimiterHint : 1
; COMPUTE_PGM_RSRC2:SCRATCH_EN: 0
; COMPUTE_PGM_RSRC2:USER_SGPR: 2
; COMPUTE_PGM_RSRC2:TRAP_HANDLER: 0
; COMPUTE_PGM_RSRC2:TGID_X_EN: 1
; COMPUTE_PGM_RSRC2:TGID_Y_EN: 0
; COMPUTE_PGM_RSRC2:TGID_Z_EN: 0
; COMPUTE_PGM_RSRC2:TIDIG_COMP_CNT: 0
; COMPUTE_PGM_RSRC3_GFX90A:ACCUM_OFFSET: 22
; COMPUTE_PGM_RSRC3_GFX90A:TG_SPLIT: 0
	.section	.text._ZN9rocsparseL19gebsrmvn_4xn_kernelILj128ELj8ELj4E21rocsparse_complex_numIdEEEvi20rocsparse_direction_NS_24const_host_device_scalarIT2_EEPKiS8_PKS5_SA_S6_PS5_21rocsparse_index_base_b,"axG",@progbits,_ZN9rocsparseL19gebsrmvn_4xn_kernelILj128ELj8ELj4E21rocsparse_complex_numIdEEEvi20rocsparse_direction_NS_24const_host_device_scalarIT2_EEPKiS8_PKS5_SA_S6_PS5_21rocsparse_index_base_b,comdat
	.globl	_ZN9rocsparseL19gebsrmvn_4xn_kernelILj128ELj8ELj4E21rocsparse_complex_numIdEEEvi20rocsparse_direction_NS_24const_host_device_scalarIT2_EEPKiS8_PKS5_SA_S6_PS5_21rocsparse_index_base_b ; -- Begin function _ZN9rocsparseL19gebsrmvn_4xn_kernelILj128ELj8ELj4E21rocsparse_complex_numIdEEEvi20rocsparse_direction_NS_24const_host_device_scalarIT2_EEPKiS8_PKS5_SA_S6_PS5_21rocsparse_index_base_b
	.p2align	8
	.type	_ZN9rocsparseL19gebsrmvn_4xn_kernelILj128ELj8ELj4E21rocsparse_complex_numIdEEEvi20rocsparse_direction_NS_24const_host_device_scalarIT2_EEPKiS8_PKS5_SA_S6_PS5_21rocsparse_index_base_b,@function
_ZN9rocsparseL19gebsrmvn_4xn_kernelILj128ELj8ELj4E21rocsparse_complex_numIdEEEvi20rocsparse_direction_NS_24const_host_device_scalarIT2_EEPKiS8_PKS5_SA_S6_PS5_21rocsparse_index_base_b: ; @_ZN9rocsparseL19gebsrmvn_4xn_kernelILj128ELj8ELj4E21rocsparse_complex_numIdEEEvi20rocsparse_direction_NS_24const_host_device_scalarIT2_EEPKiS8_PKS5_SA_S6_PS5_21rocsparse_index_base_b
; %bb.0:
	s_load_dwordx2 s[4:5], s[0:1], 0x8
	s_load_dwordx2 s[6:7], s[0:1], 0x38
	;; [unrolled: 1-line block ×3, first 2 shown]
	s_add_u32 s3, s0, 8
	s_addc_u32 s8, s1, 0
	s_add_u32 s9, s0, 56
	s_addc_u32 s10, s1, 0
	s_waitcnt lgkmcnt(0)
	s_bitcmp1_b32 s13, 0
	s_cselect_b32 s5, s8, s5
	s_cselect_b32 s3, s3, s4
	v_mov_b32_e32 v2, s3
	v_mov_b32_e32 v3, s5
	flat_load_dwordx4 v[2:5], v[2:3]
	s_cselect_b32 s3, s10, s7
	s_cselect_b32 s4, s9, s6
	v_mov_b32_e32 v6, s4
	v_mov_b32_e32 v7, s3
	flat_load_dwordx4 v[6:9], v[6:7]
	s_waitcnt vmcnt(0) lgkmcnt(0)
	v_cmp_eq_f64_e32 vcc, 0, v[2:3]
	v_cmp_eq_f64_e64 s[4:5], 0, v[4:5]
	s_and_b64 s[8:9], vcc, s[4:5]
	s_mov_b64 s[4:5], -1
	s_and_saveexec_b64 s[6:7], s[8:9]
; %bb.1:
	v_cmp_neq_f64_e32 vcc, 1.0, v[6:7]
	v_cmp_neq_f64_e64 s[4:5], 0, v[8:9]
	s_or_b64 s[4:5], vcc, s[4:5]
	s_orn2_b64 s[4:5], s[4:5], exec
; %bb.2:
	s_or_b64 exec, exec, s[6:7]
	s_and_saveexec_b64 s[6:7], s[4:5]
	s_cbranch_execz .LBB141_21
; %bb.3:
	s_load_dwordx2 s[14:15], s[0:1], 0x0
	v_lshrrev_b32_e32 v1, 2, v0
	v_lshl_or_b32 v70, s2, 5, v1
	s_waitcnt lgkmcnt(0)
	v_cmp_gt_i32_e32 vcc, s14, v70
	s_and_b64 exec, exec, vcc
	s_cbranch_execz .LBB141_21
; %bb.4:
	s_load_dwordx8 s[4:11], s[0:1], 0x18
	v_ashrrev_i32_e32 v71, 31, v70
	s_cmp_lg_u32 s15, 0
	s_waitcnt lgkmcnt(0)
	v_lshl_add_u64 v[10:11], v[70:71], 2, s[4:5]
	global_load_dwordx2 v[10:11], v[10:11], off
	v_and_b32_e32 v71, 3, v0
	s_waitcnt vmcnt(0)
	v_subrev_u32_e32 v0, s12, v10
	v_subrev_u32_e32 v88, s12, v11
	v_add_u32_e32 v78, v0, v71
	v_cmp_lt_i32_e64 s[2:3], v78, v88
	s_cbranch_scc0 .LBB141_10
; %bb.5:
	v_mov_b64_e32 v[72:73], 0
	v_mov_b64_e32 v[14:15], 0
	;; [unrolled: 1-line block ×8, first 2 shown]
	s_and_saveexec_b64 s[4:5], s[2:3]
	s_cbranch_execz .LBB141_9
; %bb.6:
	v_lshlrev_b32_e32 v80, 5, v78
	v_mov_b64_e32 v[72:73], 0
	s_mov_b64 s[14:15], 0
	v_mov_b32_e32 v81, 0
	v_mov_b32_e32 v82, v78
	v_mov_b64_e32 v[14:15], 0
	v_mov_b64_e32 v[38:39], 0
	;; [unrolled: 1-line block ×7, first 2 shown]
.LBB141_7:                              ; =>This Inner Loop Header: Depth=1
	v_ashrrev_i32_e32 v83, 31, v82
	v_lshl_add_u64 v[84:85], v[80:81], 4, s[8:9]
	v_lshl_add_u64 v[52:53], v[82:83], 2, s[6:7]
	global_load_dwordx4 v[34:37], v[84:85], off offset:48
	global_load_dwordx4 v[58:61], v[84:85], off offset:32
	;; [unrolled: 1-line block ×3, first 2 shown]
	global_load_dwordx4 v[46:49], v[84:85], off
	global_load_dwordx4 v[26:29], v[84:85], off offset:112
	global_load_dwordx4 v[30:33], v[84:85], off offset:96
	;; [unrolled: 1-line block ×10, first 2 shown]
	global_load_dword v16, v[52:53], off
	v_mov_b32_e32 v17, v81
	v_add_u32_e32 v82, 4, v82
	v_cmp_ge_i32_e32 vcc, v82, v88
	v_add_u32_e32 v80, 0x80, v80
	s_or_b64 s[14:15], vcc, s[14:15]
	s_waitcnt vmcnt(0)
	v_subrev_u32_e32 v16, s12, v16
	v_lshlrev_b32_e32 v16, 3, v16
	v_lshl_add_u64 v[86:87], v[16:17], 4, s[10:11]
	global_load_dwordx4 v[98:101], v[86:87], off
	global_load_dwordx4 v[102:105], v[86:87], off offset:16
	s_waitcnt vmcnt(1)
	v_fmac_f64_e32 v[14:15], v[46:47], v[98:99]
	v_fmac_f64_e32 v[72:73], v[48:49], v[98:99]
	;; [unrolled: 1-line block ×6, first 2 shown]
	v_fma_f64 v[52:53], -v[48:49], v[100:101], v[14:15]
	v_fmac_f64_e32 v[72:73], v[46:47], v[100:101]
	v_fma_f64 v[50:51], -v[64:65], v[100:101], v[50:51]
	v_fmac_f64_e32 v[76:77], v[62:63], v[100:101]
	;; [unrolled: 2-line block ×3, first 2 shown]
	v_fmac_f64_e32 v[38:39], v[34:35], v[98:99]
	v_fmac_f64_e32 v[0:1], v[36:37], v[98:99]
	s_waitcnt vmcnt(0)
	v_fmac_f64_e32 v[52:53], v[94:95], v[102:103]
	v_fmac_f64_e32 v[72:73], v[96:97], v[102:103]
	;; [unrolled: 1-line block ×6, first 2 shown]
	global_load_dwordx4 v[46:49], v[84:85], off offset:208
	global_load_dwordx4 v[62:65], v[84:85], off offset:192
	;; [unrolled: 1-line block ×3, first 2 shown]
	v_fma_f64 v[98:99], -v[36:37], v[100:101], v[38:39]
	v_fmac_f64_e32 v[0:1], v[34:35], v[100:101]
	global_load_dwordx4 v[34:37], v[84:85], off offset:288
	global_load_dwordx4 v[38:41], v[84:85], off offset:272
	v_fma_f64 v[100:101], -v[96:97], v[104:105], v[52:53]
	v_fmac_f64_e32 v[72:73], v[94:95], v[104:105]
	global_load_dwordx4 v[58:61], v[84:85], off offset:256
	v_fma_f64 v[108:109], -v[92:93], v[104:105], v[50:51]
	v_fmac_f64_e32 v[76:77], v[90:91], v[104:105]
	;; [unrolled: 3-line block ×3, first 2 shown]
	global_load_dwordx4 v[30:33], v[84:85], off offset:352
	global_load_dwordx4 v[90:93], v[86:87], off offset:32
	;; [unrolled: 1-line block ×3, first 2 shown]
	v_fmac_f64_e32 v[98:99], v[26:27], v[102:103]
	v_fmac_f64_e32 v[0:1], v[28:29], v[102:103]
	v_fma_f64 v[98:99], -v[28:29], v[104:105], v[98:99]
	v_fmac_f64_e32 v[0:1], v[26:27], v[104:105]
	global_load_dwordx4 v[26:29], v[84:85], off offset:336
	s_waitcnt vmcnt(2)
	v_fmac_f64_e32 v[100:101], v[66:67], v[90:91]
	v_fmac_f64_e32 v[72:73], v[68:69], v[90:91]
	v_fmac_f64_e32 v[108:109], v[54:55], v[90:91]
	v_fmac_f64_e32 v[76:77], v[56:57], v[90:91]
	v_fmac_f64_e32 v[106:107], v[42:43], v[90:91]
	v_fmac_f64_e32 v[74:75], v[44:45], v[90:91]
	v_fmac_f64_e32 v[98:99], v[22:23], v[90:91]
	v_fmac_f64_e32 v[0:1], v[24:25], v[90:91]
	v_fma_f64 v[100:101], -v[68:69], v[92:93], v[100:101]
	v_fmac_f64_e32 v[72:73], v[66:67], v[92:93]
	v_fma_f64 v[102:103], -v[56:57], v[92:93], v[108:109]
	v_fmac_f64_e32 v[76:77], v[54:55], v[92:93]
	;; [unrolled: 2-line block ×4, first 2 shown]
	s_waitcnt vmcnt(1)
	v_fmac_f64_e32 v[100:101], v[62:63], v[94:95]
	v_fmac_f64_e32 v[72:73], v[64:65], v[94:95]
	;; [unrolled: 1-line block ×8, first 2 shown]
	global_load_dwordx4 v[54:57], v[84:85], off offset:320
	global_load_dwordx4 v[42:45], v[84:85], off offset:432
	global_load_dwordx4 v[22:25], v[84:85], off offset:416
	global_load_dwordx4 v[66:69], v[84:85], off offset:400
	v_fma_f64 v[98:99], -v[64:65], v[96:97], v[100:101]
	v_fmac_f64_e32 v[72:73], v[62:63], v[96:97]
	global_load_dwordx4 v[62:65], v[84:85], off offset:384
	v_fma_f64 v[100:101], -v[48:49], v[96:97], v[102:103]
	v_fmac_f64_e32 v[76:77], v[46:47], v[96:97]
	global_load_dwordx4 v[46:49], v[84:85], off offset:464
	;; [unrolled: 3-line block ×4, first 2 shown]
	global_load_dwordx4 v[90:93], v[86:87], off offset:80
	s_waitcnt vmcnt(1)
	v_fmac_f64_e32 v[98:99], v[58:59], v[10:11]
	v_fmac_f64_e32 v[72:73], v[60:61], v[10:11]
	;; [unrolled: 1-line block ×4, first 2 shown]
	v_fma_f64 v[98:99], -v[60:61], v[12:13], v[98:99]
	v_fmac_f64_e32 v[72:73], v[58:59], v[12:13]
	global_load_dwordx4 v[58:61], v[84:85], off offset:480
	global_load_dwordx4 v[94:97], v[84:85], off offset:496
	v_fma_f64 v[84:85], -v[40:41], v[12:13], v[100:101]
	v_fmac_f64_e32 v[76:77], v[38:39], v[12:13]
	global_load_dwordx4 v[38:41], v[86:87], off offset:96
	v_fmac_f64_e32 v[102:103], v[34:35], v[10:11]
	v_fmac_f64_e32 v[74:75], v[36:37], v[10:11]
	v_fma_f64 v[100:101], -v[36:37], v[12:13], v[102:103]
	v_fmac_f64_e32 v[74:75], v[34:35], v[12:13]
	global_load_dwordx4 v[34:37], v[86:87], off offset:112
	v_fmac_f64_e32 v[104:105], v[14:15], v[10:11]
	v_fmac_f64_e32 v[0:1], v[16:17], v[10:11]
	v_fma_f64 v[10:11], -v[16:17], v[12:13], v[104:105]
	v_fmac_f64_e32 v[0:1], v[14:15], v[12:13]
	s_waitcnt vmcnt(4)
	v_fmac_f64_e32 v[98:99], v[54:55], v[90:91]
	v_fmac_f64_e32 v[72:73], v[56:57], v[90:91]
	v_fmac_f64_e32 v[84:85], v[26:27], v[90:91]
	v_fmac_f64_e32 v[76:77], v[28:29], v[90:91]
	v_fmac_f64_e32 v[100:101], v[30:31], v[90:91]
	v_fmac_f64_e32 v[74:75], v[32:33], v[90:91]
	v_fmac_f64_e32 v[10:11], v[50:51], v[90:91]
	v_fmac_f64_e32 v[0:1], v[52:53], v[90:91]
	v_fma_f64 v[12:13], -v[56:57], v[92:93], v[98:99]
	v_fmac_f64_e32 v[72:73], v[54:55], v[92:93]
	v_fma_f64 v[14:15], -v[28:29], v[92:93], v[84:85]
	v_fmac_f64_e32 v[76:77], v[26:27], v[92:93]
	v_fma_f64 v[16:17], -v[32:33], v[92:93], v[100:101]
	v_fmac_f64_e32 v[74:75], v[30:31], v[92:93]
	v_fma_f64 v[10:11], -v[52:53], v[92:93], v[10:11]
	v_fmac_f64_e32 v[0:1], v[50:51], v[92:93]
	s_waitcnt vmcnt(1)
	v_fmac_f64_e32 v[12:13], v[62:63], v[38:39]
	v_fmac_f64_e32 v[72:73], v[64:65], v[38:39]
	v_fmac_f64_e32 v[14:15], v[66:67], v[38:39]
	v_fmac_f64_e32 v[76:77], v[68:69], v[38:39]
	v_fmac_f64_e32 v[16:17], v[22:23], v[38:39]
	v_fmac_f64_e32 v[74:75], v[24:25], v[38:39]
	v_fmac_f64_e32 v[10:11], v[42:43], v[38:39]
	v_fmac_f64_e32 v[0:1], v[44:45], v[38:39]
	v_fma_f64 v[12:13], -v[64:65], v[40:41], v[12:13]
	v_fmac_f64_e32 v[72:73], v[62:63], v[40:41]
	v_fma_f64 v[26:27], -v[68:69], v[40:41], v[14:15]
	v_fmac_f64_e32 v[76:77], v[66:67], v[40:41]
	v_fma_f64 v[16:17], -v[24:25], v[40:41], v[16:17]
	;; [unrolled: 17-line block ×3, first 2 shown]
	v_fmac_f64_e32 v[74:75], v[58:59], v[36:37]
	v_fma_f64 v[38:39], -v[96:97], v[36:37], v[10:11]
	v_fmac_f64_e32 v[0:1], v[94:95], v[36:37]
	s_andn2_b64 exec, exec, s[14:15]
	s_cbranch_execnz .LBB141_7
; %bb.8:
	s_or_b64 exec, exec, s[14:15]
.LBB141_9:
	s_or_b64 exec, exec, s[4:5]
	s_cbranch_execz .LBB141_11
	s_branch .LBB141_16
.LBB141_10:
                                        ; implicit-def: $vgpr72_vgpr73
                                        ; implicit-def: $vgpr14_vgpr15
                                        ; implicit-def: $vgpr38_vgpr39
                                        ; implicit-def: $vgpr0_vgpr1
                                        ; implicit-def: $vgpr40_vgpr41
                                        ; implicit-def: $vgpr74_vgpr75
                                        ; implicit-def: $vgpr50_vgpr51
                                        ; implicit-def: $vgpr76_vgpr77
.LBB141_11:
	v_mov_b64_e32 v[72:73], 0
	v_mov_b64_e32 v[14:15], 0
	;; [unrolled: 1-line block ×8, first 2 shown]
	s_and_saveexec_b64 s[4:5], s[2:3]
	s_cbranch_execz .LBB141_15
; %bb.12:
	v_lshlrev_b32_e32 v26, 5, v78
	v_mov_b64_e32 v[72:73], 0
	s_mov_b64 s[2:3], 0
	v_mov_b32_e32 v27, 0
	v_mov_b64_e32 v[14:15], 0
	v_mov_b64_e32 v[38:39], 0
	;; [unrolled: 1-line block ×7, first 2 shown]
.LBB141_13:                             ; =>This Inner Loop Header: Depth=1
	v_ashrrev_i32_e32 v79, 31, v78
	v_lshl_add_u64 v[28:29], v[26:27], 4, s[8:9]
	v_lshl_add_u64 v[30:31], v[78:79], 2, s[6:7]
	global_load_dwordx4 v[18:21], v[28:29], off offset:16
	global_load_dwordx4 v[22:25], v[28:29], off
	global_load_dwordx4 v[32:35], v[28:29], off offset:144
	global_load_dwordx4 v[42:45], v[28:29], off offset:128
	;; [unrolled: 1-line block ×8, first 2 shown]
	global_load_dword v16, v[30:31], off
	v_mov_b32_e32 v17, v27
	v_add_u32_e32 v78, 4, v78
	v_cmp_ge_i32_e32 vcc, v78, v88
	v_add_u32_e32 v26, 0x80, v26
	s_or_b64 s[2:3], vcc, s[2:3]
	s_waitcnt vmcnt(0)
	v_subrev_u32_e32 v16, s12, v16
	v_lshlrev_b32_e32 v16, 3, v16
	v_lshl_add_u64 v[30:31], v[16:17], 4, s[10:11]
	global_load_dwordx4 v[80:83], v[30:31], off
	global_load_dwordx4 v[84:87], v[30:31], off offset:16
	s_waitcnt vmcnt(1)
	v_fmac_f64_e32 v[14:15], v[22:23], v[80:81]
	v_fmac_f64_e32 v[72:73], v[24:25], v[80:81]
	;; [unrolled: 1-line block ×8, first 2 shown]
	v_fma_f64 v[68:69], -v[24:25], v[82:83], v[14:15]
	v_fmac_f64_e32 v[72:73], v[22:23], v[82:83]
	v_fma_f64 v[90:91], -v[44:45], v[82:83], v[50:51]
	v_fmac_f64_e32 v[76:77], v[42:43], v[82:83]
	;; [unrolled: 2-line block ×4, first 2 shown]
	global_load_dwordx4 v[14:17], v[28:29], off offset:176
	global_load_dwordx4 v[42:45], v[28:29], off offset:160
	;; [unrolled: 1-line block ×5, first 2 shown]
	s_waitcnt vmcnt(5)
	v_fmac_f64_e32 v[68:69], v[18:19], v[84:85]
	v_fmac_f64_e32 v[72:73], v[20:21], v[84:85]
	;; [unrolled: 1-line block ×8, first 2 shown]
	v_fma_f64 v[68:69], -v[20:21], v[86:87], v[68:69]
	v_fmac_f64_e32 v[72:73], v[18:19], v[86:87]
	global_load_dwordx4 v[54:57], v[28:29], off offset:432
	v_fma_f64 v[80:81], -v[34:35], v[86:87], v[90:91]
	v_fmac_f64_e32 v[76:77], v[32:33], v[86:87]
	global_load_dwordx4 v[18:21], v[28:29], off offset:80
	global_load_dwordx4 v[32:35], v[28:29], off offset:64
	v_fma_f64 v[82:83], -v[48:49], v[86:87], v[40:41]
	v_fmac_f64_e32 v[74:75], v[46:47], v[86:87]
	v_fma_f64 v[84:85], -v[62:63], v[86:87], v[58:59]
	v_fmac_f64_e32 v[0:1], v[60:61], v[86:87]
	global_load_dwordx4 v[46:49], v[30:31], off offset:32
	global_load_dwordx4 v[58:61], v[30:31], off offset:48
	s_waitcnt vmcnt(1)
	v_fmac_f64_e32 v[68:69], v[64:65], v[46:47]
	v_fmac_f64_e32 v[72:73], v[66:67], v[46:47]
	;; [unrolled: 1-line block ×8, first 2 shown]
	v_fma_f64 v[66:67], -v[66:67], v[48:49], v[68:69]
	v_fmac_f64_e32 v[72:73], v[64:65], v[48:49]
	v_fma_f64 v[68:69], -v[44:45], v[48:49], v[80:81]
	v_fmac_f64_e32 v[76:77], v[42:43], v[48:49]
	;; [unrolled: 2-line block ×4, first 2 shown]
	s_waitcnt vmcnt(0)
	v_fmac_f64_e32 v[66:67], v[10:11], v[58:59]
	v_fmac_f64_e32 v[72:73], v[12:13], v[58:59]
	;; [unrolled: 1-line block ×8, first 2 shown]
	global_load_dwordx4 v[62:65], v[28:29], off offset:208
	global_load_dwordx4 v[40:43], v[28:29], off offset:192
	global_load_dwordx4 v[36:39], v[28:29], off offset:336
	global_load_dwordx4 v[44:47], v[28:29], off offset:320
	global_load_dwordx4 v[48:51], v[28:29], off offset:448
	v_fma_f64 v[82:83], -v[12:13], v[60:61], v[66:67]
	v_fmac_f64_e32 v[72:73], v[10:11], v[60:61]
	global_load_dwordx4 v[10:13], v[28:29], off offset:464
	v_fma_f64 v[84:85], -v[16:17], v[60:61], v[68:69]
	v_fmac_f64_e32 v[76:77], v[14:15], v[60:61]
	global_load_dwordx4 v[66:69], v[28:29], off offset:112
	global_load_dwordx4 v[14:17], v[28:29], off offset:96
	v_fma_f64 v[80:81], -v[24:25], v[60:61], v[80:81]
	v_fmac_f64_e32 v[74:75], v[22:23], v[60:61]
	v_fma_f64 v[56:57], -v[56:57], v[60:61], v[52:53]
	v_fmac_f64_e32 v[0:1], v[54:55], v[60:61]
	global_load_dwordx4 v[22:25], v[30:31], off offset:64
	global_load_dwordx4 v[52:55], v[30:31], off offset:80
	s_waitcnt vmcnt(1)
	v_fmac_f64_e32 v[82:83], v[32:33], v[22:23]
	v_fmac_f64_e32 v[72:73], v[34:35], v[22:23]
	v_fma_f64 v[60:61], -v[34:35], v[24:25], v[82:83]
	v_fmac_f64_e32 v[72:73], v[32:33], v[24:25]
	v_fmac_f64_e32 v[84:85], v[40:41], v[22:23]
	;; [unrolled: 1-line block ×7, first 2 shown]
	s_waitcnt vmcnt(0)
	v_fmac_f64_e32 v[60:61], v[18:19], v[52:53]
	v_fmac_f64_e32 v[72:73], v[20:21], v[52:53]
	global_load_dwordx4 v[32:35], v[28:29], off offset:240
	v_fma_f64 v[82:83], -v[42:43], v[24:25], v[84:85]
	v_fmac_f64_e32 v[76:77], v[40:41], v[24:25]
	global_load_dwordx4 v[40:43], v[28:29], off offset:224
	v_fma_f64 v[80:81], -v[46:47], v[24:25], v[80:81]
	;; [unrolled: 3-line block ×3, first 2 shown]
	v_fmac_f64_e32 v[0:1], v[48:49], v[24:25]
	global_load_dwordx4 v[22:25], v[28:29], off offset:352
	global_load_dwordx4 v[56:59], v[28:29], off offset:496
	;; [unrolled: 1-line block ×3, first 2 shown]
	v_fma_f64 v[60:61], -v[20:21], v[54:55], v[60:61]
	v_fmac_f64_e32 v[72:73], v[18:19], v[54:55]
	global_load_dwordx4 v[18:21], v[30:31], off offset:96
	v_fmac_f64_e32 v[82:83], v[62:63], v[52:53]
	global_load_dwordx4 v[28:31], v[30:31], off offset:112
	v_fmac_f64_e32 v[76:77], v[64:65], v[52:53]
	v_fmac_f64_e32 v[80:81], v[36:37], v[52:53]
	;; [unrolled: 1-line block ×5, first 2 shown]
	v_fma_f64 v[64:65], -v[64:65], v[54:55], v[82:83]
	v_fmac_f64_e32 v[76:77], v[62:63], v[54:55]
	v_fma_f64 v[38:39], -v[38:39], v[54:55], v[80:81]
	v_fmac_f64_e32 v[74:75], v[36:37], v[54:55]
	;; [unrolled: 2-line block ×3, first 2 shown]
	s_waitcnt vmcnt(1)
	v_fmac_f64_e32 v[60:61], v[14:15], v[18:19]
	v_fmac_f64_e32 v[72:73], v[16:17], v[18:19]
	;; [unrolled: 1-line block ×8, first 2 shown]
	v_fma_f64 v[10:11], -v[16:17], v[20:21], v[60:61]
	v_fmac_f64_e32 v[72:73], v[14:15], v[20:21]
	v_fma_f64 v[16:17], -v[42:43], v[20:21], v[64:65]
	v_fmac_f64_e32 v[76:77], v[40:41], v[20:21]
	;; [unrolled: 2-line block ×4, first 2 shown]
	s_waitcnt vmcnt(0)
	v_fmac_f64_e32 v[10:11], v[66:67], v[28:29]
	v_fmac_f64_e32 v[72:73], v[68:69], v[28:29]
	;; [unrolled: 1-line block ×8, first 2 shown]
	v_fma_f64 v[14:15], -v[68:69], v[30:31], v[10:11]
	v_fmac_f64_e32 v[72:73], v[66:67], v[30:31]
	v_fma_f64 v[50:51], -v[34:35], v[30:31], v[16:17]
	v_fmac_f64_e32 v[76:77], v[32:33], v[30:31]
	;; [unrolled: 2-line block ×4, first 2 shown]
	s_andn2_b64 exec, exec, s[2:3]
	s_cbranch_execnz .LBB141_13
; %bb.14:
	s_or_b64 exec, exec, s[2:3]
.LBB141_15:
	s_or_b64 exec, exec, s[4:5]
.LBB141_16:
	v_mov_b32_dpp v16, v50 row_shr:1 row_mask:0xf bank_mask:0xf
	v_mov_b32_dpp v17, v51 row_shr:1 row_mask:0xf bank_mask:0xf
	v_add_f64 v[20:21], v[50:51], v[16:17]
	v_mov_b32_dpp v16, v76 row_shr:1 row_mask:0xf bank_mask:0xf
	v_mov_b32_dpp v17, v77 row_shr:1 row_mask:0xf bank_mask:0xf
	v_add_f64 v[26:27], v[76:77], v[16:17]
	;; [unrolled: 3-line block ×3, first 2 shown]
	v_mov_b32_dpp v16, v74 row_shr:1 row_mask:0xf bank_mask:0xf
	v_mov_b32_dpp v17, v75 row_shr:1 row_mask:0xf bank_mask:0xf
	;; [unrolled: 1-line block ×4, first 2 shown]
	v_add_f64 v[34:35], v[74:75], v[16:17]
	v_mov_b32_dpp v16, v38 row_shr:1 row_mask:0xf bank_mask:0xf
	v_mov_b32_dpp v17, v39 row_shr:1 row_mask:0xf bank_mask:0xf
	v_add_f64 v[10:11], v[14:15], v[10:11]
	v_mov_b32_dpp v14, v72 row_shr:1 row_mask:0xf bank_mask:0xf
	v_mov_b32_dpp v15, v73 row_shr:1 row_mask:0xf bank_mask:0xf
	;; [unrolled: 3-line block ×3, first 2 shown]
	v_add_f64 v[14:15], v[72:73], v[14:15]
	v_add_f64 v[42:43], v[0:1], v[16:17]
	v_mov_b32_dpp v12, v10 row_shr:2 row_mask:0xf bank_mask:0xf
	v_mov_b32_dpp v13, v11 row_shr:2 row_mask:0xf bank_mask:0xf
	;; [unrolled: 1-line block ×16, first 2 shown]
	v_cmp_eq_u32_e32 vcc, 3, v71
	s_and_b64 exec, exec, vcc
	s_cbranch_execz .LBB141_21
; %bb.17:
	s_load_dwordx2 s[2:3], s[0:1], 0x48
	v_cmp_eq_f64_e32 vcc, 0, v[6:7]
	v_cmp_eq_f64_e64 s[0:1], 0, v[8:9]
	v_add_f64 v[16:17], v[10:11], v[12:13]
	v_add_f64 v[22:23], v[14:15], v[18:19]
	;; [unrolled: 1-line block ×8, first 2 shown]
	s_and_b64 s[0:1], vcc, s[0:1]
	s_and_saveexec_b64 s[4:5], s[0:1]
	s_xor_b64 s[0:1], exec, s[4:5]
	s_cbranch_execz .LBB141_19
; %bb.18:
	v_mul_f64 v[6:7], v[22:23], -v[4:5]
	v_mul_f64 v[8:9], v[2:3], v[22:23]
	v_fmac_f64_e32 v[6:7], v[2:3], v[16:17]
	v_fmac_f64_e32 v[8:9], v[4:5], v[16:17]
	v_lshlrev_b32_e32 v16, 2, v70
	v_ashrrev_i32_e32 v17, 31, v16
	s_waitcnt lgkmcnt(0)
	v_lshl_add_u64 v[16:17], v[16:17], 4, s[2:3]
	global_store_dwordx4 v[16:17], v[6:9], off
                                        ; implicit-def: $vgpr70
                                        ; implicit-def: $vgpr22_vgpr23
	s_nop 1
	v_mul_f64 v[6:7], v[20:21], -v[4:5]
	v_mul_f64 v[8:9], v[2:3], v[20:21]
	v_fmac_f64_e32 v[6:7], v[2:3], v[12:13]
	v_fmac_f64_e32 v[8:9], v[4:5], v[12:13]
	global_store_dwordx4 v[16:17], v[6:9], off offset:16
                                        ; implicit-def: $vgpr12_vgpr13
                                        ; implicit-def: $vgpr20_vgpr21
	s_nop 1
	v_mul_f64 v[6:7], v[18:19], -v[4:5]
	v_mul_f64 v[8:9], v[2:3], v[18:19]
	v_fmac_f64_e32 v[6:7], v[2:3], v[10:11]
	v_fmac_f64_e32 v[8:9], v[4:5], v[10:11]
	global_store_dwordx4 v[16:17], v[6:9], off offset:32
                                        ; implicit-def: $vgpr10_vgpr11
                                        ; implicit-def: $vgpr18_vgpr19
	s_nop 1
	v_mul_f64 v[6:7], v[14:15], -v[4:5]
	v_mul_f64 v[8:9], v[2:3], v[14:15]
	v_fmac_f64_e32 v[6:7], v[2:3], v[0:1]
	v_fmac_f64_e32 v[8:9], v[4:5], v[0:1]
	global_store_dwordx4 v[16:17], v[6:9], off offset:48
                                        ; implicit-def: $vgpr16_vgpr17
                                        ; implicit-def: $vgpr0_vgpr1
                                        ; implicit-def: $vgpr14_vgpr15
                                        ; implicit-def: $vgpr8_vgpr9
                                        ; implicit-def: $vgpr4_vgpr5
.LBB141_19:
	s_andn2_saveexec_b64 s[0:1], s[0:1]
	s_cbranch_execz .LBB141_21
; %bb.20:
	v_lshlrev_b32_e32 v24, 2, v70
	v_ashrrev_i32_e32 v25, 31, v24
	s_waitcnt lgkmcnt(0)
	v_lshl_add_u64 v[44:45], v[24:25], 4, s[2:3]
	global_load_dwordx4 v[24:27], v[44:45], off
	global_load_dwordx4 v[28:31], v[44:45], off offset:16
	global_load_dwordx4 v[32:35], v[44:45], off offset:32
	;; [unrolled: 1-line block ×3, first 2 shown]
	v_mul_f64 v[40:41], v[22:23], -v[4:5]
	v_mul_f64 v[22:23], v[2:3], v[22:23]
	v_mul_f64 v[46:47], v[20:21], -v[4:5]
	v_mul_f64 v[42:43], v[2:3], v[20:21]
	;; [unrolled: 2-line block ×4, first 2 shown]
	v_fmac_f64_e32 v[40:41], v[2:3], v[16:17]
	v_fmac_f64_e32 v[22:23], v[4:5], v[16:17]
	;; [unrolled: 1-line block ×8, first 2 shown]
	s_waitcnt vmcnt(3)
	v_fmac_f64_e32 v[40:41], v[6:7], v[24:25]
	v_fmac_f64_e32 v[22:23], v[8:9], v[24:25]
	s_waitcnt vmcnt(2)
	v_fmac_f64_e32 v[46:47], v[6:7], v[28:29]
	v_fmac_f64_e32 v[42:43], v[8:9], v[28:29]
	;; [unrolled: 3-line block ×4, first 2 shown]
	v_fma_f64 v[20:21], -v[8:9], v[26:27], v[40:41]
	v_fmac_f64_e32 v[22:23], v[6:7], v[26:27]
	v_fma_f64 v[40:41], -v[8:9], v[30:31], v[46:47]
	v_fmac_f64_e32 v[42:43], v[6:7], v[30:31]
	;; [unrolled: 2-line block ×4, first 2 shown]
	global_store_dwordx4 v[44:45], v[20:23], off
	global_store_dwordx4 v[44:45], v[40:43], off offset:16
	global_store_dwordx4 v[44:45], v[16:19], off offset:32
	;; [unrolled: 1-line block ×3, first 2 shown]
.LBB141_21:
	s_endpgm
	.section	.rodata,"a",@progbits
	.p2align	6, 0x0
	.amdhsa_kernel _ZN9rocsparseL19gebsrmvn_4xn_kernelILj128ELj8ELj4E21rocsparse_complex_numIdEEEvi20rocsparse_direction_NS_24const_host_device_scalarIT2_EEPKiS8_PKS5_SA_S6_PS5_21rocsparse_index_base_b
		.amdhsa_group_segment_fixed_size 0
		.amdhsa_private_segment_fixed_size 0
		.amdhsa_kernarg_size 88
		.amdhsa_user_sgpr_count 2
		.amdhsa_user_sgpr_dispatch_ptr 0
		.amdhsa_user_sgpr_queue_ptr 0
		.amdhsa_user_sgpr_kernarg_segment_ptr 1
		.amdhsa_user_sgpr_dispatch_id 0
		.amdhsa_user_sgpr_kernarg_preload_length 0
		.amdhsa_user_sgpr_kernarg_preload_offset 0
		.amdhsa_user_sgpr_private_segment_size 0
		.amdhsa_uses_dynamic_stack 0
		.amdhsa_enable_private_segment 0
		.amdhsa_system_sgpr_workgroup_id_x 1
		.amdhsa_system_sgpr_workgroup_id_y 0
		.amdhsa_system_sgpr_workgroup_id_z 0
		.amdhsa_system_sgpr_workgroup_info 0
		.amdhsa_system_vgpr_workitem_id 0
		.amdhsa_next_free_vgpr 110
		.amdhsa_next_free_sgpr 16
		.amdhsa_accum_offset 112
		.amdhsa_reserve_vcc 1
		.amdhsa_float_round_mode_32 0
		.amdhsa_float_round_mode_16_64 0
		.amdhsa_float_denorm_mode_32 3
		.amdhsa_float_denorm_mode_16_64 3
		.amdhsa_dx10_clamp 1
		.amdhsa_ieee_mode 1
		.amdhsa_fp16_overflow 0
		.amdhsa_tg_split 0
		.amdhsa_exception_fp_ieee_invalid_op 0
		.amdhsa_exception_fp_denorm_src 0
		.amdhsa_exception_fp_ieee_div_zero 0
		.amdhsa_exception_fp_ieee_overflow 0
		.amdhsa_exception_fp_ieee_underflow 0
		.amdhsa_exception_fp_ieee_inexact 0
		.amdhsa_exception_int_div_zero 0
	.end_amdhsa_kernel
	.section	.text._ZN9rocsparseL19gebsrmvn_4xn_kernelILj128ELj8ELj4E21rocsparse_complex_numIdEEEvi20rocsparse_direction_NS_24const_host_device_scalarIT2_EEPKiS8_PKS5_SA_S6_PS5_21rocsparse_index_base_b,"axG",@progbits,_ZN9rocsparseL19gebsrmvn_4xn_kernelILj128ELj8ELj4E21rocsparse_complex_numIdEEEvi20rocsparse_direction_NS_24const_host_device_scalarIT2_EEPKiS8_PKS5_SA_S6_PS5_21rocsparse_index_base_b,comdat
.Lfunc_end141:
	.size	_ZN9rocsparseL19gebsrmvn_4xn_kernelILj128ELj8ELj4E21rocsparse_complex_numIdEEEvi20rocsparse_direction_NS_24const_host_device_scalarIT2_EEPKiS8_PKS5_SA_S6_PS5_21rocsparse_index_base_b, .Lfunc_end141-_ZN9rocsparseL19gebsrmvn_4xn_kernelILj128ELj8ELj4E21rocsparse_complex_numIdEEEvi20rocsparse_direction_NS_24const_host_device_scalarIT2_EEPKiS8_PKS5_SA_S6_PS5_21rocsparse_index_base_b
                                        ; -- End function
	.set _ZN9rocsparseL19gebsrmvn_4xn_kernelILj128ELj8ELj4E21rocsparse_complex_numIdEEEvi20rocsparse_direction_NS_24const_host_device_scalarIT2_EEPKiS8_PKS5_SA_S6_PS5_21rocsparse_index_base_b.num_vgpr, 110
	.set _ZN9rocsparseL19gebsrmvn_4xn_kernelILj128ELj8ELj4E21rocsparse_complex_numIdEEEvi20rocsparse_direction_NS_24const_host_device_scalarIT2_EEPKiS8_PKS5_SA_S6_PS5_21rocsparse_index_base_b.num_agpr, 0
	.set _ZN9rocsparseL19gebsrmvn_4xn_kernelILj128ELj8ELj4E21rocsparse_complex_numIdEEEvi20rocsparse_direction_NS_24const_host_device_scalarIT2_EEPKiS8_PKS5_SA_S6_PS5_21rocsparse_index_base_b.numbered_sgpr, 16
	.set _ZN9rocsparseL19gebsrmvn_4xn_kernelILj128ELj8ELj4E21rocsparse_complex_numIdEEEvi20rocsparse_direction_NS_24const_host_device_scalarIT2_EEPKiS8_PKS5_SA_S6_PS5_21rocsparse_index_base_b.num_named_barrier, 0
	.set _ZN9rocsparseL19gebsrmvn_4xn_kernelILj128ELj8ELj4E21rocsparse_complex_numIdEEEvi20rocsparse_direction_NS_24const_host_device_scalarIT2_EEPKiS8_PKS5_SA_S6_PS5_21rocsparse_index_base_b.private_seg_size, 0
	.set _ZN9rocsparseL19gebsrmvn_4xn_kernelILj128ELj8ELj4E21rocsparse_complex_numIdEEEvi20rocsparse_direction_NS_24const_host_device_scalarIT2_EEPKiS8_PKS5_SA_S6_PS5_21rocsparse_index_base_b.uses_vcc, 1
	.set _ZN9rocsparseL19gebsrmvn_4xn_kernelILj128ELj8ELj4E21rocsparse_complex_numIdEEEvi20rocsparse_direction_NS_24const_host_device_scalarIT2_EEPKiS8_PKS5_SA_S6_PS5_21rocsparse_index_base_b.uses_flat_scratch, 0
	.set _ZN9rocsparseL19gebsrmvn_4xn_kernelILj128ELj8ELj4E21rocsparse_complex_numIdEEEvi20rocsparse_direction_NS_24const_host_device_scalarIT2_EEPKiS8_PKS5_SA_S6_PS5_21rocsparse_index_base_b.has_dyn_sized_stack, 0
	.set _ZN9rocsparseL19gebsrmvn_4xn_kernelILj128ELj8ELj4E21rocsparse_complex_numIdEEEvi20rocsparse_direction_NS_24const_host_device_scalarIT2_EEPKiS8_PKS5_SA_S6_PS5_21rocsparse_index_base_b.has_recursion, 0
	.set _ZN9rocsparseL19gebsrmvn_4xn_kernelILj128ELj8ELj4E21rocsparse_complex_numIdEEEvi20rocsparse_direction_NS_24const_host_device_scalarIT2_EEPKiS8_PKS5_SA_S6_PS5_21rocsparse_index_base_b.has_indirect_call, 0
	.section	.AMDGPU.csdata,"",@progbits
; Kernel info:
; codeLenInByte = 3480
; TotalNumSgprs: 22
; NumVgprs: 110
; NumAgprs: 0
; TotalNumVgprs: 110
; ScratchSize: 0
; MemoryBound: 1
; FloatMode: 240
; IeeeMode: 1
; LDSByteSize: 0 bytes/workgroup (compile time only)
; SGPRBlocks: 2
; VGPRBlocks: 13
; NumSGPRsForWavesPerEU: 22
; NumVGPRsForWavesPerEU: 110
; AccumOffset: 112
; Occupancy: 4
; WaveLimiterHint : 1
; COMPUTE_PGM_RSRC2:SCRATCH_EN: 0
; COMPUTE_PGM_RSRC2:USER_SGPR: 2
; COMPUTE_PGM_RSRC2:TRAP_HANDLER: 0
; COMPUTE_PGM_RSRC2:TGID_X_EN: 1
; COMPUTE_PGM_RSRC2:TGID_Y_EN: 0
; COMPUTE_PGM_RSRC2:TGID_Z_EN: 0
; COMPUTE_PGM_RSRC2:TIDIG_COMP_CNT: 0
; COMPUTE_PGM_RSRC3_GFX90A:ACCUM_OFFSET: 27
; COMPUTE_PGM_RSRC3_GFX90A:TG_SPLIT: 0
	.section	.text._ZN9rocsparseL19gebsrmvn_4xn_kernelILj128ELj8ELj8E21rocsparse_complex_numIdEEEvi20rocsparse_direction_NS_24const_host_device_scalarIT2_EEPKiS8_PKS5_SA_S6_PS5_21rocsparse_index_base_b,"axG",@progbits,_ZN9rocsparseL19gebsrmvn_4xn_kernelILj128ELj8ELj8E21rocsparse_complex_numIdEEEvi20rocsparse_direction_NS_24const_host_device_scalarIT2_EEPKiS8_PKS5_SA_S6_PS5_21rocsparse_index_base_b,comdat
	.globl	_ZN9rocsparseL19gebsrmvn_4xn_kernelILj128ELj8ELj8E21rocsparse_complex_numIdEEEvi20rocsparse_direction_NS_24const_host_device_scalarIT2_EEPKiS8_PKS5_SA_S6_PS5_21rocsparse_index_base_b ; -- Begin function _ZN9rocsparseL19gebsrmvn_4xn_kernelILj128ELj8ELj8E21rocsparse_complex_numIdEEEvi20rocsparse_direction_NS_24const_host_device_scalarIT2_EEPKiS8_PKS5_SA_S6_PS5_21rocsparse_index_base_b
	.p2align	8
	.type	_ZN9rocsparseL19gebsrmvn_4xn_kernelILj128ELj8ELj8E21rocsparse_complex_numIdEEEvi20rocsparse_direction_NS_24const_host_device_scalarIT2_EEPKiS8_PKS5_SA_S6_PS5_21rocsparse_index_base_b,@function
_ZN9rocsparseL19gebsrmvn_4xn_kernelILj128ELj8ELj8E21rocsparse_complex_numIdEEEvi20rocsparse_direction_NS_24const_host_device_scalarIT2_EEPKiS8_PKS5_SA_S6_PS5_21rocsparse_index_base_b: ; @_ZN9rocsparseL19gebsrmvn_4xn_kernelILj128ELj8ELj8E21rocsparse_complex_numIdEEEvi20rocsparse_direction_NS_24const_host_device_scalarIT2_EEPKiS8_PKS5_SA_S6_PS5_21rocsparse_index_base_b
; %bb.0:
	s_load_dwordx2 s[4:5], s[0:1], 0x8
	s_load_dwordx2 s[6:7], s[0:1], 0x38
	;; [unrolled: 1-line block ×3, first 2 shown]
	s_add_u32 s3, s0, 8
	s_addc_u32 s8, s1, 0
	s_add_u32 s9, s0, 56
	s_addc_u32 s10, s1, 0
	s_waitcnt lgkmcnt(0)
	s_bitcmp1_b32 s13, 0
	s_cselect_b32 s5, s8, s5
	s_cselect_b32 s3, s3, s4
	v_mov_b32_e32 v2, s3
	v_mov_b32_e32 v3, s5
	flat_load_dwordx4 v[2:5], v[2:3]
	s_cselect_b32 s3, s10, s7
	s_cselect_b32 s4, s9, s6
	v_mov_b32_e32 v6, s4
	v_mov_b32_e32 v7, s3
	flat_load_dwordx4 v[6:9], v[6:7]
	s_waitcnt vmcnt(0) lgkmcnt(0)
	v_cmp_eq_f64_e32 vcc, 0, v[2:3]
	v_cmp_eq_f64_e64 s[4:5], 0, v[4:5]
	s_and_b64 s[8:9], vcc, s[4:5]
	s_mov_b64 s[4:5], -1
	s_and_saveexec_b64 s[6:7], s[8:9]
; %bb.1:
	v_cmp_neq_f64_e32 vcc, 1.0, v[6:7]
	v_cmp_neq_f64_e64 s[4:5], 0, v[8:9]
	s_or_b64 s[4:5], vcc, s[4:5]
	s_orn2_b64 s[4:5], s[4:5], exec
; %bb.2:
	s_or_b64 exec, exec, s[6:7]
	s_and_saveexec_b64 s[6:7], s[4:5]
	s_cbranch_execz .LBB142_21
; %bb.3:
	s_load_dwordx2 s[14:15], s[0:1], 0x0
	v_lshrrev_b32_e32 v1, 3, v0
	v_lshl_or_b32 v70, s2, 4, v1
	s_waitcnt lgkmcnt(0)
	v_cmp_gt_i32_e32 vcc, s14, v70
	s_and_b64 exec, exec, vcc
	s_cbranch_execz .LBB142_21
; %bb.4:
	s_load_dwordx8 s[4:11], s[0:1], 0x18
	v_ashrrev_i32_e32 v71, 31, v70
	s_cmp_lg_u32 s15, 0
	s_waitcnt lgkmcnt(0)
	v_lshl_add_u64 v[10:11], v[70:71], 2, s[4:5]
	global_load_dwordx2 v[10:11], v[10:11], off
	v_and_b32_e32 v71, 7, v0
	s_waitcnt vmcnt(0)
	v_subrev_u32_e32 v0, s12, v10
	v_subrev_u32_e32 v88, s12, v11
	v_add_u32_e32 v78, v0, v71
	v_cmp_lt_i32_e64 s[2:3], v78, v88
	s_cbranch_scc0 .LBB142_10
; %bb.5:
	v_mov_b64_e32 v[74:75], 0
	v_mov_b64_e32 v[14:15], 0
	v_mov_b64_e32 v[38:39], 0
	v_mov_b64_e32 v[0:1], 0
	v_mov_b64_e32 v[40:41], 0
	v_mov_b64_e32 v[72:73], 0
	v_mov_b64_e32 v[50:51], 0
	v_mov_b64_e32 v[76:77], 0
	s_and_saveexec_b64 s[4:5], s[2:3]
	s_cbranch_execz .LBB142_9
; %bb.6:
	v_lshlrev_b32_e32 v80, 5, v78
	v_mov_b64_e32 v[74:75], 0
	s_mov_b64 s[14:15], 0
	v_mov_b32_e32 v81, 0
	v_mov_b32_e32 v82, v78
	v_mov_b64_e32 v[14:15], 0
	v_mov_b64_e32 v[38:39], 0
	;; [unrolled: 1-line block ×7, first 2 shown]
.LBB142_7:                              ; =>This Inner Loop Header: Depth=1
	v_ashrrev_i32_e32 v83, 31, v82
	v_lshl_add_u64 v[84:85], v[80:81], 4, s[8:9]
	v_lshl_add_u64 v[52:53], v[82:83], 2, s[6:7]
	global_load_dwordx4 v[34:37], v[84:85], off offset:48
	global_load_dwordx4 v[58:61], v[84:85], off offset:32
	;; [unrolled: 1-line block ×3, first 2 shown]
	global_load_dwordx4 v[46:49], v[84:85], off
	global_load_dwordx4 v[26:29], v[84:85], off offset:112
	global_load_dwordx4 v[30:33], v[84:85], off offset:96
	;; [unrolled: 1-line block ×10, first 2 shown]
	global_load_dword v16, v[52:53], off
	v_mov_b32_e32 v17, v81
	v_add_u32_e32 v82, 8, v82
	v_cmp_ge_i32_e32 vcc, v82, v88
	v_add_u32_e32 v80, 0x100, v80
	s_or_b64 s[14:15], vcc, s[14:15]
	s_waitcnt vmcnt(0)
	v_subrev_u32_e32 v16, s12, v16
	v_lshlrev_b32_e32 v16, 3, v16
	v_lshl_add_u64 v[86:87], v[16:17], 4, s[10:11]
	global_load_dwordx4 v[98:101], v[86:87], off
	global_load_dwordx4 v[102:105], v[86:87], off offset:16
	s_waitcnt vmcnt(1)
	v_fmac_f64_e32 v[14:15], v[46:47], v[98:99]
	v_fmac_f64_e32 v[74:75], v[48:49], v[98:99]
	;; [unrolled: 1-line block ×6, first 2 shown]
	v_fma_f64 v[52:53], -v[48:49], v[100:101], v[14:15]
	v_fmac_f64_e32 v[74:75], v[46:47], v[100:101]
	v_fma_f64 v[50:51], -v[64:65], v[100:101], v[50:51]
	v_fmac_f64_e32 v[76:77], v[62:63], v[100:101]
	;; [unrolled: 2-line block ×3, first 2 shown]
	v_fmac_f64_e32 v[38:39], v[34:35], v[98:99]
	v_fmac_f64_e32 v[0:1], v[36:37], v[98:99]
	s_waitcnt vmcnt(0)
	v_fmac_f64_e32 v[52:53], v[94:95], v[102:103]
	v_fmac_f64_e32 v[74:75], v[96:97], v[102:103]
	;; [unrolled: 1-line block ×6, first 2 shown]
	global_load_dwordx4 v[46:49], v[84:85], off offset:208
	global_load_dwordx4 v[62:65], v[84:85], off offset:192
	;; [unrolled: 1-line block ×3, first 2 shown]
	v_fma_f64 v[98:99], -v[36:37], v[100:101], v[38:39]
	v_fmac_f64_e32 v[0:1], v[34:35], v[100:101]
	global_load_dwordx4 v[34:37], v[84:85], off offset:288
	global_load_dwordx4 v[38:41], v[84:85], off offset:272
	v_fma_f64 v[100:101], -v[96:97], v[104:105], v[52:53]
	v_fmac_f64_e32 v[74:75], v[94:95], v[104:105]
	global_load_dwordx4 v[58:61], v[84:85], off offset:256
	v_fma_f64 v[108:109], -v[92:93], v[104:105], v[50:51]
	v_fmac_f64_e32 v[76:77], v[90:91], v[104:105]
	;; [unrolled: 3-line block ×3, first 2 shown]
	global_load_dwordx4 v[30:33], v[84:85], off offset:352
	global_load_dwordx4 v[90:93], v[86:87], off offset:32
	;; [unrolled: 1-line block ×3, first 2 shown]
	v_fmac_f64_e32 v[98:99], v[26:27], v[102:103]
	v_fmac_f64_e32 v[0:1], v[28:29], v[102:103]
	v_fma_f64 v[98:99], -v[28:29], v[104:105], v[98:99]
	v_fmac_f64_e32 v[0:1], v[26:27], v[104:105]
	global_load_dwordx4 v[26:29], v[84:85], off offset:336
	s_waitcnt vmcnt(2)
	v_fmac_f64_e32 v[100:101], v[66:67], v[90:91]
	v_fmac_f64_e32 v[74:75], v[68:69], v[90:91]
	;; [unrolled: 1-line block ×8, first 2 shown]
	v_fma_f64 v[100:101], -v[68:69], v[92:93], v[100:101]
	v_fmac_f64_e32 v[74:75], v[66:67], v[92:93]
	v_fma_f64 v[102:103], -v[56:57], v[92:93], v[108:109]
	v_fmac_f64_e32 v[76:77], v[54:55], v[92:93]
	;; [unrolled: 2-line block ×4, first 2 shown]
	s_waitcnt vmcnt(1)
	v_fmac_f64_e32 v[100:101], v[62:63], v[94:95]
	v_fmac_f64_e32 v[74:75], v[64:65], v[94:95]
	;; [unrolled: 1-line block ×8, first 2 shown]
	global_load_dwordx4 v[54:57], v[84:85], off offset:320
	global_load_dwordx4 v[42:45], v[84:85], off offset:432
	;; [unrolled: 1-line block ×4, first 2 shown]
	v_fma_f64 v[98:99], -v[64:65], v[96:97], v[100:101]
	v_fmac_f64_e32 v[74:75], v[62:63], v[96:97]
	global_load_dwordx4 v[62:65], v[84:85], off offset:384
	v_fma_f64 v[100:101], -v[48:49], v[96:97], v[102:103]
	v_fmac_f64_e32 v[76:77], v[46:47], v[96:97]
	global_load_dwordx4 v[46:49], v[84:85], off offset:464
	;; [unrolled: 3-line block ×4, first 2 shown]
	global_load_dwordx4 v[90:93], v[86:87], off offset:80
	s_waitcnt vmcnt(1)
	v_fmac_f64_e32 v[98:99], v[58:59], v[10:11]
	v_fmac_f64_e32 v[74:75], v[60:61], v[10:11]
	;; [unrolled: 1-line block ×4, first 2 shown]
	v_fma_f64 v[98:99], -v[60:61], v[12:13], v[98:99]
	v_fmac_f64_e32 v[74:75], v[58:59], v[12:13]
	global_load_dwordx4 v[58:61], v[84:85], off offset:480
	global_load_dwordx4 v[94:97], v[84:85], off offset:496
	v_fma_f64 v[84:85], -v[40:41], v[12:13], v[100:101]
	v_fmac_f64_e32 v[76:77], v[38:39], v[12:13]
	global_load_dwordx4 v[38:41], v[86:87], off offset:96
	v_fmac_f64_e32 v[102:103], v[34:35], v[10:11]
	v_fmac_f64_e32 v[72:73], v[36:37], v[10:11]
	v_fma_f64 v[100:101], -v[36:37], v[12:13], v[102:103]
	v_fmac_f64_e32 v[72:73], v[34:35], v[12:13]
	global_load_dwordx4 v[34:37], v[86:87], off offset:112
	v_fmac_f64_e32 v[104:105], v[14:15], v[10:11]
	v_fmac_f64_e32 v[0:1], v[16:17], v[10:11]
	v_fma_f64 v[10:11], -v[16:17], v[12:13], v[104:105]
	v_fmac_f64_e32 v[0:1], v[14:15], v[12:13]
	s_waitcnt vmcnt(4)
	v_fmac_f64_e32 v[98:99], v[54:55], v[90:91]
	v_fmac_f64_e32 v[74:75], v[56:57], v[90:91]
	v_fmac_f64_e32 v[84:85], v[26:27], v[90:91]
	v_fmac_f64_e32 v[76:77], v[28:29], v[90:91]
	v_fmac_f64_e32 v[100:101], v[30:31], v[90:91]
	v_fmac_f64_e32 v[72:73], v[32:33], v[90:91]
	v_fmac_f64_e32 v[10:11], v[50:51], v[90:91]
	v_fmac_f64_e32 v[0:1], v[52:53], v[90:91]
	v_fma_f64 v[12:13], -v[56:57], v[92:93], v[98:99]
	v_fmac_f64_e32 v[74:75], v[54:55], v[92:93]
	v_fma_f64 v[14:15], -v[28:29], v[92:93], v[84:85]
	v_fmac_f64_e32 v[76:77], v[26:27], v[92:93]
	v_fma_f64 v[16:17], -v[32:33], v[92:93], v[100:101]
	v_fmac_f64_e32 v[72:73], v[30:31], v[92:93]
	v_fma_f64 v[10:11], -v[52:53], v[92:93], v[10:11]
	v_fmac_f64_e32 v[0:1], v[50:51], v[92:93]
	s_waitcnt vmcnt(1)
	v_fmac_f64_e32 v[12:13], v[62:63], v[38:39]
	v_fmac_f64_e32 v[74:75], v[64:65], v[38:39]
	v_fmac_f64_e32 v[14:15], v[66:67], v[38:39]
	v_fmac_f64_e32 v[76:77], v[68:69], v[38:39]
	v_fmac_f64_e32 v[16:17], v[22:23], v[38:39]
	v_fmac_f64_e32 v[72:73], v[24:25], v[38:39]
	v_fmac_f64_e32 v[10:11], v[42:43], v[38:39]
	v_fmac_f64_e32 v[0:1], v[44:45], v[38:39]
	v_fma_f64 v[12:13], -v[64:65], v[40:41], v[12:13]
	v_fmac_f64_e32 v[74:75], v[62:63], v[40:41]
	v_fma_f64 v[26:27], -v[68:69], v[40:41], v[14:15]
	v_fmac_f64_e32 v[76:77], v[66:67], v[40:41]
	v_fma_f64 v[16:17], -v[24:25], v[40:41], v[16:17]
	;; [unrolled: 17-line block ×3, first 2 shown]
	v_fmac_f64_e32 v[72:73], v[58:59], v[36:37]
	v_fma_f64 v[38:39], -v[96:97], v[36:37], v[10:11]
	v_fmac_f64_e32 v[0:1], v[94:95], v[36:37]
	s_andn2_b64 exec, exec, s[14:15]
	s_cbranch_execnz .LBB142_7
; %bb.8:
	s_or_b64 exec, exec, s[14:15]
.LBB142_9:
	s_or_b64 exec, exec, s[4:5]
	s_cbranch_execz .LBB142_11
	s_branch .LBB142_16
.LBB142_10:
                                        ; implicit-def: $vgpr74_vgpr75
                                        ; implicit-def: $vgpr14_vgpr15
                                        ; implicit-def: $vgpr38_vgpr39
                                        ; implicit-def: $vgpr0_vgpr1
                                        ; implicit-def: $vgpr40_vgpr41
                                        ; implicit-def: $vgpr72_vgpr73
                                        ; implicit-def: $vgpr50_vgpr51
                                        ; implicit-def: $vgpr76_vgpr77
.LBB142_11:
	v_mov_b64_e32 v[74:75], 0
	v_mov_b64_e32 v[14:15], 0
	;; [unrolled: 1-line block ×8, first 2 shown]
	s_and_saveexec_b64 s[4:5], s[2:3]
	s_cbranch_execz .LBB142_15
; %bb.12:
	v_lshlrev_b32_e32 v26, 5, v78
	v_mov_b64_e32 v[74:75], 0
	s_mov_b64 s[2:3], 0
	v_mov_b32_e32 v27, 0
	v_mov_b64_e32 v[14:15], 0
	v_mov_b64_e32 v[38:39], 0
	;; [unrolled: 1-line block ×7, first 2 shown]
.LBB142_13:                             ; =>This Inner Loop Header: Depth=1
	v_ashrrev_i32_e32 v79, 31, v78
	v_lshl_add_u64 v[28:29], v[26:27], 4, s[8:9]
	v_lshl_add_u64 v[30:31], v[78:79], 2, s[6:7]
	global_load_dwordx4 v[18:21], v[28:29], off offset:16
	global_load_dwordx4 v[22:25], v[28:29], off
	global_load_dwordx4 v[32:35], v[28:29], off offset:144
	global_load_dwordx4 v[42:45], v[28:29], off offset:128
	;; [unrolled: 1-line block ×8, first 2 shown]
	global_load_dword v16, v[30:31], off
	v_mov_b32_e32 v17, v27
	v_add_u32_e32 v78, 8, v78
	v_cmp_ge_i32_e32 vcc, v78, v88
	v_add_u32_e32 v26, 0x100, v26
	s_or_b64 s[2:3], vcc, s[2:3]
	s_waitcnt vmcnt(0)
	v_subrev_u32_e32 v16, s12, v16
	v_lshlrev_b32_e32 v16, 3, v16
	v_lshl_add_u64 v[30:31], v[16:17], 4, s[10:11]
	global_load_dwordx4 v[80:83], v[30:31], off
	global_load_dwordx4 v[84:87], v[30:31], off offset:16
	s_waitcnt vmcnt(1)
	v_fmac_f64_e32 v[14:15], v[22:23], v[80:81]
	v_fmac_f64_e32 v[74:75], v[24:25], v[80:81]
	;; [unrolled: 1-line block ×8, first 2 shown]
	v_fma_f64 v[68:69], -v[24:25], v[82:83], v[14:15]
	v_fmac_f64_e32 v[74:75], v[22:23], v[82:83]
	v_fma_f64 v[90:91], -v[44:45], v[82:83], v[50:51]
	v_fmac_f64_e32 v[76:77], v[42:43], v[82:83]
	;; [unrolled: 2-line block ×4, first 2 shown]
	global_load_dwordx4 v[14:17], v[28:29], off offset:176
	global_load_dwordx4 v[42:45], v[28:29], off offset:160
	;; [unrolled: 1-line block ×5, first 2 shown]
	s_waitcnt vmcnt(5)
	v_fmac_f64_e32 v[68:69], v[18:19], v[84:85]
	v_fmac_f64_e32 v[74:75], v[20:21], v[84:85]
	v_fmac_f64_e32 v[90:91], v[32:33], v[84:85]
	v_fmac_f64_e32 v[76:77], v[34:35], v[84:85]
	v_fmac_f64_e32 v[40:41], v[46:47], v[84:85]
	v_fmac_f64_e32 v[72:73], v[48:49], v[84:85]
	v_fmac_f64_e32 v[58:59], v[60:61], v[84:85]
	v_fmac_f64_e32 v[0:1], v[62:63], v[84:85]
	v_fma_f64 v[68:69], -v[20:21], v[86:87], v[68:69]
	v_fmac_f64_e32 v[74:75], v[18:19], v[86:87]
	global_load_dwordx4 v[54:57], v[28:29], off offset:432
	v_fma_f64 v[80:81], -v[34:35], v[86:87], v[90:91]
	v_fmac_f64_e32 v[76:77], v[32:33], v[86:87]
	global_load_dwordx4 v[18:21], v[28:29], off offset:80
	global_load_dwordx4 v[32:35], v[28:29], off offset:64
	v_fma_f64 v[82:83], -v[48:49], v[86:87], v[40:41]
	v_fmac_f64_e32 v[72:73], v[46:47], v[86:87]
	v_fma_f64 v[84:85], -v[62:63], v[86:87], v[58:59]
	v_fmac_f64_e32 v[0:1], v[60:61], v[86:87]
	global_load_dwordx4 v[46:49], v[30:31], off offset:32
	global_load_dwordx4 v[58:61], v[30:31], off offset:48
	s_waitcnt vmcnt(1)
	v_fmac_f64_e32 v[68:69], v[64:65], v[46:47]
	v_fmac_f64_e32 v[74:75], v[66:67], v[46:47]
	;; [unrolled: 1-line block ×8, first 2 shown]
	v_fma_f64 v[66:67], -v[66:67], v[48:49], v[68:69]
	v_fmac_f64_e32 v[74:75], v[64:65], v[48:49]
	v_fma_f64 v[68:69], -v[44:45], v[48:49], v[80:81]
	v_fmac_f64_e32 v[76:77], v[42:43], v[48:49]
	v_fma_f64 v[80:81], -v[38:39], v[48:49], v[82:83]
	v_fmac_f64_e32 v[72:73], v[36:37], v[48:49]
	v_fma_f64 v[52:53], -v[52:53], v[48:49], v[84:85]
	v_fmac_f64_e32 v[0:1], v[50:51], v[48:49]
	s_waitcnt vmcnt(0)
	v_fmac_f64_e32 v[66:67], v[10:11], v[58:59]
	v_fmac_f64_e32 v[74:75], v[12:13], v[58:59]
	;; [unrolled: 1-line block ×8, first 2 shown]
	global_load_dwordx4 v[62:65], v[28:29], off offset:208
	global_load_dwordx4 v[40:43], v[28:29], off offset:192
	;; [unrolled: 1-line block ×5, first 2 shown]
	v_fma_f64 v[82:83], -v[12:13], v[60:61], v[66:67]
	v_fmac_f64_e32 v[74:75], v[10:11], v[60:61]
	global_load_dwordx4 v[10:13], v[28:29], off offset:464
	v_fma_f64 v[84:85], -v[16:17], v[60:61], v[68:69]
	v_fmac_f64_e32 v[76:77], v[14:15], v[60:61]
	global_load_dwordx4 v[66:69], v[28:29], off offset:112
	global_load_dwordx4 v[14:17], v[28:29], off offset:96
	v_fma_f64 v[80:81], -v[24:25], v[60:61], v[80:81]
	v_fmac_f64_e32 v[72:73], v[22:23], v[60:61]
	v_fma_f64 v[56:57], -v[56:57], v[60:61], v[52:53]
	v_fmac_f64_e32 v[0:1], v[54:55], v[60:61]
	global_load_dwordx4 v[22:25], v[30:31], off offset:64
	global_load_dwordx4 v[52:55], v[30:31], off offset:80
	s_waitcnt vmcnt(1)
	v_fmac_f64_e32 v[82:83], v[32:33], v[22:23]
	v_fmac_f64_e32 v[74:75], v[34:35], v[22:23]
	v_fma_f64 v[60:61], -v[34:35], v[24:25], v[82:83]
	v_fmac_f64_e32 v[74:75], v[32:33], v[24:25]
	v_fmac_f64_e32 v[84:85], v[40:41], v[22:23]
	;; [unrolled: 1-line block ×7, first 2 shown]
	s_waitcnt vmcnt(0)
	v_fmac_f64_e32 v[60:61], v[18:19], v[52:53]
	v_fmac_f64_e32 v[74:75], v[20:21], v[52:53]
	global_load_dwordx4 v[32:35], v[28:29], off offset:240
	v_fma_f64 v[82:83], -v[42:43], v[24:25], v[84:85]
	v_fmac_f64_e32 v[76:77], v[40:41], v[24:25]
	global_load_dwordx4 v[40:43], v[28:29], off offset:224
	v_fma_f64 v[80:81], -v[46:47], v[24:25], v[80:81]
	;; [unrolled: 3-line block ×3, first 2 shown]
	v_fmac_f64_e32 v[0:1], v[48:49], v[24:25]
	global_load_dwordx4 v[22:25], v[28:29], off offset:352
	global_load_dwordx4 v[56:59], v[28:29], off offset:496
	;; [unrolled: 1-line block ×3, first 2 shown]
	v_fma_f64 v[60:61], -v[20:21], v[54:55], v[60:61]
	v_fmac_f64_e32 v[74:75], v[18:19], v[54:55]
	global_load_dwordx4 v[18:21], v[30:31], off offset:96
	v_fmac_f64_e32 v[82:83], v[62:63], v[52:53]
	global_load_dwordx4 v[28:31], v[30:31], off offset:112
	v_fmac_f64_e32 v[76:77], v[64:65], v[52:53]
	v_fmac_f64_e32 v[80:81], v[36:37], v[52:53]
	;; [unrolled: 1-line block ×5, first 2 shown]
	v_fma_f64 v[64:65], -v[64:65], v[54:55], v[82:83]
	v_fmac_f64_e32 v[76:77], v[62:63], v[54:55]
	v_fma_f64 v[38:39], -v[38:39], v[54:55], v[80:81]
	v_fmac_f64_e32 v[72:73], v[36:37], v[54:55]
	;; [unrolled: 2-line block ×3, first 2 shown]
	s_waitcnt vmcnt(1)
	v_fmac_f64_e32 v[60:61], v[14:15], v[18:19]
	v_fmac_f64_e32 v[74:75], v[16:17], v[18:19]
	;; [unrolled: 1-line block ×8, first 2 shown]
	v_fma_f64 v[10:11], -v[16:17], v[20:21], v[60:61]
	v_fmac_f64_e32 v[74:75], v[14:15], v[20:21]
	v_fma_f64 v[16:17], -v[42:43], v[20:21], v[64:65]
	v_fmac_f64_e32 v[76:77], v[40:41], v[20:21]
	;; [unrolled: 2-line block ×4, first 2 shown]
	s_waitcnt vmcnt(0)
	v_fmac_f64_e32 v[10:11], v[66:67], v[28:29]
	v_fmac_f64_e32 v[74:75], v[68:69], v[28:29]
	;; [unrolled: 1-line block ×8, first 2 shown]
	v_fma_f64 v[14:15], -v[68:69], v[30:31], v[10:11]
	v_fmac_f64_e32 v[74:75], v[66:67], v[30:31]
	v_fma_f64 v[50:51], -v[34:35], v[30:31], v[16:17]
	v_fmac_f64_e32 v[76:77], v[32:33], v[30:31]
	;; [unrolled: 2-line block ×4, first 2 shown]
	s_andn2_b64 exec, exec, s[2:3]
	s_cbranch_execnz .LBB142_13
; %bb.14:
	s_or_b64 exec, exec, s[2:3]
.LBB142_15:
	s_or_b64 exec, exec, s[4:5]
.LBB142_16:
	v_mov_b32_dpp v10, v14 row_shr:1 row_mask:0xf bank_mask:0xf
	v_mov_b32_dpp v11, v15 row_shr:1 row_mask:0xf bank_mask:0xf
	v_add_f64 v[10:11], v[14:15], v[10:11]
	v_mov_b32_dpp v14, v74 row_shr:1 row_mask:0xf bank_mask:0xf
	v_mov_b32_dpp v15, v75 row_shr:1 row_mask:0xf bank_mask:0xf
	v_add_f64 v[14:15], v[74:75], v[14:15]
	v_mov_b32_dpp v12, v10 row_shr:2 row_mask:0xf bank_mask:0xf
	v_mov_b32_dpp v13, v11 row_shr:2 row_mask:0xf bank_mask:0xf
	;; [unrolled: 1-line block ×4, first 2 shown]
	v_add_f64 v[14:15], v[14:15], v[16:17]
	v_mov_b32_dpp v16, v50 row_shr:1 row_mask:0xf bank_mask:0xf
	v_mov_b32_dpp v17, v51 row_shr:1 row_mask:0xf bank_mask:0xf
	v_add_f64 v[16:17], v[50:51], v[16:17]
	v_add_f64 v[10:11], v[10:11], v[12:13]
	v_mov_b32_dpp v18, v14 row_shr:4 row_mask:0xf bank_mask:0xe
	v_mov_b32_dpp v20, v16 row_shr:2 row_mask:0xf bank_mask:0xf
	v_mov_b32_dpp v21, v17 row_shr:2 row_mask:0xf bank_mask:0xf
	v_add_f64 v[20:21], v[16:17], v[20:21]
	v_mov_b32_dpp v16, v76 row_shr:1 row_mask:0xf bank_mask:0xf
	v_mov_b32_dpp v17, v77 row_shr:1 row_mask:0xf bank_mask:0xf
	v_add_f64 v[16:17], v[76:77], v[16:17]
	v_mov_b32_dpp v12, v10 row_shr:4 row_mask:0xf bank_mask:0xe
	v_mov_b32_dpp v13, v11 row_shr:4 row_mask:0xf bank_mask:0xe
	v_mov_b32_dpp v22, v16 row_shr:2 row_mask:0xf bank_mask:0xf
	v_mov_b32_dpp v23, v17 row_shr:2 row_mask:0xf bank_mask:0xf
	v_add_f64 v[26:27], v[16:17], v[22:23]
	v_mov_b32_dpp v16, v40 row_shr:1 row_mask:0xf bank_mask:0xf
	v_mov_b32_dpp v17, v41 row_shr:1 row_mask:0xf bank_mask:0xf
	v_add_f64 v[16:17], v[40:41], v[16:17]
	v_mov_b32_dpp v19, v15 row_shr:4 row_mask:0xf bank_mask:0xe
	;; [unrolled: 8-line block ×5, first 2 shown]
	v_mov_b32_dpp v36, v34 row_shr:4 row_mask:0xf bank_mask:0xe
	v_mov_b32_dpp v16, v0 row_shr:2 row_mask:0xf bank_mask:0xf
	;; [unrolled: 1-line block ×3, first 2 shown]
	v_add_f64 v[42:43], v[0:1], v[16:17]
	v_mov_b32_dpp v37, v35 row_shr:4 row_mask:0xf bank_mask:0xe
	v_mov_b32_dpp v40, v38 row_shr:4 row_mask:0xf bank_mask:0xe
	;; [unrolled: 1-line block ×5, first 2 shown]
	v_cmp_eq_u32_e32 vcc, 7, v71
	s_and_b64 exec, exec, vcc
	s_cbranch_execz .LBB142_21
; %bb.17:
	s_load_dwordx2 s[2:3], s[0:1], 0x48
	v_cmp_eq_f64_e32 vcc, 0, v[6:7]
	v_cmp_eq_f64_e64 s[0:1], 0, v[8:9]
	v_add_f64 v[16:17], v[10:11], v[12:13]
	v_add_f64 v[22:23], v[14:15], v[18:19]
	;; [unrolled: 1-line block ×8, first 2 shown]
	s_and_b64 s[0:1], vcc, s[0:1]
	s_and_saveexec_b64 s[4:5], s[0:1]
	s_xor_b64 s[0:1], exec, s[4:5]
	s_cbranch_execz .LBB142_19
; %bb.18:
	v_mul_f64 v[6:7], v[22:23], -v[4:5]
	v_mul_f64 v[8:9], v[2:3], v[22:23]
	v_fmac_f64_e32 v[6:7], v[2:3], v[16:17]
	v_fmac_f64_e32 v[8:9], v[4:5], v[16:17]
	v_lshlrev_b32_e32 v16, 2, v70
	v_ashrrev_i32_e32 v17, 31, v16
	s_waitcnt lgkmcnt(0)
	v_lshl_add_u64 v[16:17], v[16:17], 4, s[2:3]
	global_store_dwordx4 v[16:17], v[6:9], off
                                        ; implicit-def: $vgpr70
                                        ; implicit-def: $vgpr22_vgpr23
	s_nop 1
	v_mul_f64 v[6:7], v[20:21], -v[4:5]
	v_mul_f64 v[8:9], v[2:3], v[20:21]
	v_fmac_f64_e32 v[6:7], v[2:3], v[12:13]
	v_fmac_f64_e32 v[8:9], v[4:5], v[12:13]
	global_store_dwordx4 v[16:17], v[6:9], off offset:16
                                        ; implicit-def: $vgpr12_vgpr13
                                        ; implicit-def: $vgpr20_vgpr21
	s_nop 1
	v_mul_f64 v[6:7], v[18:19], -v[4:5]
	v_mul_f64 v[8:9], v[2:3], v[18:19]
	v_fmac_f64_e32 v[6:7], v[2:3], v[10:11]
	v_fmac_f64_e32 v[8:9], v[4:5], v[10:11]
	global_store_dwordx4 v[16:17], v[6:9], off offset:32
                                        ; implicit-def: $vgpr10_vgpr11
                                        ; implicit-def: $vgpr18_vgpr19
	s_nop 1
	v_mul_f64 v[6:7], v[14:15], -v[4:5]
	v_mul_f64 v[8:9], v[2:3], v[14:15]
	v_fmac_f64_e32 v[6:7], v[2:3], v[0:1]
	v_fmac_f64_e32 v[8:9], v[4:5], v[0:1]
	global_store_dwordx4 v[16:17], v[6:9], off offset:48
                                        ; implicit-def: $vgpr16_vgpr17
                                        ; implicit-def: $vgpr0_vgpr1
                                        ; implicit-def: $vgpr14_vgpr15
                                        ; implicit-def: $vgpr8_vgpr9
                                        ; implicit-def: $vgpr4_vgpr5
.LBB142_19:
	s_andn2_saveexec_b64 s[0:1], s[0:1]
	s_cbranch_execz .LBB142_21
; %bb.20:
	v_lshlrev_b32_e32 v24, 2, v70
	v_ashrrev_i32_e32 v25, 31, v24
	s_waitcnt lgkmcnt(0)
	v_lshl_add_u64 v[44:45], v[24:25], 4, s[2:3]
	global_load_dwordx4 v[24:27], v[44:45], off
	global_load_dwordx4 v[28:31], v[44:45], off offset:16
	global_load_dwordx4 v[32:35], v[44:45], off offset:32
	;; [unrolled: 1-line block ×3, first 2 shown]
	v_mul_f64 v[40:41], v[22:23], -v[4:5]
	v_mul_f64 v[22:23], v[2:3], v[22:23]
	v_mul_f64 v[46:47], v[20:21], -v[4:5]
	v_mul_f64 v[42:43], v[2:3], v[20:21]
	;; [unrolled: 2-line block ×4, first 2 shown]
	v_fmac_f64_e32 v[40:41], v[2:3], v[16:17]
	v_fmac_f64_e32 v[22:23], v[4:5], v[16:17]
	;; [unrolled: 1-line block ×8, first 2 shown]
	s_waitcnt vmcnt(3)
	v_fmac_f64_e32 v[40:41], v[6:7], v[24:25]
	v_fmac_f64_e32 v[22:23], v[8:9], v[24:25]
	s_waitcnt vmcnt(2)
	v_fmac_f64_e32 v[46:47], v[6:7], v[28:29]
	v_fmac_f64_e32 v[42:43], v[8:9], v[28:29]
	;; [unrolled: 3-line block ×4, first 2 shown]
	v_fma_f64 v[20:21], -v[8:9], v[26:27], v[40:41]
	v_fmac_f64_e32 v[22:23], v[6:7], v[26:27]
	v_fma_f64 v[40:41], -v[8:9], v[30:31], v[46:47]
	v_fmac_f64_e32 v[42:43], v[6:7], v[30:31]
	;; [unrolled: 2-line block ×4, first 2 shown]
	global_store_dwordx4 v[44:45], v[20:23], off
	global_store_dwordx4 v[44:45], v[40:43], off offset:16
	global_store_dwordx4 v[44:45], v[16:19], off offset:32
	;; [unrolled: 1-line block ×3, first 2 shown]
.LBB142_21:
	s_endpgm
	.section	.rodata,"a",@progbits
	.p2align	6, 0x0
	.amdhsa_kernel _ZN9rocsparseL19gebsrmvn_4xn_kernelILj128ELj8ELj8E21rocsparse_complex_numIdEEEvi20rocsparse_direction_NS_24const_host_device_scalarIT2_EEPKiS8_PKS5_SA_S6_PS5_21rocsparse_index_base_b
		.amdhsa_group_segment_fixed_size 0
		.amdhsa_private_segment_fixed_size 0
		.amdhsa_kernarg_size 88
		.amdhsa_user_sgpr_count 2
		.amdhsa_user_sgpr_dispatch_ptr 0
		.amdhsa_user_sgpr_queue_ptr 0
		.amdhsa_user_sgpr_kernarg_segment_ptr 1
		.amdhsa_user_sgpr_dispatch_id 0
		.amdhsa_user_sgpr_kernarg_preload_length 0
		.amdhsa_user_sgpr_kernarg_preload_offset 0
		.amdhsa_user_sgpr_private_segment_size 0
		.amdhsa_uses_dynamic_stack 0
		.amdhsa_enable_private_segment 0
		.amdhsa_system_sgpr_workgroup_id_x 1
		.amdhsa_system_sgpr_workgroup_id_y 0
		.amdhsa_system_sgpr_workgroup_id_z 0
		.amdhsa_system_sgpr_workgroup_info 0
		.amdhsa_system_vgpr_workitem_id 0
		.amdhsa_next_free_vgpr 110
		.amdhsa_next_free_sgpr 16
		.amdhsa_accum_offset 112
		.amdhsa_reserve_vcc 1
		.amdhsa_float_round_mode_32 0
		.amdhsa_float_round_mode_16_64 0
		.amdhsa_float_denorm_mode_32 3
		.amdhsa_float_denorm_mode_16_64 3
		.amdhsa_dx10_clamp 1
		.amdhsa_ieee_mode 1
		.amdhsa_fp16_overflow 0
		.amdhsa_tg_split 0
		.amdhsa_exception_fp_ieee_invalid_op 0
		.amdhsa_exception_fp_denorm_src 0
		.amdhsa_exception_fp_ieee_div_zero 0
		.amdhsa_exception_fp_ieee_overflow 0
		.amdhsa_exception_fp_ieee_underflow 0
		.amdhsa_exception_fp_ieee_inexact 0
		.amdhsa_exception_int_div_zero 0
	.end_amdhsa_kernel
	.section	.text._ZN9rocsparseL19gebsrmvn_4xn_kernelILj128ELj8ELj8E21rocsparse_complex_numIdEEEvi20rocsparse_direction_NS_24const_host_device_scalarIT2_EEPKiS8_PKS5_SA_S6_PS5_21rocsparse_index_base_b,"axG",@progbits,_ZN9rocsparseL19gebsrmvn_4xn_kernelILj128ELj8ELj8E21rocsparse_complex_numIdEEEvi20rocsparse_direction_NS_24const_host_device_scalarIT2_EEPKiS8_PKS5_SA_S6_PS5_21rocsparse_index_base_b,comdat
.Lfunc_end142:
	.size	_ZN9rocsparseL19gebsrmvn_4xn_kernelILj128ELj8ELj8E21rocsparse_complex_numIdEEEvi20rocsparse_direction_NS_24const_host_device_scalarIT2_EEPKiS8_PKS5_SA_S6_PS5_21rocsparse_index_base_b, .Lfunc_end142-_ZN9rocsparseL19gebsrmvn_4xn_kernelILj128ELj8ELj8E21rocsparse_complex_numIdEEEvi20rocsparse_direction_NS_24const_host_device_scalarIT2_EEPKiS8_PKS5_SA_S6_PS5_21rocsparse_index_base_b
                                        ; -- End function
	.set _ZN9rocsparseL19gebsrmvn_4xn_kernelILj128ELj8ELj8E21rocsparse_complex_numIdEEEvi20rocsparse_direction_NS_24const_host_device_scalarIT2_EEPKiS8_PKS5_SA_S6_PS5_21rocsparse_index_base_b.num_vgpr, 110
	.set _ZN9rocsparseL19gebsrmvn_4xn_kernelILj128ELj8ELj8E21rocsparse_complex_numIdEEEvi20rocsparse_direction_NS_24const_host_device_scalarIT2_EEPKiS8_PKS5_SA_S6_PS5_21rocsparse_index_base_b.num_agpr, 0
	.set _ZN9rocsparseL19gebsrmvn_4xn_kernelILj128ELj8ELj8E21rocsparse_complex_numIdEEEvi20rocsparse_direction_NS_24const_host_device_scalarIT2_EEPKiS8_PKS5_SA_S6_PS5_21rocsparse_index_base_b.numbered_sgpr, 16
	.set _ZN9rocsparseL19gebsrmvn_4xn_kernelILj128ELj8ELj8E21rocsparse_complex_numIdEEEvi20rocsparse_direction_NS_24const_host_device_scalarIT2_EEPKiS8_PKS5_SA_S6_PS5_21rocsparse_index_base_b.num_named_barrier, 0
	.set _ZN9rocsparseL19gebsrmvn_4xn_kernelILj128ELj8ELj8E21rocsparse_complex_numIdEEEvi20rocsparse_direction_NS_24const_host_device_scalarIT2_EEPKiS8_PKS5_SA_S6_PS5_21rocsparse_index_base_b.private_seg_size, 0
	.set _ZN9rocsparseL19gebsrmvn_4xn_kernelILj128ELj8ELj8E21rocsparse_complex_numIdEEEvi20rocsparse_direction_NS_24const_host_device_scalarIT2_EEPKiS8_PKS5_SA_S6_PS5_21rocsparse_index_base_b.uses_vcc, 1
	.set _ZN9rocsparseL19gebsrmvn_4xn_kernelILj128ELj8ELj8E21rocsparse_complex_numIdEEEvi20rocsparse_direction_NS_24const_host_device_scalarIT2_EEPKiS8_PKS5_SA_S6_PS5_21rocsparse_index_base_b.uses_flat_scratch, 0
	.set _ZN9rocsparseL19gebsrmvn_4xn_kernelILj128ELj8ELj8E21rocsparse_complex_numIdEEEvi20rocsparse_direction_NS_24const_host_device_scalarIT2_EEPKiS8_PKS5_SA_S6_PS5_21rocsparse_index_base_b.has_dyn_sized_stack, 0
	.set _ZN9rocsparseL19gebsrmvn_4xn_kernelILj128ELj8ELj8E21rocsparse_complex_numIdEEEvi20rocsparse_direction_NS_24const_host_device_scalarIT2_EEPKiS8_PKS5_SA_S6_PS5_21rocsparse_index_base_b.has_recursion, 0
	.set _ZN9rocsparseL19gebsrmvn_4xn_kernelILj128ELj8ELj8E21rocsparse_complex_numIdEEEvi20rocsparse_direction_NS_24const_host_device_scalarIT2_EEPKiS8_PKS5_SA_S6_PS5_21rocsparse_index_base_b.has_indirect_call, 0
	.section	.AMDGPU.csdata,"",@progbits
; Kernel info:
; codeLenInByte = 3672
; TotalNumSgprs: 22
; NumVgprs: 110
; NumAgprs: 0
; TotalNumVgprs: 110
; ScratchSize: 0
; MemoryBound: 1
; FloatMode: 240
; IeeeMode: 1
; LDSByteSize: 0 bytes/workgroup (compile time only)
; SGPRBlocks: 2
; VGPRBlocks: 13
; NumSGPRsForWavesPerEU: 22
; NumVGPRsForWavesPerEU: 110
; AccumOffset: 112
; Occupancy: 4
; WaveLimiterHint : 1
; COMPUTE_PGM_RSRC2:SCRATCH_EN: 0
; COMPUTE_PGM_RSRC2:USER_SGPR: 2
; COMPUTE_PGM_RSRC2:TRAP_HANDLER: 0
; COMPUTE_PGM_RSRC2:TGID_X_EN: 1
; COMPUTE_PGM_RSRC2:TGID_Y_EN: 0
; COMPUTE_PGM_RSRC2:TGID_Z_EN: 0
; COMPUTE_PGM_RSRC2:TIDIG_COMP_CNT: 0
; COMPUTE_PGM_RSRC3_GFX90A:ACCUM_OFFSET: 27
; COMPUTE_PGM_RSRC3_GFX90A:TG_SPLIT: 0
	.section	.text._ZN9rocsparseL19gebsrmvn_4xn_kernelILj128ELj8ELj16E21rocsparse_complex_numIdEEEvi20rocsparse_direction_NS_24const_host_device_scalarIT2_EEPKiS8_PKS5_SA_S6_PS5_21rocsparse_index_base_b,"axG",@progbits,_ZN9rocsparseL19gebsrmvn_4xn_kernelILj128ELj8ELj16E21rocsparse_complex_numIdEEEvi20rocsparse_direction_NS_24const_host_device_scalarIT2_EEPKiS8_PKS5_SA_S6_PS5_21rocsparse_index_base_b,comdat
	.globl	_ZN9rocsparseL19gebsrmvn_4xn_kernelILj128ELj8ELj16E21rocsparse_complex_numIdEEEvi20rocsparse_direction_NS_24const_host_device_scalarIT2_EEPKiS8_PKS5_SA_S6_PS5_21rocsparse_index_base_b ; -- Begin function _ZN9rocsparseL19gebsrmvn_4xn_kernelILj128ELj8ELj16E21rocsparse_complex_numIdEEEvi20rocsparse_direction_NS_24const_host_device_scalarIT2_EEPKiS8_PKS5_SA_S6_PS5_21rocsparse_index_base_b
	.p2align	8
	.type	_ZN9rocsparseL19gebsrmvn_4xn_kernelILj128ELj8ELj16E21rocsparse_complex_numIdEEEvi20rocsparse_direction_NS_24const_host_device_scalarIT2_EEPKiS8_PKS5_SA_S6_PS5_21rocsparse_index_base_b,@function
_ZN9rocsparseL19gebsrmvn_4xn_kernelILj128ELj8ELj16E21rocsparse_complex_numIdEEEvi20rocsparse_direction_NS_24const_host_device_scalarIT2_EEPKiS8_PKS5_SA_S6_PS5_21rocsparse_index_base_b: ; @_ZN9rocsparseL19gebsrmvn_4xn_kernelILj128ELj8ELj16E21rocsparse_complex_numIdEEEvi20rocsparse_direction_NS_24const_host_device_scalarIT2_EEPKiS8_PKS5_SA_S6_PS5_21rocsparse_index_base_b
; %bb.0:
	s_load_dwordx2 s[4:5], s[0:1], 0x8
	s_load_dwordx2 s[6:7], s[0:1], 0x38
	;; [unrolled: 1-line block ×3, first 2 shown]
	s_add_u32 s3, s0, 8
	s_addc_u32 s8, s1, 0
	s_add_u32 s9, s0, 56
	s_addc_u32 s10, s1, 0
	s_waitcnt lgkmcnt(0)
	s_bitcmp1_b32 s13, 0
	s_cselect_b32 s5, s8, s5
	s_cselect_b32 s3, s3, s4
	v_mov_b32_e32 v2, s3
	v_mov_b32_e32 v3, s5
	flat_load_dwordx4 v[2:5], v[2:3]
	s_cselect_b32 s3, s10, s7
	s_cselect_b32 s4, s9, s6
	v_mov_b32_e32 v6, s4
	v_mov_b32_e32 v7, s3
	flat_load_dwordx4 v[6:9], v[6:7]
	s_waitcnt vmcnt(0) lgkmcnt(0)
	v_cmp_eq_f64_e32 vcc, 0, v[2:3]
	v_cmp_eq_f64_e64 s[4:5], 0, v[4:5]
	s_and_b64 s[8:9], vcc, s[4:5]
	s_mov_b64 s[4:5], -1
	s_and_saveexec_b64 s[6:7], s[8:9]
; %bb.1:
	v_cmp_neq_f64_e32 vcc, 1.0, v[6:7]
	v_cmp_neq_f64_e64 s[4:5], 0, v[8:9]
	s_or_b64 s[4:5], vcc, s[4:5]
	s_orn2_b64 s[4:5], s[4:5], exec
; %bb.2:
	s_or_b64 exec, exec, s[6:7]
	s_and_saveexec_b64 s[6:7], s[4:5]
	s_cbranch_execz .LBB143_21
; %bb.3:
	s_load_dwordx2 s[14:15], s[0:1], 0x0
	v_lshrrev_b32_e32 v1, 4, v0
	v_lshl_or_b32 v70, s2, 3, v1
	s_waitcnt lgkmcnt(0)
	v_cmp_gt_i32_e32 vcc, s14, v70
	s_and_b64 exec, exec, vcc
	s_cbranch_execz .LBB143_21
; %bb.4:
	s_load_dwordx8 s[4:11], s[0:1], 0x18
	v_ashrrev_i32_e32 v71, 31, v70
	s_cmp_lg_u32 s15, 0
	s_waitcnt lgkmcnt(0)
	v_lshl_add_u64 v[10:11], v[70:71], 2, s[4:5]
	global_load_dwordx2 v[10:11], v[10:11], off
	v_and_b32_e32 v71, 15, v0
	s_waitcnt vmcnt(0)
	v_subrev_u32_e32 v0, s12, v10
	v_subrev_u32_e32 v88, s12, v11
	v_add_u32_e32 v78, v0, v71
	v_cmp_lt_i32_e64 s[2:3], v78, v88
	s_cbranch_scc0 .LBB143_10
; %bb.5:
	v_mov_b64_e32 v[74:75], 0
	v_mov_b64_e32 v[14:15], 0
	;; [unrolled: 1-line block ×8, first 2 shown]
	s_and_saveexec_b64 s[4:5], s[2:3]
	s_cbranch_execz .LBB143_9
; %bb.6:
	v_lshlrev_b32_e32 v80, 5, v78
	v_mov_b64_e32 v[74:75], 0
	s_mov_b64 s[14:15], 0
	v_mov_b32_e32 v81, 0
	v_mov_b32_e32 v82, v78
	v_mov_b64_e32 v[14:15], 0
	v_mov_b64_e32 v[38:39], 0
	;; [unrolled: 1-line block ×7, first 2 shown]
.LBB143_7:                              ; =>This Inner Loop Header: Depth=1
	v_ashrrev_i32_e32 v83, 31, v82
	v_lshl_add_u64 v[84:85], v[80:81], 4, s[8:9]
	v_lshl_add_u64 v[52:53], v[82:83], 2, s[6:7]
	global_load_dwordx4 v[34:37], v[84:85], off offset:48
	global_load_dwordx4 v[58:61], v[84:85], off offset:32
	;; [unrolled: 1-line block ×3, first 2 shown]
	global_load_dwordx4 v[46:49], v[84:85], off
	global_load_dwordx4 v[26:29], v[84:85], off offset:112
	global_load_dwordx4 v[30:33], v[84:85], off offset:96
	;; [unrolled: 1-line block ×10, first 2 shown]
	global_load_dword v16, v[52:53], off
	v_mov_b32_e32 v17, v81
	v_add_u32_e32 v82, 16, v82
	v_cmp_ge_i32_e32 vcc, v82, v88
	v_add_u32_e32 v80, 0x200, v80
	s_or_b64 s[14:15], vcc, s[14:15]
	s_waitcnt vmcnt(0)
	v_subrev_u32_e32 v16, s12, v16
	v_lshlrev_b32_e32 v16, 3, v16
	v_lshl_add_u64 v[86:87], v[16:17], 4, s[10:11]
	global_load_dwordx4 v[98:101], v[86:87], off
	global_load_dwordx4 v[102:105], v[86:87], off offset:16
	s_waitcnt vmcnt(1)
	v_fmac_f64_e32 v[14:15], v[46:47], v[98:99]
	v_fmac_f64_e32 v[74:75], v[48:49], v[98:99]
	;; [unrolled: 1-line block ×6, first 2 shown]
	v_fma_f64 v[52:53], -v[48:49], v[100:101], v[14:15]
	v_fmac_f64_e32 v[74:75], v[46:47], v[100:101]
	v_fma_f64 v[50:51], -v[64:65], v[100:101], v[50:51]
	v_fmac_f64_e32 v[76:77], v[62:63], v[100:101]
	;; [unrolled: 2-line block ×3, first 2 shown]
	v_fmac_f64_e32 v[38:39], v[34:35], v[98:99]
	v_fmac_f64_e32 v[0:1], v[36:37], v[98:99]
	s_waitcnt vmcnt(0)
	v_fmac_f64_e32 v[52:53], v[94:95], v[102:103]
	v_fmac_f64_e32 v[74:75], v[96:97], v[102:103]
	;; [unrolled: 1-line block ×6, first 2 shown]
	global_load_dwordx4 v[46:49], v[84:85], off offset:208
	global_load_dwordx4 v[62:65], v[84:85], off offset:192
	;; [unrolled: 1-line block ×3, first 2 shown]
	v_fma_f64 v[98:99], -v[36:37], v[100:101], v[38:39]
	v_fmac_f64_e32 v[0:1], v[34:35], v[100:101]
	global_load_dwordx4 v[34:37], v[84:85], off offset:288
	global_load_dwordx4 v[38:41], v[84:85], off offset:272
	v_fma_f64 v[100:101], -v[96:97], v[104:105], v[52:53]
	v_fmac_f64_e32 v[74:75], v[94:95], v[104:105]
	global_load_dwordx4 v[58:61], v[84:85], off offset:256
	v_fma_f64 v[108:109], -v[92:93], v[104:105], v[50:51]
	v_fmac_f64_e32 v[76:77], v[90:91], v[104:105]
	;; [unrolled: 3-line block ×3, first 2 shown]
	global_load_dwordx4 v[30:33], v[84:85], off offset:352
	global_load_dwordx4 v[90:93], v[86:87], off offset:32
	;; [unrolled: 1-line block ×3, first 2 shown]
	v_fmac_f64_e32 v[98:99], v[26:27], v[102:103]
	v_fmac_f64_e32 v[0:1], v[28:29], v[102:103]
	v_fma_f64 v[98:99], -v[28:29], v[104:105], v[98:99]
	v_fmac_f64_e32 v[0:1], v[26:27], v[104:105]
	global_load_dwordx4 v[26:29], v[84:85], off offset:336
	s_waitcnt vmcnt(2)
	v_fmac_f64_e32 v[100:101], v[66:67], v[90:91]
	v_fmac_f64_e32 v[74:75], v[68:69], v[90:91]
	;; [unrolled: 1-line block ×8, first 2 shown]
	v_fma_f64 v[100:101], -v[68:69], v[92:93], v[100:101]
	v_fmac_f64_e32 v[74:75], v[66:67], v[92:93]
	v_fma_f64 v[102:103], -v[56:57], v[92:93], v[108:109]
	v_fmac_f64_e32 v[76:77], v[54:55], v[92:93]
	;; [unrolled: 2-line block ×4, first 2 shown]
	s_waitcnt vmcnt(1)
	v_fmac_f64_e32 v[100:101], v[62:63], v[94:95]
	v_fmac_f64_e32 v[74:75], v[64:65], v[94:95]
	;; [unrolled: 1-line block ×8, first 2 shown]
	global_load_dwordx4 v[54:57], v[84:85], off offset:320
	global_load_dwordx4 v[42:45], v[84:85], off offset:432
	;; [unrolled: 1-line block ×4, first 2 shown]
	v_fma_f64 v[98:99], -v[64:65], v[96:97], v[100:101]
	v_fmac_f64_e32 v[74:75], v[62:63], v[96:97]
	global_load_dwordx4 v[62:65], v[84:85], off offset:384
	v_fma_f64 v[100:101], -v[48:49], v[96:97], v[102:103]
	v_fmac_f64_e32 v[76:77], v[46:47], v[96:97]
	global_load_dwordx4 v[46:49], v[84:85], off offset:464
	;; [unrolled: 3-line block ×4, first 2 shown]
	global_load_dwordx4 v[90:93], v[86:87], off offset:80
	s_waitcnt vmcnt(1)
	v_fmac_f64_e32 v[98:99], v[58:59], v[10:11]
	v_fmac_f64_e32 v[74:75], v[60:61], v[10:11]
	;; [unrolled: 1-line block ×4, first 2 shown]
	v_fma_f64 v[98:99], -v[60:61], v[12:13], v[98:99]
	v_fmac_f64_e32 v[74:75], v[58:59], v[12:13]
	global_load_dwordx4 v[58:61], v[84:85], off offset:480
	global_load_dwordx4 v[94:97], v[84:85], off offset:496
	v_fma_f64 v[84:85], -v[40:41], v[12:13], v[100:101]
	v_fmac_f64_e32 v[76:77], v[38:39], v[12:13]
	global_load_dwordx4 v[38:41], v[86:87], off offset:96
	v_fmac_f64_e32 v[102:103], v[34:35], v[10:11]
	v_fmac_f64_e32 v[72:73], v[36:37], v[10:11]
	v_fma_f64 v[100:101], -v[36:37], v[12:13], v[102:103]
	v_fmac_f64_e32 v[72:73], v[34:35], v[12:13]
	global_load_dwordx4 v[34:37], v[86:87], off offset:112
	v_fmac_f64_e32 v[104:105], v[14:15], v[10:11]
	v_fmac_f64_e32 v[0:1], v[16:17], v[10:11]
	v_fma_f64 v[10:11], -v[16:17], v[12:13], v[104:105]
	v_fmac_f64_e32 v[0:1], v[14:15], v[12:13]
	s_waitcnt vmcnt(4)
	v_fmac_f64_e32 v[98:99], v[54:55], v[90:91]
	v_fmac_f64_e32 v[74:75], v[56:57], v[90:91]
	v_fmac_f64_e32 v[84:85], v[26:27], v[90:91]
	v_fmac_f64_e32 v[76:77], v[28:29], v[90:91]
	v_fmac_f64_e32 v[100:101], v[30:31], v[90:91]
	v_fmac_f64_e32 v[72:73], v[32:33], v[90:91]
	v_fmac_f64_e32 v[10:11], v[50:51], v[90:91]
	v_fmac_f64_e32 v[0:1], v[52:53], v[90:91]
	v_fma_f64 v[12:13], -v[56:57], v[92:93], v[98:99]
	v_fmac_f64_e32 v[74:75], v[54:55], v[92:93]
	v_fma_f64 v[14:15], -v[28:29], v[92:93], v[84:85]
	v_fmac_f64_e32 v[76:77], v[26:27], v[92:93]
	v_fma_f64 v[16:17], -v[32:33], v[92:93], v[100:101]
	v_fmac_f64_e32 v[72:73], v[30:31], v[92:93]
	v_fma_f64 v[10:11], -v[52:53], v[92:93], v[10:11]
	v_fmac_f64_e32 v[0:1], v[50:51], v[92:93]
	s_waitcnt vmcnt(1)
	v_fmac_f64_e32 v[12:13], v[62:63], v[38:39]
	v_fmac_f64_e32 v[74:75], v[64:65], v[38:39]
	v_fmac_f64_e32 v[14:15], v[66:67], v[38:39]
	v_fmac_f64_e32 v[76:77], v[68:69], v[38:39]
	v_fmac_f64_e32 v[16:17], v[22:23], v[38:39]
	v_fmac_f64_e32 v[72:73], v[24:25], v[38:39]
	v_fmac_f64_e32 v[10:11], v[42:43], v[38:39]
	v_fmac_f64_e32 v[0:1], v[44:45], v[38:39]
	v_fma_f64 v[12:13], -v[64:65], v[40:41], v[12:13]
	v_fmac_f64_e32 v[74:75], v[62:63], v[40:41]
	v_fma_f64 v[26:27], -v[68:69], v[40:41], v[14:15]
	v_fmac_f64_e32 v[76:77], v[66:67], v[40:41]
	v_fma_f64 v[16:17], -v[24:25], v[40:41], v[16:17]
	;; [unrolled: 17-line block ×3, first 2 shown]
	v_fmac_f64_e32 v[72:73], v[58:59], v[36:37]
	v_fma_f64 v[38:39], -v[96:97], v[36:37], v[10:11]
	v_fmac_f64_e32 v[0:1], v[94:95], v[36:37]
	s_andn2_b64 exec, exec, s[14:15]
	s_cbranch_execnz .LBB143_7
; %bb.8:
	s_or_b64 exec, exec, s[14:15]
.LBB143_9:
	s_or_b64 exec, exec, s[4:5]
	s_cbranch_execz .LBB143_11
	s_branch .LBB143_16
.LBB143_10:
                                        ; implicit-def: $vgpr74_vgpr75
                                        ; implicit-def: $vgpr14_vgpr15
                                        ; implicit-def: $vgpr38_vgpr39
                                        ; implicit-def: $vgpr0_vgpr1
                                        ; implicit-def: $vgpr40_vgpr41
                                        ; implicit-def: $vgpr72_vgpr73
                                        ; implicit-def: $vgpr50_vgpr51
                                        ; implicit-def: $vgpr76_vgpr77
.LBB143_11:
	v_mov_b64_e32 v[74:75], 0
	v_mov_b64_e32 v[14:15], 0
	;; [unrolled: 1-line block ×8, first 2 shown]
	s_and_saveexec_b64 s[4:5], s[2:3]
	s_cbranch_execz .LBB143_15
; %bb.12:
	v_lshlrev_b32_e32 v26, 5, v78
	v_mov_b64_e32 v[74:75], 0
	s_mov_b64 s[2:3], 0
	v_mov_b32_e32 v27, 0
	v_mov_b64_e32 v[14:15], 0
	v_mov_b64_e32 v[38:39], 0
	;; [unrolled: 1-line block ×7, first 2 shown]
.LBB143_13:                             ; =>This Inner Loop Header: Depth=1
	v_ashrrev_i32_e32 v79, 31, v78
	v_lshl_add_u64 v[28:29], v[26:27], 4, s[8:9]
	v_lshl_add_u64 v[30:31], v[78:79], 2, s[6:7]
	global_load_dwordx4 v[18:21], v[28:29], off offset:16
	global_load_dwordx4 v[22:25], v[28:29], off
	global_load_dwordx4 v[32:35], v[28:29], off offset:144
	global_load_dwordx4 v[42:45], v[28:29], off offset:128
	;; [unrolled: 1-line block ×8, first 2 shown]
	global_load_dword v16, v[30:31], off
	v_mov_b32_e32 v17, v27
	v_add_u32_e32 v78, 16, v78
	v_cmp_ge_i32_e32 vcc, v78, v88
	v_add_u32_e32 v26, 0x200, v26
	s_or_b64 s[2:3], vcc, s[2:3]
	s_waitcnt vmcnt(0)
	v_subrev_u32_e32 v16, s12, v16
	v_lshlrev_b32_e32 v16, 3, v16
	v_lshl_add_u64 v[30:31], v[16:17], 4, s[10:11]
	global_load_dwordx4 v[80:83], v[30:31], off
	global_load_dwordx4 v[84:87], v[30:31], off offset:16
	s_waitcnt vmcnt(1)
	v_fmac_f64_e32 v[14:15], v[22:23], v[80:81]
	v_fmac_f64_e32 v[74:75], v[24:25], v[80:81]
	;; [unrolled: 1-line block ×8, first 2 shown]
	v_fma_f64 v[68:69], -v[24:25], v[82:83], v[14:15]
	v_fmac_f64_e32 v[74:75], v[22:23], v[82:83]
	v_fma_f64 v[90:91], -v[44:45], v[82:83], v[50:51]
	v_fmac_f64_e32 v[76:77], v[42:43], v[82:83]
	;; [unrolled: 2-line block ×4, first 2 shown]
	global_load_dwordx4 v[14:17], v[28:29], off offset:176
	global_load_dwordx4 v[42:45], v[28:29], off offset:160
	;; [unrolled: 1-line block ×5, first 2 shown]
	s_waitcnt vmcnt(5)
	v_fmac_f64_e32 v[68:69], v[18:19], v[84:85]
	v_fmac_f64_e32 v[74:75], v[20:21], v[84:85]
	;; [unrolled: 1-line block ×8, first 2 shown]
	v_fma_f64 v[68:69], -v[20:21], v[86:87], v[68:69]
	v_fmac_f64_e32 v[74:75], v[18:19], v[86:87]
	global_load_dwordx4 v[54:57], v[28:29], off offset:432
	v_fma_f64 v[80:81], -v[34:35], v[86:87], v[90:91]
	v_fmac_f64_e32 v[76:77], v[32:33], v[86:87]
	global_load_dwordx4 v[18:21], v[28:29], off offset:80
	global_load_dwordx4 v[32:35], v[28:29], off offset:64
	v_fma_f64 v[82:83], -v[48:49], v[86:87], v[40:41]
	v_fmac_f64_e32 v[72:73], v[46:47], v[86:87]
	v_fma_f64 v[84:85], -v[62:63], v[86:87], v[58:59]
	v_fmac_f64_e32 v[0:1], v[60:61], v[86:87]
	global_load_dwordx4 v[46:49], v[30:31], off offset:32
	global_load_dwordx4 v[58:61], v[30:31], off offset:48
	s_waitcnt vmcnt(1)
	v_fmac_f64_e32 v[68:69], v[64:65], v[46:47]
	v_fmac_f64_e32 v[74:75], v[66:67], v[46:47]
	;; [unrolled: 1-line block ×8, first 2 shown]
	v_fma_f64 v[66:67], -v[66:67], v[48:49], v[68:69]
	v_fmac_f64_e32 v[74:75], v[64:65], v[48:49]
	v_fma_f64 v[68:69], -v[44:45], v[48:49], v[80:81]
	v_fmac_f64_e32 v[76:77], v[42:43], v[48:49]
	;; [unrolled: 2-line block ×4, first 2 shown]
	s_waitcnt vmcnt(0)
	v_fmac_f64_e32 v[66:67], v[10:11], v[58:59]
	v_fmac_f64_e32 v[74:75], v[12:13], v[58:59]
	;; [unrolled: 1-line block ×8, first 2 shown]
	global_load_dwordx4 v[62:65], v[28:29], off offset:208
	global_load_dwordx4 v[40:43], v[28:29], off offset:192
	;; [unrolled: 1-line block ×5, first 2 shown]
	v_fma_f64 v[82:83], -v[12:13], v[60:61], v[66:67]
	v_fmac_f64_e32 v[74:75], v[10:11], v[60:61]
	global_load_dwordx4 v[10:13], v[28:29], off offset:464
	v_fma_f64 v[84:85], -v[16:17], v[60:61], v[68:69]
	v_fmac_f64_e32 v[76:77], v[14:15], v[60:61]
	global_load_dwordx4 v[66:69], v[28:29], off offset:112
	global_load_dwordx4 v[14:17], v[28:29], off offset:96
	v_fma_f64 v[80:81], -v[24:25], v[60:61], v[80:81]
	v_fmac_f64_e32 v[72:73], v[22:23], v[60:61]
	v_fma_f64 v[56:57], -v[56:57], v[60:61], v[52:53]
	v_fmac_f64_e32 v[0:1], v[54:55], v[60:61]
	global_load_dwordx4 v[22:25], v[30:31], off offset:64
	global_load_dwordx4 v[52:55], v[30:31], off offset:80
	s_waitcnt vmcnt(1)
	v_fmac_f64_e32 v[82:83], v[32:33], v[22:23]
	v_fmac_f64_e32 v[74:75], v[34:35], v[22:23]
	v_fma_f64 v[60:61], -v[34:35], v[24:25], v[82:83]
	v_fmac_f64_e32 v[74:75], v[32:33], v[24:25]
	v_fmac_f64_e32 v[84:85], v[40:41], v[22:23]
	;; [unrolled: 1-line block ×7, first 2 shown]
	s_waitcnt vmcnt(0)
	v_fmac_f64_e32 v[60:61], v[18:19], v[52:53]
	v_fmac_f64_e32 v[74:75], v[20:21], v[52:53]
	global_load_dwordx4 v[32:35], v[28:29], off offset:240
	v_fma_f64 v[82:83], -v[42:43], v[24:25], v[84:85]
	v_fmac_f64_e32 v[76:77], v[40:41], v[24:25]
	global_load_dwordx4 v[40:43], v[28:29], off offset:224
	v_fma_f64 v[80:81], -v[46:47], v[24:25], v[80:81]
	;; [unrolled: 3-line block ×3, first 2 shown]
	v_fmac_f64_e32 v[0:1], v[48:49], v[24:25]
	global_load_dwordx4 v[22:25], v[28:29], off offset:352
	global_load_dwordx4 v[56:59], v[28:29], off offset:496
	;; [unrolled: 1-line block ×3, first 2 shown]
	v_fma_f64 v[60:61], -v[20:21], v[54:55], v[60:61]
	v_fmac_f64_e32 v[74:75], v[18:19], v[54:55]
	global_load_dwordx4 v[18:21], v[30:31], off offset:96
	v_fmac_f64_e32 v[82:83], v[62:63], v[52:53]
	global_load_dwordx4 v[28:31], v[30:31], off offset:112
	v_fmac_f64_e32 v[76:77], v[64:65], v[52:53]
	v_fmac_f64_e32 v[80:81], v[36:37], v[52:53]
	;; [unrolled: 1-line block ×5, first 2 shown]
	v_fma_f64 v[64:65], -v[64:65], v[54:55], v[82:83]
	v_fmac_f64_e32 v[76:77], v[62:63], v[54:55]
	v_fma_f64 v[38:39], -v[38:39], v[54:55], v[80:81]
	v_fmac_f64_e32 v[72:73], v[36:37], v[54:55]
	;; [unrolled: 2-line block ×3, first 2 shown]
	s_waitcnt vmcnt(1)
	v_fmac_f64_e32 v[60:61], v[14:15], v[18:19]
	v_fmac_f64_e32 v[74:75], v[16:17], v[18:19]
	;; [unrolled: 1-line block ×8, first 2 shown]
	v_fma_f64 v[10:11], -v[16:17], v[20:21], v[60:61]
	v_fmac_f64_e32 v[74:75], v[14:15], v[20:21]
	v_fma_f64 v[16:17], -v[42:43], v[20:21], v[64:65]
	v_fmac_f64_e32 v[76:77], v[40:41], v[20:21]
	;; [unrolled: 2-line block ×4, first 2 shown]
	s_waitcnt vmcnt(0)
	v_fmac_f64_e32 v[10:11], v[66:67], v[28:29]
	v_fmac_f64_e32 v[74:75], v[68:69], v[28:29]
	;; [unrolled: 1-line block ×8, first 2 shown]
	v_fma_f64 v[14:15], -v[68:69], v[30:31], v[10:11]
	v_fmac_f64_e32 v[74:75], v[66:67], v[30:31]
	v_fma_f64 v[50:51], -v[34:35], v[30:31], v[16:17]
	v_fmac_f64_e32 v[76:77], v[32:33], v[30:31]
	;; [unrolled: 2-line block ×4, first 2 shown]
	s_andn2_b64 exec, exec, s[2:3]
	s_cbranch_execnz .LBB143_13
; %bb.14:
	s_or_b64 exec, exec, s[2:3]
.LBB143_15:
	s_or_b64 exec, exec, s[4:5]
.LBB143_16:
	v_mov_b32_dpp v10, v14 row_shr:1 row_mask:0xf bank_mask:0xf
	v_mov_b32_dpp v11, v15 row_shr:1 row_mask:0xf bank_mask:0xf
	v_add_f64 v[10:11], v[14:15], v[10:11]
	v_mov_b32_dpp v14, v74 row_shr:1 row_mask:0xf bank_mask:0xf
	v_mov_b32_dpp v15, v75 row_shr:1 row_mask:0xf bank_mask:0xf
	v_add_f64 v[14:15], v[74:75], v[14:15]
	v_mov_b32_dpp v12, v10 row_shr:2 row_mask:0xf bank_mask:0xf
	v_mov_b32_dpp v13, v11 row_shr:2 row_mask:0xf bank_mask:0xf
	;; [unrolled: 1-line block ×4, first 2 shown]
	v_add_f64 v[14:15], v[14:15], v[16:17]
	v_add_f64 v[10:11], v[10:11], v[12:13]
	v_cmp_eq_u32_e32 vcc, 15, v71
	v_mov_b32_dpp v16, v14 row_shr:4 row_mask:0xf bank_mask:0xe
	v_mov_b32_dpp v17, v15 row_shr:4 row_mask:0xf bank_mask:0xe
	v_add_f64 v[14:15], v[14:15], v[16:17]
	v_mov_b32_dpp v16, v50 row_shr:1 row_mask:0xf bank_mask:0xf
	v_mov_b32_dpp v17, v51 row_shr:1 row_mask:0xf bank_mask:0xf
	v_add_f64 v[16:17], v[50:51], v[16:17]
	v_mov_b32_dpp v12, v10 row_shr:4 row_mask:0xf bank_mask:0xe
	v_mov_b32_dpp v13, v11 row_shr:4 row_mask:0xf bank_mask:0xe
	;; [unrolled: 1-line block ×4, first 2 shown]
	v_add_f64 v[16:17], v[16:17], v[20:21]
	v_add_f64 v[10:11], v[10:11], v[12:13]
	v_mov_b32_dpp v18, v14 row_shr:8 row_mask:0xf bank_mask:0xc
	v_mov_b32_dpp v20, v16 row_shr:4 row_mask:0xf bank_mask:0xe
	;; [unrolled: 1-line block ×3, first 2 shown]
	v_add_f64 v[20:21], v[16:17], v[20:21]
	v_mov_b32_dpp v16, v76 row_shr:1 row_mask:0xf bank_mask:0xf
	v_mov_b32_dpp v17, v77 row_shr:1 row_mask:0xf bank_mask:0xf
	v_add_f64 v[16:17], v[76:77], v[16:17]
	v_mov_b32_dpp v12, v10 row_shr:8 row_mask:0xf bank_mask:0xc
	v_mov_b32_dpp v13, v11 row_shr:8 row_mask:0xf bank_mask:0xc
	v_mov_b32_dpp v22, v16 row_shr:2 row_mask:0xf bank_mask:0xf
	v_mov_b32_dpp v23, v17 row_shr:2 row_mask:0xf bank_mask:0xf
	v_add_f64 v[16:17], v[16:17], v[22:23]
	v_mov_b32_dpp v19, v15 row_shr:8 row_mask:0xf bank_mask:0xc
	v_mov_b32_dpp v24, v20 row_shr:8 row_mask:0xf bank_mask:0xc
	;; [unrolled: 5-line block ×3, first 2 shown]
	v_add_f64 v[16:17], v[40:41], v[16:17]
	v_mov_b32_dpp v25, v21 row_shr:8 row_mask:0xf bank_mask:0xc
	v_mov_b32_dpp v28, v26 row_shr:8 row_mask:0xf bank_mask:0xc
	;; [unrolled: 1-line block ×4, first 2 shown]
	v_add_f64 v[16:17], v[16:17], v[22:23]
	v_mov_b32_dpp v29, v27 row_shr:8 row_mask:0xf bank_mask:0xc
	s_nop 0
	v_mov_b32_dpp v22, v16 row_shr:4 row_mask:0xf bank_mask:0xe
	v_mov_b32_dpp v23, v17 row_shr:4 row_mask:0xf bank_mask:0xe
	v_add_f64 v[30:31], v[16:17], v[22:23]
	v_mov_b32_dpp v16, v72 row_shr:1 row_mask:0xf bank_mask:0xf
	v_mov_b32_dpp v17, v73 row_shr:1 row_mask:0xf bank_mask:0xf
	v_add_f64 v[16:17], v[72:73], v[16:17]
	v_mov_b32_dpp v32, v30 row_shr:8 row_mask:0xf bank_mask:0xc
	v_mov_b32_dpp v33, v31 row_shr:8 row_mask:0xf bank_mask:0xc
	v_mov_b32_dpp v22, v16 row_shr:2 row_mask:0xf bank_mask:0xf
	v_mov_b32_dpp v23, v17 row_shr:2 row_mask:0xf bank_mask:0xf
	v_add_f64 v[16:17], v[16:17], v[22:23]
	s_nop 1
	v_mov_b32_dpp v22, v16 row_shr:4 row_mask:0xf bank_mask:0xe
	v_mov_b32_dpp v23, v17 row_shr:4 row_mask:0xf bank_mask:0xe
	v_add_f64 v[34:35], v[16:17], v[22:23]
	v_mov_b32_dpp v16, v38 row_shr:1 row_mask:0xf bank_mask:0xf
	v_mov_b32_dpp v17, v39 row_shr:1 row_mask:0xf bank_mask:0xf
	v_add_f64 v[16:17], v[38:39], v[16:17]
	v_mov_b32_dpp v36, v34 row_shr:8 row_mask:0xf bank_mask:0xc
	v_mov_b32_dpp v37, v35 row_shr:8 row_mask:0xf bank_mask:0xc
	v_mov_b32_dpp v22, v16 row_shr:2 row_mask:0xf bank_mask:0xf
	v_mov_b32_dpp v23, v17 row_shr:2 row_mask:0xf bank_mask:0xf
	v_add_f64 v[16:17], v[16:17], v[22:23]
	;; [unrolled: 12-line block ×3, first 2 shown]
	s_nop 1
	v_mov_b32_dpp v16, v0 row_shr:4 row_mask:0xf bank_mask:0xe
	v_mov_b32_dpp v17, v1 row_shr:4 row_mask:0xf bank_mask:0xe
	v_add_f64 v[42:43], v[0:1], v[16:17]
	s_nop 1
	v_mov_b32_dpp v44, v42 row_shr:8 row_mask:0xf bank_mask:0xc
	v_mov_b32_dpp v45, v43 row_shr:8 row_mask:0xf bank_mask:0xc
	s_and_b64 exec, exec, vcc
	s_cbranch_execz .LBB143_21
; %bb.17:
	s_load_dwordx2 s[2:3], s[0:1], 0x48
	v_cmp_eq_f64_e32 vcc, 0, v[6:7]
	v_cmp_eq_f64_e64 s[0:1], 0, v[8:9]
	v_add_f64 v[16:17], v[10:11], v[12:13]
	v_add_f64 v[22:23], v[14:15], v[18:19]
	;; [unrolled: 1-line block ×8, first 2 shown]
	s_and_b64 s[0:1], vcc, s[0:1]
	s_and_saveexec_b64 s[4:5], s[0:1]
	s_xor_b64 s[0:1], exec, s[4:5]
	s_cbranch_execz .LBB143_19
; %bb.18:
	v_mul_f64 v[6:7], v[22:23], -v[4:5]
	v_mul_f64 v[8:9], v[2:3], v[22:23]
	v_fmac_f64_e32 v[6:7], v[2:3], v[16:17]
	v_fmac_f64_e32 v[8:9], v[4:5], v[16:17]
	v_lshlrev_b32_e32 v16, 2, v70
	v_ashrrev_i32_e32 v17, 31, v16
	s_waitcnt lgkmcnt(0)
	v_lshl_add_u64 v[16:17], v[16:17], 4, s[2:3]
	global_store_dwordx4 v[16:17], v[6:9], off
                                        ; implicit-def: $vgpr70
                                        ; implicit-def: $vgpr22_vgpr23
	s_nop 1
	v_mul_f64 v[6:7], v[20:21], -v[4:5]
	v_mul_f64 v[8:9], v[2:3], v[20:21]
	v_fmac_f64_e32 v[6:7], v[2:3], v[12:13]
	v_fmac_f64_e32 v[8:9], v[4:5], v[12:13]
	global_store_dwordx4 v[16:17], v[6:9], off offset:16
                                        ; implicit-def: $vgpr12_vgpr13
                                        ; implicit-def: $vgpr20_vgpr21
	s_nop 1
	v_mul_f64 v[6:7], v[18:19], -v[4:5]
	v_mul_f64 v[8:9], v[2:3], v[18:19]
	v_fmac_f64_e32 v[6:7], v[2:3], v[10:11]
	v_fmac_f64_e32 v[8:9], v[4:5], v[10:11]
	global_store_dwordx4 v[16:17], v[6:9], off offset:32
                                        ; implicit-def: $vgpr10_vgpr11
                                        ; implicit-def: $vgpr18_vgpr19
	s_nop 1
	v_mul_f64 v[6:7], v[14:15], -v[4:5]
	v_mul_f64 v[8:9], v[2:3], v[14:15]
	v_fmac_f64_e32 v[6:7], v[2:3], v[0:1]
	v_fmac_f64_e32 v[8:9], v[4:5], v[0:1]
	global_store_dwordx4 v[16:17], v[6:9], off offset:48
                                        ; implicit-def: $vgpr16_vgpr17
                                        ; implicit-def: $vgpr0_vgpr1
                                        ; implicit-def: $vgpr14_vgpr15
                                        ; implicit-def: $vgpr8_vgpr9
                                        ; implicit-def: $vgpr4_vgpr5
.LBB143_19:
	s_andn2_saveexec_b64 s[0:1], s[0:1]
	s_cbranch_execz .LBB143_21
; %bb.20:
	v_lshlrev_b32_e32 v24, 2, v70
	v_ashrrev_i32_e32 v25, 31, v24
	s_waitcnt lgkmcnt(0)
	v_lshl_add_u64 v[44:45], v[24:25], 4, s[2:3]
	global_load_dwordx4 v[24:27], v[44:45], off
	global_load_dwordx4 v[28:31], v[44:45], off offset:16
	global_load_dwordx4 v[32:35], v[44:45], off offset:32
	;; [unrolled: 1-line block ×3, first 2 shown]
	v_mul_f64 v[40:41], v[22:23], -v[4:5]
	v_mul_f64 v[22:23], v[2:3], v[22:23]
	v_mul_f64 v[46:47], v[20:21], -v[4:5]
	v_mul_f64 v[42:43], v[2:3], v[20:21]
	;; [unrolled: 2-line block ×4, first 2 shown]
	v_fmac_f64_e32 v[40:41], v[2:3], v[16:17]
	v_fmac_f64_e32 v[22:23], v[4:5], v[16:17]
	;; [unrolled: 1-line block ×8, first 2 shown]
	s_waitcnt vmcnt(3)
	v_fmac_f64_e32 v[40:41], v[6:7], v[24:25]
	v_fmac_f64_e32 v[22:23], v[8:9], v[24:25]
	s_waitcnt vmcnt(2)
	v_fmac_f64_e32 v[46:47], v[6:7], v[28:29]
	v_fmac_f64_e32 v[42:43], v[8:9], v[28:29]
	;; [unrolled: 3-line block ×4, first 2 shown]
	v_fma_f64 v[20:21], -v[8:9], v[26:27], v[40:41]
	v_fmac_f64_e32 v[22:23], v[6:7], v[26:27]
	v_fma_f64 v[40:41], -v[8:9], v[30:31], v[46:47]
	v_fmac_f64_e32 v[42:43], v[6:7], v[30:31]
	;; [unrolled: 2-line block ×4, first 2 shown]
	global_store_dwordx4 v[44:45], v[20:23], off
	global_store_dwordx4 v[44:45], v[40:43], off offset:16
	global_store_dwordx4 v[44:45], v[16:19], off offset:32
	;; [unrolled: 1-line block ×3, first 2 shown]
.LBB143_21:
	s_endpgm
	.section	.rodata,"a",@progbits
	.p2align	6, 0x0
	.amdhsa_kernel _ZN9rocsparseL19gebsrmvn_4xn_kernelILj128ELj8ELj16E21rocsparse_complex_numIdEEEvi20rocsparse_direction_NS_24const_host_device_scalarIT2_EEPKiS8_PKS5_SA_S6_PS5_21rocsparse_index_base_b
		.amdhsa_group_segment_fixed_size 0
		.amdhsa_private_segment_fixed_size 0
		.amdhsa_kernarg_size 88
		.amdhsa_user_sgpr_count 2
		.amdhsa_user_sgpr_dispatch_ptr 0
		.amdhsa_user_sgpr_queue_ptr 0
		.amdhsa_user_sgpr_kernarg_segment_ptr 1
		.amdhsa_user_sgpr_dispatch_id 0
		.amdhsa_user_sgpr_kernarg_preload_length 0
		.amdhsa_user_sgpr_kernarg_preload_offset 0
		.amdhsa_user_sgpr_private_segment_size 0
		.amdhsa_uses_dynamic_stack 0
		.amdhsa_enable_private_segment 0
		.amdhsa_system_sgpr_workgroup_id_x 1
		.amdhsa_system_sgpr_workgroup_id_y 0
		.amdhsa_system_sgpr_workgroup_id_z 0
		.amdhsa_system_sgpr_workgroup_info 0
		.amdhsa_system_vgpr_workitem_id 0
		.amdhsa_next_free_vgpr 110
		.amdhsa_next_free_sgpr 16
		.amdhsa_accum_offset 112
		.amdhsa_reserve_vcc 1
		.amdhsa_float_round_mode_32 0
		.amdhsa_float_round_mode_16_64 0
		.amdhsa_float_denorm_mode_32 3
		.amdhsa_float_denorm_mode_16_64 3
		.amdhsa_dx10_clamp 1
		.amdhsa_ieee_mode 1
		.amdhsa_fp16_overflow 0
		.amdhsa_tg_split 0
		.amdhsa_exception_fp_ieee_invalid_op 0
		.amdhsa_exception_fp_denorm_src 0
		.amdhsa_exception_fp_ieee_div_zero 0
		.amdhsa_exception_fp_ieee_overflow 0
		.amdhsa_exception_fp_ieee_underflow 0
		.amdhsa_exception_fp_ieee_inexact 0
		.amdhsa_exception_int_div_zero 0
	.end_amdhsa_kernel
	.section	.text._ZN9rocsparseL19gebsrmvn_4xn_kernelILj128ELj8ELj16E21rocsparse_complex_numIdEEEvi20rocsparse_direction_NS_24const_host_device_scalarIT2_EEPKiS8_PKS5_SA_S6_PS5_21rocsparse_index_base_b,"axG",@progbits,_ZN9rocsparseL19gebsrmvn_4xn_kernelILj128ELj8ELj16E21rocsparse_complex_numIdEEEvi20rocsparse_direction_NS_24const_host_device_scalarIT2_EEPKiS8_PKS5_SA_S6_PS5_21rocsparse_index_base_b,comdat
.Lfunc_end143:
	.size	_ZN9rocsparseL19gebsrmvn_4xn_kernelILj128ELj8ELj16E21rocsparse_complex_numIdEEEvi20rocsparse_direction_NS_24const_host_device_scalarIT2_EEPKiS8_PKS5_SA_S6_PS5_21rocsparse_index_base_b, .Lfunc_end143-_ZN9rocsparseL19gebsrmvn_4xn_kernelILj128ELj8ELj16E21rocsparse_complex_numIdEEEvi20rocsparse_direction_NS_24const_host_device_scalarIT2_EEPKiS8_PKS5_SA_S6_PS5_21rocsparse_index_base_b
                                        ; -- End function
	.set _ZN9rocsparseL19gebsrmvn_4xn_kernelILj128ELj8ELj16E21rocsparse_complex_numIdEEEvi20rocsparse_direction_NS_24const_host_device_scalarIT2_EEPKiS8_PKS5_SA_S6_PS5_21rocsparse_index_base_b.num_vgpr, 110
	.set _ZN9rocsparseL19gebsrmvn_4xn_kernelILj128ELj8ELj16E21rocsparse_complex_numIdEEEvi20rocsparse_direction_NS_24const_host_device_scalarIT2_EEPKiS8_PKS5_SA_S6_PS5_21rocsparse_index_base_b.num_agpr, 0
	.set _ZN9rocsparseL19gebsrmvn_4xn_kernelILj128ELj8ELj16E21rocsparse_complex_numIdEEEvi20rocsparse_direction_NS_24const_host_device_scalarIT2_EEPKiS8_PKS5_SA_S6_PS5_21rocsparse_index_base_b.numbered_sgpr, 16
	.set _ZN9rocsparseL19gebsrmvn_4xn_kernelILj128ELj8ELj16E21rocsparse_complex_numIdEEEvi20rocsparse_direction_NS_24const_host_device_scalarIT2_EEPKiS8_PKS5_SA_S6_PS5_21rocsparse_index_base_b.num_named_barrier, 0
	.set _ZN9rocsparseL19gebsrmvn_4xn_kernelILj128ELj8ELj16E21rocsparse_complex_numIdEEEvi20rocsparse_direction_NS_24const_host_device_scalarIT2_EEPKiS8_PKS5_SA_S6_PS5_21rocsparse_index_base_b.private_seg_size, 0
	.set _ZN9rocsparseL19gebsrmvn_4xn_kernelILj128ELj8ELj16E21rocsparse_complex_numIdEEEvi20rocsparse_direction_NS_24const_host_device_scalarIT2_EEPKiS8_PKS5_SA_S6_PS5_21rocsparse_index_base_b.uses_vcc, 1
	.set _ZN9rocsparseL19gebsrmvn_4xn_kernelILj128ELj8ELj16E21rocsparse_complex_numIdEEEvi20rocsparse_direction_NS_24const_host_device_scalarIT2_EEPKiS8_PKS5_SA_S6_PS5_21rocsparse_index_base_b.uses_flat_scratch, 0
	.set _ZN9rocsparseL19gebsrmvn_4xn_kernelILj128ELj8ELj16E21rocsparse_complex_numIdEEEvi20rocsparse_direction_NS_24const_host_device_scalarIT2_EEPKiS8_PKS5_SA_S6_PS5_21rocsparse_index_base_b.has_dyn_sized_stack, 0
	.set _ZN9rocsparseL19gebsrmvn_4xn_kernelILj128ELj8ELj16E21rocsparse_complex_numIdEEEvi20rocsparse_direction_NS_24const_host_device_scalarIT2_EEPKiS8_PKS5_SA_S6_PS5_21rocsparse_index_base_b.has_recursion, 0
	.set _ZN9rocsparseL19gebsrmvn_4xn_kernelILj128ELj8ELj16E21rocsparse_complex_numIdEEEvi20rocsparse_direction_NS_24const_host_device_scalarIT2_EEPKiS8_PKS5_SA_S6_PS5_21rocsparse_index_base_b.has_indirect_call, 0
	.section	.AMDGPU.csdata,"",@progbits
; Kernel info:
; codeLenInByte = 3884
; TotalNumSgprs: 22
; NumVgprs: 110
; NumAgprs: 0
; TotalNumVgprs: 110
; ScratchSize: 0
; MemoryBound: 1
; FloatMode: 240
; IeeeMode: 1
; LDSByteSize: 0 bytes/workgroup (compile time only)
; SGPRBlocks: 2
; VGPRBlocks: 13
; NumSGPRsForWavesPerEU: 22
; NumVGPRsForWavesPerEU: 110
; AccumOffset: 112
; Occupancy: 4
; WaveLimiterHint : 1
; COMPUTE_PGM_RSRC2:SCRATCH_EN: 0
; COMPUTE_PGM_RSRC2:USER_SGPR: 2
; COMPUTE_PGM_RSRC2:TRAP_HANDLER: 0
; COMPUTE_PGM_RSRC2:TGID_X_EN: 1
; COMPUTE_PGM_RSRC2:TGID_Y_EN: 0
; COMPUTE_PGM_RSRC2:TGID_Z_EN: 0
; COMPUTE_PGM_RSRC2:TIDIG_COMP_CNT: 0
; COMPUTE_PGM_RSRC3_GFX90A:ACCUM_OFFSET: 27
; COMPUTE_PGM_RSRC3_GFX90A:TG_SPLIT: 0
	.section	.text._ZN9rocsparseL19gebsrmvn_4xn_kernelILj128ELj8ELj32E21rocsparse_complex_numIdEEEvi20rocsparse_direction_NS_24const_host_device_scalarIT2_EEPKiS8_PKS5_SA_S6_PS5_21rocsparse_index_base_b,"axG",@progbits,_ZN9rocsparseL19gebsrmvn_4xn_kernelILj128ELj8ELj32E21rocsparse_complex_numIdEEEvi20rocsparse_direction_NS_24const_host_device_scalarIT2_EEPKiS8_PKS5_SA_S6_PS5_21rocsparse_index_base_b,comdat
	.globl	_ZN9rocsparseL19gebsrmvn_4xn_kernelILj128ELj8ELj32E21rocsparse_complex_numIdEEEvi20rocsparse_direction_NS_24const_host_device_scalarIT2_EEPKiS8_PKS5_SA_S6_PS5_21rocsparse_index_base_b ; -- Begin function _ZN9rocsparseL19gebsrmvn_4xn_kernelILj128ELj8ELj32E21rocsparse_complex_numIdEEEvi20rocsparse_direction_NS_24const_host_device_scalarIT2_EEPKiS8_PKS5_SA_S6_PS5_21rocsparse_index_base_b
	.p2align	8
	.type	_ZN9rocsparseL19gebsrmvn_4xn_kernelILj128ELj8ELj32E21rocsparse_complex_numIdEEEvi20rocsparse_direction_NS_24const_host_device_scalarIT2_EEPKiS8_PKS5_SA_S6_PS5_21rocsparse_index_base_b,@function
_ZN9rocsparseL19gebsrmvn_4xn_kernelILj128ELj8ELj32E21rocsparse_complex_numIdEEEvi20rocsparse_direction_NS_24const_host_device_scalarIT2_EEPKiS8_PKS5_SA_S6_PS5_21rocsparse_index_base_b: ; @_ZN9rocsparseL19gebsrmvn_4xn_kernelILj128ELj8ELj32E21rocsparse_complex_numIdEEEvi20rocsparse_direction_NS_24const_host_device_scalarIT2_EEPKiS8_PKS5_SA_S6_PS5_21rocsparse_index_base_b
; %bb.0:
	s_load_dwordx2 s[4:5], s[0:1], 0x8
	s_load_dwordx2 s[6:7], s[0:1], 0x38
	;; [unrolled: 1-line block ×3, first 2 shown]
	s_add_u32 s3, s0, 8
	s_addc_u32 s8, s1, 0
	s_add_u32 s9, s0, 56
	s_addc_u32 s10, s1, 0
	s_waitcnt lgkmcnt(0)
	s_bitcmp1_b32 s13, 0
	s_cselect_b32 s5, s8, s5
	s_cselect_b32 s3, s3, s4
	v_mov_b32_e32 v2, s3
	v_mov_b32_e32 v3, s5
	flat_load_dwordx4 v[2:5], v[2:3]
	s_cselect_b32 s3, s10, s7
	s_cselect_b32 s4, s9, s6
	v_mov_b32_e32 v6, s4
	v_mov_b32_e32 v7, s3
	flat_load_dwordx4 v[6:9], v[6:7]
	s_waitcnt vmcnt(0) lgkmcnt(0)
	v_cmp_eq_f64_e32 vcc, 0, v[2:3]
	v_cmp_eq_f64_e64 s[4:5], 0, v[4:5]
	s_and_b64 s[8:9], vcc, s[4:5]
	s_mov_b64 s[4:5], -1
	s_and_saveexec_b64 s[6:7], s[8:9]
; %bb.1:
	v_cmp_neq_f64_e32 vcc, 1.0, v[6:7]
	v_cmp_neq_f64_e64 s[4:5], 0, v[8:9]
	s_or_b64 s[4:5], vcc, s[4:5]
	s_orn2_b64 s[4:5], s[4:5], exec
; %bb.2:
	s_or_b64 exec, exec, s[6:7]
	s_and_saveexec_b64 s[6:7], s[4:5]
	s_cbranch_execz .LBB144_21
; %bb.3:
	s_load_dwordx2 s[14:15], s[0:1], 0x0
	v_lshrrev_b32_e32 v1, 5, v0
	v_lshl_or_b32 v70, s2, 2, v1
	s_waitcnt lgkmcnt(0)
	v_cmp_gt_i32_e32 vcc, s14, v70
	s_and_b64 exec, exec, vcc
	s_cbranch_execz .LBB144_21
; %bb.4:
	s_load_dwordx8 s[4:11], s[0:1], 0x18
	v_ashrrev_i32_e32 v71, 31, v70
	s_cmp_lg_u32 s15, 0
	s_waitcnt lgkmcnt(0)
	v_lshl_add_u64 v[10:11], v[70:71], 2, s[4:5]
	global_load_dwordx2 v[10:11], v[10:11], off
	v_and_b32_e32 v71, 31, v0
	s_waitcnt vmcnt(0)
	v_subrev_u32_e32 v0, s12, v10
	v_subrev_u32_e32 v88, s12, v11
	v_add_u32_e32 v78, v0, v71
	v_cmp_lt_i32_e64 s[2:3], v78, v88
	s_cbranch_scc0 .LBB144_10
; %bb.5:
	v_mov_b64_e32 v[74:75], 0
	v_mov_b64_e32 v[14:15], 0
	;; [unrolled: 1-line block ×8, first 2 shown]
	s_and_saveexec_b64 s[4:5], s[2:3]
	s_cbranch_execz .LBB144_9
; %bb.6:
	v_lshlrev_b32_e32 v80, 5, v78
	v_mov_b64_e32 v[74:75], 0
	s_mov_b64 s[14:15], 0
	v_mov_b32_e32 v81, 0
	v_mov_b32_e32 v82, v78
	v_mov_b64_e32 v[14:15], 0
	v_mov_b64_e32 v[38:39], 0
	;; [unrolled: 1-line block ×7, first 2 shown]
.LBB144_7:                              ; =>This Inner Loop Header: Depth=1
	v_ashrrev_i32_e32 v83, 31, v82
	v_lshl_add_u64 v[84:85], v[80:81], 4, s[8:9]
	v_lshl_add_u64 v[52:53], v[82:83], 2, s[6:7]
	global_load_dwordx4 v[34:37], v[84:85], off offset:48
	global_load_dwordx4 v[58:61], v[84:85], off offset:32
	;; [unrolled: 1-line block ×3, first 2 shown]
	global_load_dwordx4 v[46:49], v[84:85], off
	global_load_dwordx4 v[26:29], v[84:85], off offset:112
	global_load_dwordx4 v[30:33], v[84:85], off offset:96
	;; [unrolled: 1-line block ×10, first 2 shown]
	global_load_dword v16, v[52:53], off
	v_mov_b32_e32 v17, v81
	v_add_u32_e32 v82, 32, v82
	v_cmp_ge_i32_e32 vcc, v82, v88
	v_add_u32_e32 v80, 0x400, v80
	s_or_b64 s[14:15], vcc, s[14:15]
	s_waitcnt vmcnt(0)
	v_subrev_u32_e32 v16, s12, v16
	v_lshlrev_b32_e32 v16, 3, v16
	v_lshl_add_u64 v[86:87], v[16:17], 4, s[10:11]
	global_load_dwordx4 v[98:101], v[86:87], off
	global_load_dwordx4 v[102:105], v[86:87], off offset:16
	s_waitcnt vmcnt(1)
	v_fmac_f64_e32 v[14:15], v[46:47], v[98:99]
	v_fmac_f64_e32 v[74:75], v[48:49], v[98:99]
	;; [unrolled: 1-line block ×6, first 2 shown]
	v_fma_f64 v[52:53], -v[48:49], v[100:101], v[14:15]
	v_fmac_f64_e32 v[74:75], v[46:47], v[100:101]
	v_fma_f64 v[50:51], -v[64:65], v[100:101], v[50:51]
	v_fmac_f64_e32 v[76:77], v[62:63], v[100:101]
	;; [unrolled: 2-line block ×3, first 2 shown]
	v_fmac_f64_e32 v[38:39], v[34:35], v[98:99]
	v_fmac_f64_e32 v[0:1], v[36:37], v[98:99]
	s_waitcnt vmcnt(0)
	v_fmac_f64_e32 v[52:53], v[94:95], v[102:103]
	v_fmac_f64_e32 v[74:75], v[96:97], v[102:103]
	;; [unrolled: 1-line block ×6, first 2 shown]
	global_load_dwordx4 v[46:49], v[84:85], off offset:208
	global_load_dwordx4 v[62:65], v[84:85], off offset:192
	;; [unrolled: 1-line block ×3, first 2 shown]
	v_fma_f64 v[98:99], -v[36:37], v[100:101], v[38:39]
	v_fmac_f64_e32 v[0:1], v[34:35], v[100:101]
	global_load_dwordx4 v[34:37], v[84:85], off offset:288
	global_load_dwordx4 v[38:41], v[84:85], off offset:272
	v_fma_f64 v[100:101], -v[96:97], v[104:105], v[52:53]
	v_fmac_f64_e32 v[74:75], v[94:95], v[104:105]
	global_load_dwordx4 v[58:61], v[84:85], off offset:256
	v_fma_f64 v[108:109], -v[92:93], v[104:105], v[50:51]
	v_fmac_f64_e32 v[76:77], v[90:91], v[104:105]
	;; [unrolled: 3-line block ×3, first 2 shown]
	global_load_dwordx4 v[30:33], v[84:85], off offset:352
	global_load_dwordx4 v[90:93], v[86:87], off offset:32
	;; [unrolled: 1-line block ×3, first 2 shown]
	v_fmac_f64_e32 v[98:99], v[26:27], v[102:103]
	v_fmac_f64_e32 v[0:1], v[28:29], v[102:103]
	v_fma_f64 v[98:99], -v[28:29], v[104:105], v[98:99]
	v_fmac_f64_e32 v[0:1], v[26:27], v[104:105]
	global_load_dwordx4 v[26:29], v[84:85], off offset:336
	s_waitcnt vmcnt(2)
	v_fmac_f64_e32 v[100:101], v[66:67], v[90:91]
	v_fmac_f64_e32 v[74:75], v[68:69], v[90:91]
	;; [unrolled: 1-line block ×8, first 2 shown]
	v_fma_f64 v[100:101], -v[68:69], v[92:93], v[100:101]
	v_fmac_f64_e32 v[74:75], v[66:67], v[92:93]
	v_fma_f64 v[102:103], -v[56:57], v[92:93], v[108:109]
	v_fmac_f64_e32 v[76:77], v[54:55], v[92:93]
	;; [unrolled: 2-line block ×4, first 2 shown]
	s_waitcnt vmcnt(1)
	v_fmac_f64_e32 v[100:101], v[62:63], v[94:95]
	v_fmac_f64_e32 v[74:75], v[64:65], v[94:95]
	;; [unrolled: 1-line block ×8, first 2 shown]
	global_load_dwordx4 v[54:57], v[84:85], off offset:320
	global_load_dwordx4 v[42:45], v[84:85], off offset:432
	;; [unrolled: 1-line block ×4, first 2 shown]
	v_fma_f64 v[98:99], -v[64:65], v[96:97], v[100:101]
	v_fmac_f64_e32 v[74:75], v[62:63], v[96:97]
	global_load_dwordx4 v[62:65], v[84:85], off offset:384
	v_fma_f64 v[100:101], -v[48:49], v[96:97], v[102:103]
	v_fmac_f64_e32 v[76:77], v[46:47], v[96:97]
	global_load_dwordx4 v[46:49], v[84:85], off offset:464
	;; [unrolled: 3-line block ×4, first 2 shown]
	global_load_dwordx4 v[90:93], v[86:87], off offset:80
	s_waitcnt vmcnt(1)
	v_fmac_f64_e32 v[98:99], v[58:59], v[10:11]
	v_fmac_f64_e32 v[74:75], v[60:61], v[10:11]
	;; [unrolled: 1-line block ×4, first 2 shown]
	v_fma_f64 v[98:99], -v[60:61], v[12:13], v[98:99]
	v_fmac_f64_e32 v[74:75], v[58:59], v[12:13]
	global_load_dwordx4 v[58:61], v[84:85], off offset:480
	global_load_dwordx4 v[94:97], v[84:85], off offset:496
	v_fma_f64 v[84:85], -v[40:41], v[12:13], v[100:101]
	v_fmac_f64_e32 v[76:77], v[38:39], v[12:13]
	global_load_dwordx4 v[38:41], v[86:87], off offset:96
	v_fmac_f64_e32 v[102:103], v[34:35], v[10:11]
	v_fmac_f64_e32 v[72:73], v[36:37], v[10:11]
	v_fma_f64 v[100:101], -v[36:37], v[12:13], v[102:103]
	v_fmac_f64_e32 v[72:73], v[34:35], v[12:13]
	global_load_dwordx4 v[34:37], v[86:87], off offset:112
	v_fmac_f64_e32 v[104:105], v[14:15], v[10:11]
	v_fmac_f64_e32 v[0:1], v[16:17], v[10:11]
	v_fma_f64 v[10:11], -v[16:17], v[12:13], v[104:105]
	v_fmac_f64_e32 v[0:1], v[14:15], v[12:13]
	s_waitcnt vmcnt(4)
	v_fmac_f64_e32 v[98:99], v[54:55], v[90:91]
	v_fmac_f64_e32 v[74:75], v[56:57], v[90:91]
	v_fmac_f64_e32 v[84:85], v[26:27], v[90:91]
	v_fmac_f64_e32 v[76:77], v[28:29], v[90:91]
	v_fmac_f64_e32 v[100:101], v[30:31], v[90:91]
	v_fmac_f64_e32 v[72:73], v[32:33], v[90:91]
	v_fmac_f64_e32 v[10:11], v[50:51], v[90:91]
	v_fmac_f64_e32 v[0:1], v[52:53], v[90:91]
	v_fma_f64 v[12:13], -v[56:57], v[92:93], v[98:99]
	v_fmac_f64_e32 v[74:75], v[54:55], v[92:93]
	v_fma_f64 v[14:15], -v[28:29], v[92:93], v[84:85]
	v_fmac_f64_e32 v[76:77], v[26:27], v[92:93]
	v_fma_f64 v[16:17], -v[32:33], v[92:93], v[100:101]
	v_fmac_f64_e32 v[72:73], v[30:31], v[92:93]
	v_fma_f64 v[10:11], -v[52:53], v[92:93], v[10:11]
	v_fmac_f64_e32 v[0:1], v[50:51], v[92:93]
	s_waitcnt vmcnt(1)
	v_fmac_f64_e32 v[12:13], v[62:63], v[38:39]
	v_fmac_f64_e32 v[74:75], v[64:65], v[38:39]
	v_fmac_f64_e32 v[14:15], v[66:67], v[38:39]
	v_fmac_f64_e32 v[76:77], v[68:69], v[38:39]
	v_fmac_f64_e32 v[16:17], v[22:23], v[38:39]
	v_fmac_f64_e32 v[72:73], v[24:25], v[38:39]
	v_fmac_f64_e32 v[10:11], v[42:43], v[38:39]
	v_fmac_f64_e32 v[0:1], v[44:45], v[38:39]
	v_fma_f64 v[12:13], -v[64:65], v[40:41], v[12:13]
	v_fmac_f64_e32 v[74:75], v[62:63], v[40:41]
	v_fma_f64 v[26:27], -v[68:69], v[40:41], v[14:15]
	v_fmac_f64_e32 v[76:77], v[66:67], v[40:41]
	v_fma_f64 v[16:17], -v[24:25], v[40:41], v[16:17]
	;; [unrolled: 17-line block ×3, first 2 shown]
	v_fmac_f64_e32 v[72:73], v[58:59], v[36:37]
	v_fma_f64 v[38:39], -v[96:97], v[36:37], v[10:11]
	v_fmac_f64_e32 v[0:1], v[94:95], v[36:37]
	s_andn2_b64 exec, exec, s[14:15]
	s_cbranch_execnz .LBB144_7
; %bb.8:
	s_or_b64 exec, exec, s[14:15]
.LBB144_9:
	s_or_b64 exec, exec, s[4:5]
	s_cbranch_execz .LBB144_11
	s_branch .LBB144_16
.LBB144_10:
                                        ; implicit-def: $vgpr74_vgpr75
                                        ; implicit-def: $vgpr14_vgpr15
                                        ; implicit-def: $vgpr38_vgpr39
                                        ; implicit-def: $vgpr0_vgpr1
                                        ; implicit-def: $vgpr40_vgpr41
                                        ; implicit-def: $vgpr72_vgpr73
                                        ; implicit-def: $vgpr50_vgpr51
                                        ; implicit-def: $vgpr76_vgpr77
.LBB144_11:
	v_mov_b64_e32 v[74:75], 0
	v_mov_b64_e32 v[14:15], 0
	;; [unrolled: 1-line block ×8, first 2 shown]
	s_and_saveexec_b64 s[4:5], s[2:3]
	s_cbranch_execz .LBB144_15
; %bb.12:
	v_lshlrev_b32_e32 v26, 5, v78
	v_mov_b64_e32 v[74:75], 0
	s_mov_b64 s[2:3], 0
	v_mov_b32_e32 v27, 0
	v_mov_b64_e32 v[14:15], 0
	v_mov_b64_e32 v[38:39], 0
	;; [unrolled: 1-line block ×7, first 2 shown]
.LBB144_13:                             ; =>This Inner Loop Header: Depth=1
	v_ashrrev_i32_e32 v79, 31, v78
	v_lshl_add_u64 v[28:29], v[26:27], 4, s[8:9]
	v_lshl_add_u64 v[30:31], v[78:79], 2, s[6:7]
	global_load_dwordx4 v[18:21], v[28:29], off offset:16
	global_load_dwordx4 v[22:25], v[28:29], off
	global_load_dwordx4 v[32:35], v[28:29], off offset:144
	global_load_dwordx4 v[42:45], v[28:29], off offset:128
	;; [unrolled: 1-line block ×8, first 2 shown]
	global_load_dword v16, v[30:31], off
	v_mov_b32_e32 v17, v27
	v_add_u32_e32 v78, 32, v78
	v_cmp_ge_i32_e32 vcc, v78, v88
	v_add_u32_e32 v26, 0x400, v26
	s_or_b64 s[2:3], vcc, s[2:3]
	s_waitcnt vmcnt(0)
	v_subrev_u32_e32 v16, s12, v16
	v_lshlrev_b32_e32 v16, 3, v16
	v_lshl_add_u64 v[30:31], v[16:17], 4, s[10:11]
	global_load_dwordx4 v[80:83], v[30:31], off
	global_load_dwordx4 v[84:87], v[30:31], off offset:16
	s_waitcnt vmcnt(1)
	v_fmac_f64_e32 v[14:15], v[22:23], v[80:81]
	v_fmac_f64_e32 v[74:75], v[24:25], v[80:81]
	v_fmac_f64_e32 v[50:51], v[42:43], v[80:81]
	v_fmac_f64_e32 v[76:77], v[44:45], v[80:81]
	v_fmac_f64_e32 v[40:41], v[52:53], v[80:81]
	v_fmac_f64_e32 v[72:73], v[54:55], v[80:81]
	v_fmac_f64_e32 v[38:39], v[56:57], v[80:81]
	v_fmac_f64_e32 v[0:1], v[58:59], v[80:81]
	v_fma_f64 v[68:69], -v[24:25], v[82:83], v[14:15]
	v_fmac_f64_e32 v[74:75], v[22:23], v[82:83]
	v_fma_f64 v[90:91], -v[44:45], v[82:83], v[50:51]
	v_fmac_f64_e32 v[76:77], v[42:43], v[82:83]
	;; [unrolled: 2-line block ×4, first 2 shown]
	global_load_dwordx4 v[14:17], v[28:29], off offset:176
	global_load_dwordx4 v[42:45], v[28:29], off offset:160
	;; [unrolled: 1-line block ×5, first 2 shown]
	s_waitcnt vmcnt(5)
	v_fmac_f64_e32 v[68:69], v[18:19], v[84:85]
	v_fmac_f64_e32 v[74:75], v[20:21], v[84:85]
	;; [unrolled: 1-line block ×8, first 2 shown]
	v_fma_f64 v[68:69], -v[20:21], v[86:87], v[68:69]
	v_fmac_f64_e32 v[74:75], v[18:19], v[86:87]
	global_load_dwordx4 v[54:57], v[28:29], off offset:432
	v_fma_f64 v[80:81], -v[34:35], v[86:87], v[90:91]
	v_fmac_f64_e32 v[76:77], v[32:33], v[86:87]
	global_load_dwordx4 v[18:21], v[28:29], off offset:80
	global_load_dwordx4 v[32:35], v[28:29], off offset:64
	v_fma_f64 v[82:83], -v[48:49], v[86:87], v[40:41]
	v_fmac_f64_e32 v[72:73], v[46:47], v[86:87]
	v_fma_f64 v[84:85], -v[62:63], v[86:87], v[58:59]
	v_fmac_f64_e32 v[0:1], v[60:61], v[86:87]
	global_load_dwordx4 v[46:49], v[30:31], off offset:32
	global_load_dwordx4 v[58:61], v[30:31], off offset:48
	s_waitcnt vmcnt(1)
	v_fmac_f64_e32 v[68:69], v[64:65], v[46:47]
	v_fmac_f64_e32 v[74:75], v[66:67], v[46:47]
	;; [unrolled: 1-line block ×8, first 2 shown]
	v_fma_f64 v[66:67], -v[66:67], v[48:49], v[68:69]
	v_fmac_f64_e32 v[74:75], v[64:65], v[48:49]
	v_fma_f64 v[68:69], -v[44:45], v[48:49], v[80:81]
	v_fmac_f64_e32 v[76:77], v[42:43], v[48:49]
	v_fma_f64 v[80:81], -v[38:39], v[48:49], v[82:83]
	v_fmac_f64_e32 v[72:73], v[36:37], v[48:49]
	v_fma_f64 v[52:53], -v[52:53], v[48:49], v[84:85]
	v_fmac_f64_e32 v[0:1], v[50:51], v[48:49]
	s_waitcnt vmcnt(0)
	v_fmac_f64_e32 v[66:67], v[10:11], v[58:59]
	v_fmac_f64_e32 v[74:75], v[12:13], v[58:59]
	;; [unrolled: 1-line block ×8, first 2 shown]
	global_load_dwordx4 v[62:65], v[28:29], off offset:208
	global_load_dwordx4 v[40:43], v[28:29], off offset:192
	;; [unrolled: 1-line block ×5, first 2 shown]
	v_fma_f64 v[82:83], -v[12:13], v[60:61], v[66:67]
	v_fmac_f64_e32 v[74:75], v[10:11], v[60:61]
	global_load_dwordx4 v[10:13], v[28:29], off offset:464
	v_fma_f64 v[84:85], -v[16:17], v[60:61], v[68:69]
	v_fmac_f64_e32 v[76:77], v[14:15], v[60:61]
	global_load_dwordx4 v[66:69], v[28:29], off offset:112
	global_load_dwordx4 v[14:17], v[28:29], off offset:96
	v_fma_f64 v[80:81], -v[24:25], v[60:61], v[80:81]
	v_fmac_f64_e32 v[72:73], v[22:23], v[60:61]
	v_fma_f64 v[56:57], -v[56:57], v[60:61], v[52:53]
	v_fmac_f64_e32 v[0:1], v[54:55], v[60:61]
	global_load_dwordx4 v[22:25], v[30:31], off offset:64
	global_load_dwordx4 v[52:55], v[30:31], off offset:80
	s_waitcnt vmcnt(1)
	v_fmac_f64_e32 v[82:83], v[32:33], v[22:23]
	v_fmac_f64_e32 v[74:75], v[34:35], v[22:23]
	v_fma_f64 v[60:61], -v[34:35], v[24:25], v[82:83]
	v_fmac_f64_e32 v[74:75], v[32:33], v[24:25]
	v_fmac_f64_e32 v[84:85], v[40:41], v[22:23]
	;; [unrolled: 1-line block ×7, first 2 shown]
	s_waitcnt vmcnt(0)
	v_fmac_f64_e32 v[60:61], v[18:19], v[52:53]
	v_fmac_f64_e32 v[74:75], v[20:21], v[52:53]
	global_load_dwordx4 v[32:35], v[28:29], off offset:240
	v_fma_f64 v[82:83], -v[42:43], v[24:25], v[84:85]
	v_fmac_f64_e32 v[76:77], v[40:41], v[24:25]
	global_load_dwordx4 v[40:43], v[28:29], off offset:224
	v_fma_f64 v[80:81], -v[46:47], v[24:25], v[80:81]
	;; [unrolled: 3-line block ×3, first 2 shown]
	v_fmac_f64_e32 v[0:1], v[48:49], v[24:25]
	global_load_dwordx4 v[22:25], v[28:29], off offset:352
	global_load_dwordx4 v[56:59], v[28:29], off offset:496
	global_load_dwordx4 v[48:51], v[28:29], off offset:480
	v_fma_f64 v[60:61], -v[20:21], v[54:55], v[60:61]
	v_fmac_f64_e32 v[74:75], v[18:19], v[54:55]
	global_load_dwordx4 v[18:21], v[30:31], off offset:96
	v_fmac_f64_e32 v[82:83], v[62:63], v[52:53]
	global_load_dwordx4 v[28:31], v[30:31], off offset:112
	v_fmac_f64_e32 v[76:77], v[64:65], v[52:53]
	v_fmac_f64_e32 v[80:81], v[36:37], v[52:53]
	;; [unrolled: 1-line block ×5, first 2 shown]
	v_fma_f64 v[64:65], -v[64:65], v[54:55], v[82:83]
	v_fmac_f64_e32 v[76:77], v[62:63], v[54:55]
	v_fma_f64 v[38:39], -v[38:39], v[54:55], v[80:81]
	v_fmac_f64_e32 v[72:73], v[36:37], v[54:55]
	;; [unrolled: 2-line block ×3, first 2 shown]
	s_waitcnt vmcnt(1)
	v_fmac_f64_e32 v[60:61], v[14:15], v[18:19]
	v_fmac_f64_e32 v[74:75], v[16:17], v[18:19]
	;; [unrolled: 1-line block ×8, first 2 shown]
	v_fma_f64 v[10:11], -v[16:17], v[20:21], v[60:61]
	v_fmac_f64_e32 v[74:75], v[14:15], v[20:21]
	v_fma_f64 v[16:17], -v[42:43], v[20:21], v[64:65]
	v_fmac_f64_e32 v[76:77], v[40:41], v[20:21]
	;; [unrolled: 2-line block ×4, first 2 shown]
	s_waitcnt vmcnt(0)
	v_fmac_f64_e32 v[10:11], v[66:67], v[28:29]
	v_fmac_f64_e32 v[74:75], v[68:69], v[28:29]
	v_fmac_f64_e32 v[16:17], v[32:33], v[28:29]
	v_fmac_f64_e32 v[76:77], v[34:35], v[28:29]
	v_fmac_f64_e32 v[18:19], v[44:45], v[28:29]
	v_fmac_f64_e32 v[72:73], v[46:47], v[28:29]
	v_fmac_f64_e32 v[12:13], v[56:57], v[28:29]
	v_fmac_f64_e32 v[0:1], v[58:59], v[28:29]
	v_fma_f64 v[14:15], -v[68:69], v[30:31], v[10:11]
	v_fmac_f64_e32 v[74:75], v[66:67], v[30:31]
	v_fma_f64 v[50:51], -v[34:35], v[30:31], v[16:17]
	v_fmac_f64_e32 v[76:77], v[32:33], v[30:31]
	v_fma_f64 v[40:41], -v[46:47], v[30:31], v[18:19]
	v_fmac_f64_e32 v[72:73], v[44:45], v[30:31]
	v_fma_f64 v[38:39], -v[58:59], v[30:31], v[12:13]
	v_fmac_f64_e32 v[0:1], v[56:57], v[30:31]
	s_andn2_b64 exec, exec, s[2:3]
	s_cbranch_execnz .LBB144_13
; %bb.14:
	s_or_b64 exec, exec, s[2:3]
.LBB144_15:
	s_or_b64 exec, exec, s[4:5]
.LBB144_16:
	v_mov_b32_dpp v10, v14 row_shr:1 row_mask:0xf bank_mask:0xf
	v_mov_b32_dpp v11, v15 row_shr:1 row_mask:0xf bank_mask:0xf
	v_add_f64 v[10:11], v[14:15], v[10:11]
	v_mov_b32_dpp v14, v74 row_shr:1 row_mask:0xf bank_mask:0xf
	v_mov_b32_dpp v15, v75 row_shr:1 row_mask:0xf bank_mask:0xf
	v_add_f64 v[14:15], v[74:75], v[14:15]
	v_mov_b32_dpp v12, v10 row_shr:2 row_mask:0xf bank_mask:0xf
	v_mov_b32_dpp v13, v11 row_shr:2 row_mask:0xf bank_mask:0xf
	;; [unrolled: 1-line block ×4, first 2 shown]
	v_add_f64 v[14:15], v[14:15], v[16:17]
	v_add_f64 v[10:11], v[10:11], v[12:13]
	v_cmp_eq_u32_e32 vcc, 31, v71
	v_mov_b32_dpp v16, v14 row_shr:4 row_mask:0xf bank_mask:0xe
	v_mov_b32_dpp v17, v15 row_shr:4 row_mask:0xf bank_mask:0xe
	v_add_f64 v[14:15], v[14:15], v[16:17]
	v_mov_b32_dpp v12, v10 row_shr:4 row_mask:0xf bank_mask:0xe
	v_mov_b32_dpp v13, v11 row_shr:4 row_mask:0xf bank_mask:0xe
	;; [unrolled: 1-line block ×4, first 2 shown]
	v_add_f64 v[14:15], v[14:15], v[16:17]
	v_mov_b32_dpp v16, v50 row_shr:1 row_mask:0xf bank_mask:0xf
	v_mov_b32_dpp v17, v51 row_shr:1 row_mask:0xf bank_mask:0xf
	v_add_f64 v[16:17], v[50:51], v[16:17]
	v_add_f64 v[10:11], v[10:11], v[12:13]
	v_mov_b32_dpp v18, v14 row_bcast:15 row_mask:0xa bank_mask:0xf
	v_mov_b32_dpp v20, v16 row_shr:2 row_mask:0xf bank_mask:0xf
	v_mov_b32_dpp v21, v17 row_shr:2 row_mask:0xf bank_mask:0xf
	v_add_f64 v[16:17], v[16:17], v[20:21]
	v_mov_b32_dpp v12, v10 row_shr:8 row_mask:0xf bank_mask:0xc
	v_mov_b32_dpp v13, v11 row_shr:8 row_mask:0xf bank_mask:0xc
	;; [unrolled: 1-line block ×4, first 2 shown]
	v_add_f64 v[16:17], v[16:17], v[20:21]
	v_add_f64 v[10:11], v[10:11], v[12:13]
	v_mov_b32_dpp v19, v15 row_bcast:15 row_mask:0xa bank_mask:0xf
	v_mov_b32_dpp v20, v16 row_shr:8 row_mask:0xf bank_mask:0xc
	v_mov_b32_dpp v21, v17 row_shr:8 row_mask:0xf bank_mask:0xc
	v_add_f64 v[20:21], v[16:17], v[20:21]
	v_mov_b32_dpp v16, v76 row_shr:1 row_mask:0xf bank_mask:0xf
	v_mov_b32_dpp v17, v77 row_shr:1 row_mask:0xf bank_mask:0xf
	v_add_f64 v[16:17], v[76:77], v[16:17]
	v_mov_b32_dpp v12, v10 row_bcast:15 row_mask:0xa bank_mask:0xf
	v_mov_b32_dpp v13, v11 row_bcast:15 row_mask:0xa bank_mask:0xf
	v_mov_b32_dpp v24, v16 row_shr:2 row_mask:0xf bank_mask:0xf
	v_mov_b32_dpp v25, v17 row_shr:2 row_mask:0xf bank_mask:0xf
	v_add_f64 v[16:17], v[16:17], v[24:25]
	v_mov_b32_dpp v22, v20 row_bcast:15 row_mask:0xa bank_mask:0xf
	v_mov_b32_dpp v23, v21 row_bcast:15 row_mask:0xa bank_mask:0xf
	v_mov_b32_dpp v24, v16 row_shr:4 row_mask:0xf bank_mask:0xe
	v_mov_b32_dpp v25, v17 row_shr:4 row_mask:0xf bank_mask:0xe
	v_add_f64 v[16:17], v[16:17], v[24:25]
	s_nop 1
	v_mov_b32_dpp v24, v16 row_shr:8 row_mask:0xf bank_mask:0xc
	v_mov_b32_dpp v25, v17 row_shr:8 row_mask:0xf bank_mask:0xc
	v_add_f64 v[24:25], v[16:17], v[24:25]
	v_mov_b32_dpp v16, v40 row_shr:1 row_mask:0xf bank_mask:0xf
	v_mov_b32_dpp v17, v41 row_shr:1 row_mask:0xf bank_mask:0xf
	v_add_f64 v[16:17], v[40:41], v[16:17]
	v_mov_b32_dpp v26, v24 row_bcast:15 row_mask:0xa bank_mask:0xf
	v_mov_b32_dpp v27, v25 row_bcast:15 row_mask:0xa bank_mask:0xf
	v_mov_b32_dpp v28, v16 row_shr:2 row_mask:0xf bank_mask:0xf
	v_mov_b32_dpp v29, v17 row_shr:2 row_mask:0xf bank_mask:0xf
	v_add_f64 v[16:17], v[16:17], v[28:29]
	s_nop 1
	v_mov_b32_dpp v28, v16 row_shr:4 row_mask:0xf bank_mask:0xe
	v_mov_b32_dpp v29, v17 row_shr:4 row_mask:0xf bank_mask:0xe
	v_add_f64 v[16:17], v[16:17], v[28:29]
	s_nop 1
	v_mov_b32_dpp v28, v16 row_shr:8 row_mask:0xf bank_mask:0xc
	v_mov_b32_dpp v29, v17 row_shr:8 row_mask:0xf bank_mask:0xc
	v_add_f64 v[30:31], v[16:17], v[28:29]
	v_mov_b32_dpp v16, v72 row_shr:1 row_mask:0xf bank_mask:0xf
	v_mov_b32_dpp v17, v73 row_shr:1 row_mask:0xf bank_mask:0xf
	v_add_f64 v[16:17], v[72:73], v[16:17]
	v_mov_b32_dpp v32, v30 row_bcast:15 row_mask:0xa bank_mask:0xf
	v_mov_b32_dpp v33, v31 row_bcast:15 row_mask:0xa bank_mask:0xf
	v_mov_b32_dpp v28, v16 row_shr:2 row_mask:0xf bank_mask:0xf
	v_mov_b32_dpp v29, v17 row_shr:2 row_mask:0xf bank_mask:0xf
	v_add_f64 v[16:17], v[16:17], v[28:29]
	s_nop 1
	;; [unrolled: 16-line block ×4, first 2 shown]
	v_mov_b32_dpp v16, v0 row_shr:4 row_mask:0xf bank_mask:0xe
	v_mov_b32_dpp v17, v1 row_shr:4 row_mask:0xf bank_mask:0xe
	v_add_f64 v[0:1], v[0:1], v[16:17]
	s_nop 1
	v_mov_b32_dpp v16, v0 row_shr:8 row_mask:0xf bank_mask:0xc
	v_mov_b32_dpp v17, v1 row_shr:8 row_mask:0xf bank_mask:0xc
	v_add_f64 v[42:43], v[0:1], v[16:17]
	s_nop 1
	v_mov_b32_dpp v44, v42 row_bcast:15 row_mask:0xa bank_mask:0xf
	v_mov_b32_dpp v45, v43 row_bcast:15 row_mask:0xa bank_mask:0xf
	s_and_b64 exec, exec, vcc
	s_cbranch_execz .LBB144_21
; %bb.17:
	s_load_dwordx2 s[2:3], s[0:1], 0x48
	v_cmp_eq_f64_e32 vcc, 0, v[6:7]
	v_cmp_eq_f64_e64 s[0:1], 0, v[8:9]
	v_add_f64 v[16:17], v[10:11], v[12:13]
	v_add_f64 v[28:29], v[14:15], v[18:19]
	;; [unrolled: 1-line block ×8, first 2 shown]
	s_and_b64 s[0:1], vcc, s[0:1]
	s_and_saveexec_b64 s[4:5], s[0:1]
	s_xor_b64 s[0:1], exec, s[4:5]
	s_cbranch_execz .LBB144_19
; %bb.18:
	v_mul_f64 v[6:7], v[28:29], -v[4:5]
	v_mul_f64 v[8:9], v[2:3], v[28:29]
	v_fmac_f64_e32 v[6:7], v[2:3], v[16:17]
	v_fmac_f64_e32 v[8:9], v[4:5], v[16:17]
	v_lshlrev_b32_e32 v16, 2, v70
	v_ashrrev_i32_e32 v17, 31, v16
	s_waitcnt lgkmcnt(0)
	v_lshl_add_u64 v[16:17], v[16:17], 4, s[2:3]
	global_store_dwordx4 v[16:17], v[6:9], off
                                        ; implicit-def: $vgpr70
                                        ; implicit-def: $vgpr28_vgpr29
	s_nop 1
	v_mul_f64 v[6:7], v[20:21], -v[4:5]
	v_mul_f64 v[8:9], v[2:3], v[20:21]
	v_fmac_f64_e32 v[6:7], v[2:3], v[12:13]
	v_fmac_f64_e32 v[8:9], v[4:5], v[12:13]
	global_store_dwordx4 v[16:17], v[6:9], off offset:16
                                        ; implicit-def: $vgpr12_vgpr13
                                        ; implicit-def: $vgpr20_vgpr21
	s_nop 1
	v_mul_f64 v[6:7], v[18:19], -v[4:5]
	v_mul_f64 v[8:9], v[2:3], v[18:19]
	v_fmac_f64_e32 v[6:7], v[2:3], v[10:11]
	v_fmac_f64_e32 v[8:9], v[4:5], v[10:11]
	global_store_dwordx4 v[16:17], v[6:9], off offset:32
                                        ; implicit-def: $vgpr10_vgpr11
                                        ; implicit-def: $vgpr18_vgpr19
	s_nop 1
	v_mul_f64 v[6:7], v[14:15], -v[4:5]
	v_mul_f64 v[8:9], v[2:3], v[14:15]
	v_fmac_f64_e32 v[6:7], v[2:3], v[0:1]
	v_fmac_f64_e32 v[8:9], v[4:5], v[0:1]
	global_store_dwordx4 v[16:17], v[6:9], off offset:48
                                        ; implicit-def: $vgpr16_vgpr17
                                        ; implicit-def: $vgpr0_vgpr1
                                        ; implicit-def: $vgpr14_vgpr15
                                        ; implicit-def: $vgpr8_vgpr9
                                        ; implicit-def: $vgpr4_vgpr5
.LBB144_19:
	s_andn2_saveexec_b64 s[0:1], s[0:1]
	s_cbranch_execz .LBB144_21
; %bb.20:
	v_lshlrev_b32_e32 v22, 2, v70
	v_ashrrev_i32_e32 v23, 31, v22
	s_waitcnt lgkmcnt(0)
	v_lshl_add_u64 v[46:47], v[22:23], 4, s[2:3]
	global_load_dwordx4 v[22:25], v[46:47], off
	global_load_dwordx4 v[30:33], v[46:47], off offset:16
	global_load_dwordx4 v[34:37], v[46:47], off offset:32
	;; [unrolled: 1-line block ×3, first 2 shown]
	v_mul_f64 v[26:27], v[28:29], -v[4:5]
	v_mul_f64 v[28:29], v[2:3], v[28:29]
	v_mul_f64 v[42:43], v[20:21], -v[4:5]
	v_mul_f64 v[20:21], v[2:3], v[20:21]
	;; [unrolled: 2-line block ×4, first 2 shown]
	v_fmac_f64_e32 v[26:27], v[2:3], v[16:17]
	v_fmac_f64_e32 v[28:29], v[4:5], v[16:17]
	;; [unrolled: 1-line block ×8, first 2 shown]
	s_waitcnt vmcnt(3)
	v_fmac_f64_e32 v[26:27], v[6:7], v[22:23]
	v_fmac_f64_e32 v[28:29], v[8:9], v[22:23]
	s_waitcnt vmcnt(2)
	v_fmac_f64_e32 v[42:43], v[6:7], v[30:31]
	v_fmac_f64_e32 v[20:21], v[8:9], v[30:31]
	;; [unrolled: 3-line block ×4, first 2 shown]
	v_fma_f64 v[26:27], -v[8:9], v[24:25], v[26:27]
	v_fmac_f64_e32 v[28:29], v[6:7], v[24:25]
	v_fma_f64 v[18:19], -v[8:9], v[32:33], v[42:43]
	v_fmac_f64_e32 v[20:21], v[6:7], v[32:33]
	;; [unrolled: 2-line block ×4, first 2 shown]
	global_store_dwordx4 v[46:47], v[26:29], off
	global_store_dwordx4 v[46:47], v[18:21], off offset:16
	global_store_dwordx4 v[46:47], v[42:45], off offset:32
	global_store_dwordx4 v[46:47], v[12:15], off offset:48
.LBB144_21:
	s_endpgm
	.section	.rodata,"a",@progbits
	.p2align	6, 0x0
	.amdhsa_kernel _ZN9rocsparseL19gebsrmvn_4xn_kernelILj128ELj8ELj32E21rocsparse_complex_numIdEEEvi20rocsparse_direction_NS_24const_host_device_scalarIT2_EEPKiS8_PKS5_SA_S6_PS5_21rocsparse_index_base_b
		.amdhsa_group_segment_fixed_size 0
		.amdhsa_private_segment_fixed_size 0
		.amdhsa_kernarg_size 88
		.amdhsa_user_sgpr_count 2
		.amdhsa_user_sgpr_dispatch_ptr 0
		.amdhsa_user_sgpr_queue_ptr 0
		.amdhsa_user_sgpr_kernarg_segment_ptr 1
		.amdhsa_user_sgpr_dispatch_id 0
		.amdhsa_user_sgpr_kernarg_preload_length 0
		.amdhsa_user_sgpr_kernarg_preload_offset 0
		.amdhsa_user_sgpr_private_segment_size 0
		.amdhsa_uses_dynamic_stack 0
		.amdhsa_enable_private_segment 0
		.amdhsa_system_sgpr_workgroup_id_x 1
		.amdhsa_system_sgpr_workgroup_id_y 0
		.amdhsa_system_sgpr_workgroup_id_z 0
		.amdhsa_system_sgpr_workgroup_info 0
		.amdhsa_system_vgpr_workitem_id 0
		.amdhsa_next_free_vgpr 110
		.amdhsa_next_free_sgpr 16
		.amdhsa_accum_offset 112
		.amdhsa_reserve_vcc 1
		.amdhsa_float_round_mode_32 0
		.amdhsa_float_round_mode_16_64 0
		.amdhsa_float_denorm_mode_32 3
		.amdhsa_float_denorm_mode_16_64 3
		.amdhsa_dx10_clamp 1
		.amdhsa_ieee_mode 1
		.amdhsa_fp16_overflow 0
		.amdhsa_tg_split 0
		.amdhsa_exception_fp_ieee_invalid_op 0
		.amdhsa_exception_fp_denorm_src 0
		.amdhsa_exception_fp_ieee_div_zero 0
		.amdhsa_exception_fp_ieee_overflow 0
		.amdhsa_exception_fp_ieee_underflow 0
		.amdhsa_exception_fp_ieee_inexact 0
		.amdhsa_exception_int_div_zero 0
	.end_amdhsa_kernel
	.section	.text._ZN9rocsparseL19gebsrmvn_4xn_kernelILj128ELj8ELj32E21rocsparse_complex_numIdEEEvi20rocsparse_direction_NS_24const_host_device_scalarIT2_EEPKiS8_PKS5_SA_S6_PS5_21rocsparse_index_base_b,"axG",@progbits,_ZN9rocsparseL19gebsrmvn_4xn_kernelILj128ELj8ELj32E21rocsparse_complex_numIdEEEvi20rocsparse_direction_NS_24const_host_device_scalarIT2_EEPKiS8_PKS5_SA_S6_PS5_21rocsparse_index_base_b,comdat
.Lfunc_end144:
	.size	_ZN9rocsparseL19gebsrmvn_4xn_kernelILj128ELj8ELj32E21rocsparse_complex_numIdEEEvi20rocsparse_direction_NS_24const_host_device_scalarIT2_EEPKiS8_PKS5_SA_S6_PS5_21rocsparse_index_base_b, .Lfunc_end144-_ZN9rocsparseL19gebsrmvn_4xn_kernelILj128ELj8ELj32E21rocsparse_complex_numIdEEEvi20rocsparse_direction_NS_24const_host_device_scalarIT2_EEPKiS8_PKS5_SA_S6_PS5_21rocsparse_index_base_b
                                        ; -- End function
	.set _ZN9rocsparseL19gebsrmvn_4xn_kernelILj128ELj8ELj32E21rocsparse_complex_numIdEEEvi20rocsparse_direction_NS_24const_host_device_scalarIT2_EEPKiS8_PKS5_SA_S6_PS5_21rocsparse_index_base_b.num_vgpr, 110
	.set _ZN9rocsparseL19gebsrmvn_4xn_kernelILj128ELj8ELj32E21rocsparse_complex_numIdEEEvi20rocsparse_direction_NS_24const_host_device_scalarIT2_EEPKiS8_PKS5_SA_S6_PS5_21rocsparse_index_base_b.num_agpr, 0
	.set _ZN9rocsparseL19gebsrmvn_4xn_kernelILj128ELj8ELj32E21rocsparse_complex_numIdEEEvi20rocsparse_direction_NS_24const_host_device_scalarIT2_EEPKiS8_PKS5_SA_S6_PS5_21rocsparse_index_base_b.numbered_sgpr, 16
	.set _ZN9rocsparseL19gebsrmvn_4xn_kernelILj128ELj8ELj32E21rocsparse_complex_numIdEEEvi20rocsparse_direction_NS_24const_host_device_scalarIT2_EEPKiS8_PKS5_SA_S6_PS5_21rocsparse_index_base_b.num_named_barrier, 0
	.set _ZN9rocsparseL19gebsrmvn_4xn_kernelILj128ELj8ELj32E21rocsparse_complex_numIdEEEvi20rocsparse_direction_NS_24const_host_device_scalarIT2_EEPKiS8_PKS5_SA_S6_PS5_21rocsparse_index_base_b.private_seg_size, 0
	.set _ZN9rocsparseL19gebsrmvn_4xn_kernelILj128ELj8ELj32E21rocsparse_complex_numIdEEEvi20rocsparse_direction_NS_24const_host_device_scalarIT2_EEPKiS8_PKS5_SA_S6_PS5_21rocsparse_index_base_b.uses_vcc, 1
	.set _ZN9rocsparseL19gebsrmvn_4xn_kernelILj128ELj8ELj32E21rocsparse_complex_numIdEEEvi20rocsparse_direction_NS_24const_host_device_scalarIT2_EEPKiS8_PKS5_SA_S6_PS5_21rocsparse_index_base_b.uses_flat_scratch, 0
	.set _ZN9rocsparseL19gebsrmvn_4xn_kernelILj128ELj8ELj32E21rocsparse_complex_numIdEEEvi20rocsparse_direction_NS_24const_host_device_scalarIT2_EEPKiS8_PKS5_SA_S6_PS5_21rocsparse_index_base_b.has_dyn_sized_stack, 0
	.set _ZN9rocsparseL19gebsrmvn_4xn_kernelILj128ELj8ELj32E21rocsparse_complex_numIdEEEvi20rocsparse_direction_NS_24const_host_device_scalarIT2_EEPKiS8_PKS5_SA_S6_PS5_21rocsparse_index_base_b.has_recursion, 0
	.set _ZN9rocsparseL19gebsrmvn_4xn_kernelILj128ELj8ELj32E21rocsparse_complex_numIdEEEvi20rocsparse_direction_NS_24const_host_device_scalarIT2_EEPKiS8_PKS5_SA_S6_PS5_21rocsparse_index_base_b.has_indirect_call, 0
	.section	.AMDGPU.csdata,"",@progbits
; Kernel info:
; codeLenInByte = 4096
; TotalNumSgprs: 22
; NumVgprs: 110
; NumAgprs: 0
; TotalNumVgprs: 110
; ScratchSize: 0
; MemoryBound: 1
; FloatMode: 240
; IeeeMode: 1
; LDSByteSize: 0 bytes/workgroup (compile time only)
; SGPRBlocks: 2
; VGPRBlocks: 13
; NumSGPRsForWavesPerEU: 22
; NumVGPRsForWavesPerEU: 110
; AccumOffset: 112
; Occupancy: 4
; WaveLimiterHint : 1
; COMPUTE_PGM_RSRC2:SCRATCH_EN: 0
; COMPUTE_PGM_RSRC2:USER_SGPR: 2
; COMPUTE_PGM_RSRC2:TRAP_HANDLER: 0
; COMPUTE_PGM_RSRC2:TGID_X_EN: 1
; COMPUTE_PGM_RSRC2:TGID_Y_EN: 0
; COMPUTE_PGM_RSRC2:TGID_Z_EN: 0
; COMPUTE_PGM_RSRC2:TIDIG_COMP_CNT: 0
; COMPUTE_PGM_RSRC3_GFX90A:ACCUM_OFFSET: 27
; COMPUTE_PGM_RSRC3_GFX90A:TG_SPLIT: 0
	.section	.text._ZN9rocsparseL19gebsrmvn_4xn_kernelILj128ELj8ELj64E21rocsparse_complex_numIdEEEvi20rocsparse_direction_NS_24const_host_device_scalarIT2_EEPKiS8_PKS5_SA_S6_PS5_21rocsparse_index_base_b,"axG",@progbits,_ZN9rocsparseL19gebsrmvn_4xn_kernelILj128ELj8ELj64E21rocsparse_complex_numIdEEEvi20rocsparse_direction_NS_24const_host_device_scalarIT2_EEPKiS8_PKS5_SA_S6_PS5_21rocsparse_index_base_b,comdat
	.globl	_ZN9rocsparseL19gebsrmvn_4xn_kernelILj128ELj8ELj64E21rocsparse_complex_numIdEEEvi20rocsparse_direction_NS_24const_host_device_scalarIT2_EEPKiS8_PKS5_SA_S6_PS5_21rocsparse_index_base_b ; -- Begin function _ZN9rocsparseL19gebsrmvn_4xn_kernelILj128ELj8ELj64E21rocsparse_complex_numIdEEEvi20rocsparse_direction_NS_24const_host_device_scalarIT2_EEPKiS8_PKS5_SA_S6_PS5_21rocsparse_index_base_b
	.p2align	8
	.type	_ZN9rocsparseL19gebsrmvn_4xn_kernelILj128ELj8ELj64E21rocsparse_complex_numIdEEEvi20rocsparse_direction_NS_24const_host_device_scalarIT2_EEPKiS8_PKS5_SA_S6_PS5_21rocsparse_index_base_b,@function
_ZN9rocsparseL19gebsrmvn_4xn_kernelILj128ELj8ELj64E21rocsparse_complex_numIdEEEvi20rocsparse_direction_NS_24const_host_device_scalarIT2_EEPKiS8_PKS5_SA_S6_PS5_21rocsparse_index_base_b: ; @_ZN9rocsparseL19gebsrmvn_4xn_kernelILj128ELj8ELj64E21rocsparse_complex_numIdEEEvi20rocsparse_direction_NS_24const_host_device_scalarIT2_EEPKiS8_PKS5_SA_S6_PS5_21rocsparse_index_base_b
; %bb.0:
	s_load_dwordx2 s[4:5], s[0:1], 0x8
	s_load_dwordx2 s[6:7], s[0:1], 0x38
	;; [unrolled: 1-line block ×3, first 2 shown]
	s_add_u32 s3, s0, 8
	s_addc_u32 s8, s1, 0
	s_add_u32 s9, s0, 56
	s_addc_u32 s10, s1, 0
	s_waitcnt lgkmcnt(0)
	s_bitcmp1_b32 s13, 0
	s_cselect_b32 s5, s8, s5
	s_cselect_b32 s3, s3, s4
	v_mov_b32_e32 v2, s3
	v_mov_b32_e32 v3, s5
	flat_load_dwordx4 v[2:5], v[2:3]
	s_cselect_b32 s3, s10, s7
	s_cselect_b32 s4, s9, s6
	v_mov_b32_e32 v6, s4
	v_mov_b32_e32 v7, s3
	flat_load_dwordx4 v[6:9], v[6:7]
	s_waitcnt vmcnt(0) lgkmcnt(0)
	v_cmp_eq_f64_e32 vcc, 0, v[2:3]
	v_cmp_eq_f64_e64 s[4:5], 0, v[4:5]
	s_and_b64 s[8:9], vcc, s[4:5]
	s_mov_b64 s[4:5], -1
	s_and_saveexec_b64 s[6:7], s[8:9]
; %bb.1:
	v_cmp_neq_f64_e32 vcc, 1.0, v[6:7]
	v_cmp_neq_f64_e64 s[4:5], 0, v[8:9]
	s_or_b64 s[4:5], vcc, s[4:5]
	s_orn2_b64 s[4:5], s[4:5], exec
; %bb.2:
	s_or_b64 exec, exec, s[6:7]
	s_and_saveexec_b64 s[6:7], s[4:5]
	s_cbranch_execz .LBB145_21
; %bb.3:
	s_load_dwordx2 s[14:15], s[0:1], 0x0
	v_lshrrev_b32_e32 v1, 6, v0
	v_lshl_or_b32 v70, s2, 1, v1
	s_waitcnt lgkmcnt(0)
	v_cmp_gt_i32_e32 vcc, s14, v70
	s_and_b64 exec, exec, vcc
	s_cbranch_execz .LBB145_21
; %bb.4:
	s_load_dwordx8 s[4:11], s[0:1], 0x18
	v_ashrrev_i32_e32 v71, 31, v70
	s_cmp_lg_u32 s15, 0
	s_waitcnt lgkmcnt(0)
	v_lshl_add_u64 v[10:11], v[70:71], 2, s[4:5]
	global_load_dwordx2 v[10:11], v[10:11], off
	v_and_b32_e32 v71, 63, v0
	s_waitcnt vmcnt(0)
	v_subrev_u32_e32 v0, s12, v10
	v_subrev_u32_e32 v88, s12, v11
	v_add_u32_e32 v78, v0, v71
	v_cmp_lt_i32_e64 s[2:3], v78, v88
	s_cbranch_scc0 .LBB145_10
; %bb.5:
	v_mov_b64_e32 v[76:77], 0
	v_mov_b64_e32 v[14:15], 0
	;; [unrolled: 1-line block ×8, first 2 shown]
	s_and_saveexec_b64 s[4:5], s[2:3]
	s_cbranch_execz .LBB145_9
; %bb.6:
	v_lshlrev_b32_e32 v80, 5, v78
	v_mov_b64_e32 v[76:77], 0
	s_mov_b64 s[14:15], 0
	v_mov_b32_e32 v81, 0
	v_mov_b32_e32 v82, v78
	v_mov_b64_e32 v[14:15], 0
	v_mov_b64_e32 v[38:39], 0
	;; [unrolled: 1-line block ×7, first 2 shown]
.LBB145_7:                              ; =>This Inner Loop Header: Depth=1
	v_ashrrev_i32_e32 v83, 31, v82
	v_lshl_add_u64 v[84:85], v[80:81], 4, s[8:9]
	v_lshl_add_u64 v[52:53], v[82:83], 2, s[6:7]
	global_load_dwordx4 v[34:37], v[84:85], off offset:48
	global_load_dwordx4 v[58:61], v[84:85], off offset:32
	;; [unrolled: 1-line block ×3, first 2 shown]
	global_load_dwordx4 v[46:49], v[84:85], off
	global_load_dwordx4 v[26:29], v[84:85], off offset:112
	global_load_dwordx4 v[30:33], v[84:85], off offset:96
	;; [unrolled: 1-line block ×10, first 2 shown]
	global_load_dword v16, v[52:53], off
	v_mov_b32_e32 v17, v81
	v_add_u32_e32 v82, 64, v82
	v_cmp_ge_i32_e32 vcc, v82, v88
	v_add_u32_e32 v80, 0x800, v80
	s_or_b64 s[14:15], vcc, s[14:15]
	s_waitcnt vmcnt(0)
	v_subrev_u32_e32 v16, s12, v16
	v_lshlrev_b32_e32 v16, 3, v16
	v_lshl_add_u64 v[86:87], v[16:17], 4, s[10:11]
	global_load_dwordx4 v[98:101], v[86:87], off
	global_load_dwordx4 v[102:105], v[86:87], off offset:16
	s_waitcnt vmcnt(1)
	v_fmac_f64_e32 v[14:15], v[46:47], v[98:99]
	v_fmac_f64_e32 v[76:77], v[48:49], v[98:99]
	;; [unrolled: 1-line block ×6, first 2 shown]
	v_fma_f64 v[52:53], -v[48:49], v[100:101], v[14:15]
	v_fmac_f64_e32 v[76:77], v[46:47], v[100:101]
	v_fma_f64 v[50:51], -v[64:65], v[100:101], v[50:51]
	v_fmac_f64_e32 v[74:75], v[62:63], v[100:101]
	;; [unrolled: 2-line block ×3, first 2 shown]
	v_fmac_f64_e32 v[38:39], v[34:35], v[98:99]
	v_fmac_f64_e32 v[0:1], v[36:37], v[98:99]
	s_waitcnt vmcnt(0)
	v_fmac_f64_e32 v[52:53], v[94:95], v[102:103]
	v_fmac_f64_e32 v[76:77], v[96:97], v[102:103]
	;; [unrolled: 1-line block ×6, first 2 shown]
	global_load_dwordx4 v[46:49], v[84:85], off offset:208
	global_load_dwordx4 v[62:65], v[84:85], off offset:192
	;; [unrolled: 1-line block ×3, first 2 shown]
	v_fma_f64 v[98:99], -v[36:37], v[100:101], v[38:39]
	v_fmac_f64_e32 v[0:1], v[34:35], v[100:101]
	global_load_dwordx4 v[34:37], v[84:85], off offset:288
	global_load_dwordx4 v[38:41], v[84:85], off offset:272
	v_fma_f64 v[100:101], -v[96:97], v[104:105], v[52:53]
	v_fmac_f64_e32 v[76:77], v[94:95], v[104:105]
	global_load_dwordx4 v[58:61], v[84:85], off offset:256
	v_fma_f64 v[108:109], -v[92:93], v[104:105], v[50:51]
	v_fmac_f64_e32 v[74:75], v[90:91], v[104:105]
	;; [unrolled: 3-line block ×3, first 2 shown]
	global_load_dwordx4 v[30:33], v[84:85], off offset:352
	global_load_dwordx4 v[90:93], v[86:87], off offset:32
	;; [unrolled: 1-line block ×3, first 2 shown]
	v_fmac_f64_e32 v[98:99], v[26:27], v[102:103]
	v_fmac_f64_e32 v[0:1], v[28:29], v[102:103]
	v_fma_f64 v[98:99], -v[28:29], v[104:105], v[98:99]
	v_fmac_f64_e32 v[0:1], v[26:27], v[104:105]
	global_load_dwordx4 v[26:29], v[84:85], off offset:336
	s_waitcnt vmcnt(2)
	v_fmac_f64_e32 v[100:101], v[66:67], v[90:91]
	v_fmac_f64_e32 v[76:77], v[68:69], v[90:91]
	;; [unrolled: 1-line block ×8, first 2 shown]
	v_fma_f64 v[100:101], -v[68:69], v[92:93], v[100:101]
	v_fmac_f64_e32 v[76:77], v[66:67], v[92:93]
	v_fma_f64 v[102:103], -v[56:57], v[92:93], v[108:109]
	v_fmac_f64_e32 v[74:75], v[54:55], v[92:93]
	;; [unrolled: 2-line block ×4, first 2 shown]
	s_waitcnt vmcnt(1)
	v_fmac_f64_e32 v[100:101], v[62:63], v[94:95]
	v_fmac_f64_e32 v[76:77], v[64:65], v[94:95]
	;; [unrolled: 1-line block ×8, first 2 shown]
	global_load_dwordx4 v[54:57], v[84:85], off offset:320
	global_load_dwordx4 v[42:45], v[84:85], off offset:432
	;; [unrolled: 1-line block ×4, first 2 shown]
	v_fma_f64 v[98:99], -v[64:65], v[96:97], v[100:101]
	v_fmac_f64_e32 v[76:77], v[62:63], v[96:97]
	global_load_dwordx4 v[62:65], v[84:85], off offset:384
	v_fma_f64 v[100:101], -v[48:49], v[96:97], v[102:103]
	v_fmac_f64_e32 v[74:75], v[46:47], v[96:97]
	global_load_dwordx4 v[46:49], v[84:85], off offset:464
	;; [unrolled: 3-line block ×4, first 2 shown]
	global_load_dwordx4 v[90:93], v[86:87], off offset:80
	s_waitcnt vmcnt(1)
	v_fmac_f64_e32 v[98:99], v[58:59], v[10:11]
	v_fmac_f64_e32 v[76:77], v[60:61], v[10:11]
	;; [unrolled: 1-line block ×4, first 2 shown]
	v_fma_f64 v[98:99], -v[60:61], v[12:13], v[98:99]
	v_fmac_f64_e32 v[76:77], v[58:59], v[12:13]
	global_load_dwordx4 v[58:61], v[84:85], off offset:480
	global_load_dwordx4 v[94:97], v[84:85], off offset:496
	v_fma_f64 v[84:85], -v[40:41], v[12:13], v[100:101]
	v_fmac_f64_e32 v[74:75], v[38:39], v[12:13]
	global_load_dwordx4 v[38:41], v[86:87], off offset:96
	v_fmac_f64_e32 v[102:103], v[34:35], v[10:11]
	v_fmac_f64_e32 v[72:73], v[36:37], v[10:11]
	v_fma_f64 v[100:101], -v[36:37], v[12:13], v[102:103]
	v_fmac_f64_e32 v[72:73], v[34:35], v[12:13]
	global_load_dwordx4 v[34:37], v[86:87], off offset:112
	v_fmac_f64_e32 v[104:105], v[14:15], v[10:11]
	v_fmac_f64_e32 v[0:1], v[16:17], v[10:11]
	v_fma_f64 v[10:11], -v[16:17], v[12:13], v[104:105]
	v_fmac_f64_e32 v[0:1], v[14:15], v[12:13]
	s_waitcnt vmcnt(4)
	v_fmac_f64_e32 v[98:99], v[54:55], v[90:91]
	v_fmac_f64_e32 v[76:77], v[56:57], v[90:91]
	v_fmac_f64_e32 v[84:85], v[26:27], v[90:91]
	v_fmac_f64_e32 v[74:75], v[28:29], v[90:91]
	v_fmac_f64_e32 v[100:101], v[30:31], v[90:91]
	v_fmac_f64_e32 v[72:73], v[32:33], v[90:91]
	v_fmac_f64_e32 v[10:11], v[50:51], v[90:91]
	v_fmac_f64_e32 v[0:1], v[52:53], v[90:91]
	v_fma_f64 v[12:13], -v[56:57], v[92:93], v[98:99]
	v_fmac_f64_e32 v[76:77], v[54:55], v[92:93]
	v_fma_f64 v[14:15], -v[28:29], v[92:93], v[84:85]
	v_fmac_f64_e32 v[74:75], v[26:27], v[92:93]
	v_fma_f64 v[16:17], -v[32:33], v[92:93], v[100:101]
	v_fmac_f64_e32 v[72:73], v[30:31], v[92:93]
	v_fma_f64 v[10:11], -v[52:53], v[92:93], v[10:11]
	v_fmac_f64_e32 v[0:1], v[50:51], v[92:93]
	s_waitcnt vmcnt(1)
	v_fmac_f64_e32 v[12:13], v[62:63], v[38:39]
	v_fmac_f64_e32 v[76:77], v[64:65], v[38:39]
	v_fmac_f64_e32 v[14:15], v[66:67], v[38:39]
	v_fmac_f64_e32 v[74:75], v[68:69], v[38:39]
	v_fmac_f64_e32 v[16:17], v[22:23], v[38:39]
	v_fmac_f64_e32 v[72:73], v[24:25], v[38:39]
	v_fmac_f64_e32 v[10:11], v[42:43], v[38:39]
	v_fmac_f64_e32 v[0:1], v[44:45], v[38:39]
	v_fma_f64 v[12:13], -v[64:65], v[40:41], v[12:13]
	v_fmac_f64_e32 v[76:77], v[62:63], v[40:41]
	v_fma_f64 v[26:27], -v[68:69], v[40:41], v[14:15]
	v_fmac_f64_e32 v[74:75], v[66:67], v[40:41]
	v_fma_f64 v[16:17], -v[24:25], v[40:41], v[16:17]
	;; [unrolled: 17-line block ×3, first 2 shown]
	v_fmac_f64_e32 v[72:73], v[58:59], v[36:37]
	v_fma_f64 v[38:39], -v[96:97], v[36:37], v[10:11]
	v_fmac_f64_e32 v[0:1], v[94:95], v[36:37]
	s_andn2_b64 exec, exec, s[14:15]
	s_cbranch_execnz .LBB145_7
; %bb.8:
	s_or_b64 exec, exec, s[14:15]
.LBB145_9:
	s_or_b64 exec, exec, s[4:5]
	s_cbranch_execz .LBB145_11
	s_branch .LBB145_16
.LBB145_10:
                                        ; implicit-def: $vgpr76_vgpr77
                                        ; implicit-def: $vgpr14_vgpr15
                                        ; implicit-def: $vgpr38_vgpr39
                                        ; implicit-def: $vgpr0_vgpr1
                                        ; implicit-def: $vgpr40_vgpr41
                                        ; implicit-def: $vgpr72_vgpr73
                                        ; implicit-def: $vgpr50_vgpr51
                                        ; implicit-def: $vgpr74_vgpr75
.LBB145_11:
	v_mov_b64_e32 v[76:77], 0
	v_mov_b64_e32 v[14:15], 0
	;; [unrolled: 1-line block ×8, first 2 shown]
	s_and_saveexec_b64 s[4:5], s[2:3]
	s_cbranch_execz .LBB145_15
; %bb.12:
	v_lshlrev_b32_e32 v26, 5, v78
	v_mov_b64_e32 v[76:77], 0
	s_mov_b64 s[2:3], 0
	v_mov_b32_e32 v27, 0
	v_mov_b64_e32 v[14:15], 0
	v_mov_b64_e32 v[38:39], 0
	;; [unrolled: 1-line block ×7, first 2 shown]
.LBB145_13:                             ; =>This Inner Loop Header: Depth=1
	v_ashrrev_i32_e32 v79, 31, v78
	v_lshl_add_u64 v[28:29], v[26:27], 4, s[8:9]
	v_lshl_add_u64 v[30:31], v[78:79], 2, s[6:7]
	global_load_dwordx4 v[18:21], v[28:29], off offset:16
	global_load_dwordx4 v[22:25], v[28:29], off
	global_load_dwordx4 v[32:35], v[28:29], off offset:144
	global_load_dwordx4 v[42:45], v[28:29], off offset:128
	;; [unrolled: 1-line block ×8, first 2 shown]
	global_load_dword v16, v[30:31], off
	v_mov_b32_e32 v17, v27
	v_add_u32_e32 v78, 64, v78
	v_cmp_ge_i32_e32 vcc, v78, v88
	v_add_u32_e32 v26, 0x800, v26
	s_or_b64 s[2:3], vcc, s[2:3]
	s_waitcnt vmcnt(0)
	v_subrev_u32_e32 v16, s12, v16
	v_lshlrev_b32_e32 v16, 3, v16
	v_lshl_add_u64 v[30:31], v[16:17], 4, s[10:11]
	global_load_dwordx4 v[80:83], v[30:31], off
	global_load_dwordx4 v[84:87], v[30:31], off offset:16
	s_waitcnt vmcnt(1)
	v_fmac_f64_e32 v[14:15], v[22:23], v[80:81]
	v_fmac_f64_e32 v[76:77], v[24:25], v[80:81]
	;; [unrolled: 1-line block ×8, first 2 shown]
	v_fma_f64 v[68:69], -v[24:25], v[82:83], v[14:15]
	v_fmac_f64_e32 v[76:77], v[22:23], v[82:83]
	v_fma_f64 v[90:91], -v[44:45], v[82:83], v[50:51]
	v_fmac_f64_e32 v[74:75], v[42:43], v[82:83]
	;; [unrolled: 2-line block ×4, first 2 shown]
	global_load_dwordx4 v[14:17], v[28:29], off offset:176
	global_load_dwordx4 v[42:45], v[28:29], off offset:160
	;; [unrolled: 1-line block ×5, first 2 shown]
	s_waitcnt vmcnt(5)
	v_fmac_f64_e32 v[68:69], v[18:19], v[84:85]
	v_fmac_f64_e32 v[76:77], v[20:21], v[84:85]
	;; [unrolled: 1-line block ×8, first 2 shown]
	v_fma_f64 v[68:69], -v[20:21], v[86:87], v[68:69]
	v_fmac_f64_e32 v[76:77], v[18:19], v[86:87]
	global_load_dwordx4 v[54:57], v[28:29], off offset:432
	v_fma_f64 v[80:81], -v[34:35], v[86:87], v[90:91]
	v_fmac_f64_e32 v[74:75], v[32:33], v[86:87]
	global_load_dwordx4 v[18:21], v[28:29], off offset:80
	global_load_dwordx4 v[32:35], v[28:29], off offset:64
	v_fma_f64 v[82:83], -v[48:49], v[86:87], v[40:41]
	v_fmac_f64_e32 v[72:73], v[46:47], v[86:87]
	v_fma_f64 v[84:85], -v[62:63], v[86:87], v[58:59]
	v_fmac_f64_e32 v[0:1], v[60:61], v[86:87]
	global_load_dwordx4 v[46:49], v[30:31], off offset:32
	global_load_dwordx4 v[58:61], v[30:31], off offset:48
	s_waitcnt vmcnt(1)
	v_fmac_f64_e32 v[68:69], v[64:65], v[46:47]
	v_fmac_f64_e32 v[76:77], v[66:67], v[46:47]
	;; [unrolled: 1-line block ×8, first 2 shown]
	v_fma_f64 v[66:67], -v[66:67], v[48:49], v[68:69]
	v_fmac_f64_e32 v[76:77], v[64:65], v[48:49]
	v_fma_f64 v[68:69], -v[44:45], v[48:49], v[80:81]
	v_fmac_f64_e32 v[74:75], v[42:43], v[48:49]
	;; [unrolled: 2-line block ×4, first 2 shown]
	s_waitcnt vmcnt(0)
	v_fmac_f64_e32 v[66:67], v[10:11], v[58:59]
	v_fmac_f64_e32 v[76:77], v[12:13], v[58:59]
	;; [unrolled: 1-line block ×8, first 2 shown]
	global_load_dwordx4 v[62:65], v[28:29], off offset:208
	global_load_dwordx4 v[40:43], v[28:29], off offset:192
	;; [unrolled: 1-line block ×5, first 2 shown]
	v_fma_f64 v[82:83], -v[12:13], v[60:61], v[66:67]
	v_fmac_f64_e32 v[76:77], v[10:11], v[60:61]
	global_load_dwordx4 v[10:13], v[28:29], off offset:464
	v_fma_f64 v[84:85], -v[16:17], v[60:61], v[68:69]
	v_fmac_f64_e32 v[74:75], v[14:15], v[60:61]
	global_load_dwordx4 v[66:69], v[28:29], off offset:112
	global_load_dwordx4 v[14:17], v[28:29], off offset:96
	v_fma_f64 v[80:81], -v[24:25], v[60:61], v[80:81]
	v_fmac_f64_e32 v[72:73], v[22:23], v[60:61]
	v_fma_f64 v[56:57], -v[56:57], v[60:61], v[52:53]
	v_fmac_f64_e32 v[0:1], v[54:55], v[60:61]
	global_load_dwordx4 v[22:25], v[30:31], off offset:64
	global_load_dwordx4 v[52:55], v[30:31], off offset:80
	s_waitcnt vmcnt(1)
	v_fmac_f64_e32 v[82:83], v[32:33], v[22:23]
	v_fmac_f64_e32 v[76:77], v[34:35], v[22:23]
	v_fma_f64 v[60:61], -v[34:35], v[24:25], v[82:83]
	v_fmac_f64_e32 v[76:77], v[32:33], v[24:25]
	v_fmac_f64_e32 v[84:85], v[40:41], v[22:23]
	;; [unrolled: 1-line block ×7, first 2 shown]
	s_waitcnt vmcnt(0)
	v_fmac_f64_e32 v[60:61], v[18:19], v[52:53]
	v_fmac_f64_e32 v[76:77], v[20:21], v[52:53]
	global_load_dwordx4 v[32:35], v[28:29], off offset:240
	v_fma_f64 v[82:83], -v[42:43], v[24:25], v[84:85]
	v_fmac_f64_e32 v[74:75], v[40:41], v[24:25]
	global_load_dwordx4 v[40:43], v[28:29], off offset:224
	v_fma_f64 v[80:81], -v[46:47], v[24:25], v[80:81]
	;; [unrolled: 3-line block ×3, first 2 shown]
	v_fmac_f64_e32 v[0:1], v[48:49], v[24:25]
	global_load_dwordx4 v[22:25], v[28:29], off offset:352
	global_load_dwordx4 v[56:59], v[28:29], off offset:496
	;; [unrolled: 1-line block ×3, first 2 shown]
	v_fma_f64 v[60:61], -v[20:21], v[54:55], v[60:61]
	v_fmac_f64_e32 v[76:77], v[18:19], v[54:55]
	global_load_dwordx4 v[18:21], v[30:31], off offset:96
	v_fmac_f64_e32 v[82:83], v[62:63], v[52:53]
	global_load_dwordx4 v[28:31], v[30:31], off offset:112
	v_fmac_f64_e32 v[74:75], v[64:65], v[52:53]
	v_fmac_f64_e32 v[80:81], v[36:37], v[52:53]
	;; [unrolled: 1-line block ×5, first 2 shown]
	v_fma_f64 v[64:65], -v[64:65], v[54:55], v[82:83]
	v_fmac_f64_e32 v[74:75], v[62:63], v[54:55]
	v_fma_f64 v[38:39], -v[38:39], v[54:55], v[80:81]
	v_fmac_f64_e32 v[72:73], v[36:37], v[54:55]
	;; [unrolled: 2-line block ×3, first 2 shown]
	s_waitcnt vmcnt(1)
	v_fmac_f64_e32 v[60:61], v[14:15], v[18:19]
	v_fmac_f64_e32 v[76:77], v[16:17], v[18:19]
	;; [unrolled: 1-line block ×8, first 2 shown]
	v_fma_f64 v[10:11], -v[16:17], v[20:21], v[60:61]
	v_fmac_f64_e32 v[76:77], v[14:15], v[20:21]
	v_fma_f64 v[16:17], -v[42:43], v[20:21], v[64:65]
	v_fmac_f64_e32 v[74:75], v[40:41], v[20:21]
	;; [unrolled: 2-line block ×4, first 2 shown]
	s_waitcnt vmcnt(0)
	v_fmac_f64_e32 v[10:11], v[66:67], v[28:29]
	v_fmac_f64_e32 v[76:77], v[68:69], v[28:29]
	;; [unrolled: 1-line block ×8, first 2 shown]
	v_fma_f64 v[14:15], -v[68:69], v[30:31], v[10:11]
	v_fmac_f64_e32 v[76:77], v[66:67], v[30:31]
	v_fma_f64 v[50:51], -v[34:35], v[30:31], v[16:17]
	v_fmac_f64_e32 v[74:75], v[32:33], v[30:31]
	;; [unrolled: 2-line block ×4, first 2 shown]
	s_andn2_b64 exec, exec, s[2:3]
	s_cbranch_execnz .LBB145_13
; %bb.14:
	s_or_b64 exec, exec, s[2:3]
.LBB145_15:
	s_or_b64 exec, exec, s[4:5]
.LBB145_16:
	v_mov_b32_dpp v18, v50 row_shr:1 row_mask:0xf bank_mask:0xf
	v_mov_b32_dpp v19, v51 row_shr:1 row_mask:0xf bank_mask:0xf
	v_add_f64 v[18:19], v[50:51], v[18:19]
	v_mov_b32_dpp v10, v14 row_shr:1 row_mask:0xf bank_mask:0xf
	v_mov_b32_dpp v11, v15 row_shr:1 row_mask:0xf bank_mask:0xf
	;; [unrolled: 1-line block ×4, first 2 shown]
	v_add_f64 v[18:19], v[18:19], v[20:21]
	v_add_f64 v[10:11], v[14:15], v[10:11]
	v_mov_b32_dpp v14, v76 row_shr:1 row_mask:0xf bank_mask:0xf
	v_mov_b32_dpp v20, v18 row_shr:4 row_mask:0xf bank_mask:0xe
	;; [unrolled: 1-line block ×3, first 2 shown]
	v_add_f64 v[18:19], v[18:19], v[20:21]
	v_mov_b32_dpp v15, v77 row_shr:1 row_mask:0xf bank_mask:0xf
	v_add_f64 v[14:15], v[76:77], v[14:15]
	v_mov_b32_dpp v20, v18 row_shr:8 row_mask:0xf bank_mask:0xc
	v_mov_b32_dpp v21, v19 row_shr:8 row_mask:0xf bank_mask:0xc
	v_add_f64 v[18:19], v[18:19], v[20:21]
	v_mov_b32_dpp v12, v10 row_shr:2 row_mask:0xf bank_mask:0xf
	v_mov_b32_dpp v13, v11 row_shr:2 row_mask:0xf bank_mask:0xf
	v_mov_b32_dpp v20, v18 row_bcast:15 row_mask:0xa bank_mask:0xf
	v_mov_b32_dpp v21, v19 row_bcast:15 row_mask:0xa bank_mask:0xf
	v_add_f64 v[20:21], v[18:19], v[20:21]
	v_mov_b32_dpp v18, v74 row_shr:1 row_mask:0xf bank_mask:0xf
	v_mov_b32_dpp v19, v75 row_shr:1 row_mask:0xf bank_mask:0xf
	v_add_f64 v[18:19], v[74:75], v[18:19]
	v_mov_b32_dpp v16, v14 row_shr:2 row_mask:0xf bank_mask:0xf
	v_mov_b32_dpp v17, v15 row_shr:2 row_mask:0xf bank_mask:0xf
	;; [unrolled: 1-line block ×4, first 2 shown]
	v_add_f64 v[18:19], v[18:19], v[24:25]
	v_add_f64 v[10:11], v[10:11], v[12:13]
	;; [unrolled: 1-line block ×3, first 2 shown]
	v_mov_b32_dpp v24, v18 row_shr:4 row_mask:0xf bank_mask:0xe
	v_mov_b32_dpp v25, v19 row_shr:4 row_mask:0xf bank_mask:0xe
	v_add_f64 v[18:19], v[18:19], v[24:25]
	v_mov_b32_dpp v12, v10 row_shr:4 row_mask:0xf bank_mask:0xe
	v_mov_b32_dpp v13, v11 row_shr:4 row_mask:0xf bank_mask:0xe
	;; [unrolled: 1-line block ×4, first 2 shown]
	v_add_f64 v[18:19], v[18:19], v[24:25]
	v_mov_b32_dpp v16, v14 row_shr:4 row_mask:0xf bank_mask:0xe
	v_mov_b32_dpp v17, v15 row_shr:4 row_mask:0xf bank_mask:0xe
	v_mov_b32_dpp v24, v18 row_bcast:15 row_mask:0xa bank_mask:0xf
	v_mov_b32_dpp v25, v19 row_bcast:15 row_mask:0xa bank_mask:0xf
	v_add_f64 v[24:25], v[18:19], v[24:25]
	v_mov_b32_dpp v18, v40 row_shr:1 row_mask:0xf bank_mask:0xf
	v_mov_b32_dpp v19, v41 row_shr:1 row_mask:0xf bank_mask:0xf
	v_add_f64 v[18:19], v[40:41], v[18:19]
	v_add_f64 v[10:11], v[10:11], v[12:13]
	;; [unrolled: 1-line block ×3, first 2 shown]
	v_mov_b32_dpp v28, v18 row_shr:2 row_mask:0xf bank_mask:0xf
	v_mov_b32_dpp v29, v19 row_shr:2 row_mask:0xf bank_mask:0xf
	v_add_f64 v[18:19], v[18:19], v[28:29]
	v_mov_b32_dpp v12, v10 row_shr:8 row_mask:0xf bank_mask:0xc
	v_mov_b32_dpp v13, v11 row_shr:8 row_mask:0xf bank_mask:0xc
	;; [unrolled: 1-line block ×4, first 2 shown]
	v_add_f64 v[18:19], v[18:19], v[28:29]
	v_mov_b32_dpp v16, v14 row_shr:8 row_mask:0xf bank_mask:0xc
	v_mov_b32_dpp v17, v15 row_shr:8 row_mask:0xf bank_mask:0xc
	;; [unrolled: 1-line block ×4, first 2 shown]
	v_add_f64 v[18:19], v[18:19], v[28:29]
	v_add_f64 v[10:11], v[10:11], v[12:13]
	v_add_f64 v[14:15], v[14:15], v[16:17]
	v_mov_b32_dpp v28, v18 row_bcast:15 row_mask:0xa bank_mask:0xf
	v_mov_b32_dpp v29, v19 row_bcast:15 row_mask:0xa bank_mask:0xf
	v_add_f64 v[30:31], v[18:19], v[28:29]
	v_mov_b32_dpp v18, v72 row_shr:1 row_mask:0xf bank_mask:0xf
	v_mov_b32_dpp v19, v73 row_shr:1 row_mask:0xf bank_mask:0xf
	v_add_f64 v[18:19], v[72:73], v[18:19]
	v_mov_b32_dpp v12, v10 row_bcast:15 row_mask:0xa bank_mask:0xf
	v_mov_b32_dpp v13, v11 row_bcast:15 row_mask:0xa bank_mask:0xf
	v_mov_b32_dpp v28, v18 row_shr:2 row_mask:0xf bank_mask:0xf
	v_mov_b32_dpp v29, v19 row_shr:2 row_mask:0xf bank_mask:0xf
	v_add_f64 v[18:19], v[18:19], v[28:29]
	v_mov_b32_dpp v16, v14 row_bcast:15 row_mask:0xa bank_mask:0xf
	v_mov_b32_dpp v17, v15 row_bcast:15 row_mask:0xa bank_mask:0xf
	v_mov_b32_dpp v28, v18 row_shr:4 row_mask:0xf bank_mask:0xe
	v_mov_b32_dpp v29, v19 row_shr:4 row_mask:0xf bank_mask:0xe
	v_add_f64 v[18:19], v[18:19], v[28:29]
	v_add_f64 v[10:11], v[10:11], v[12:13]
	;; [unrolled: 1-line block ×3, first 2 shown]
	v_mov_b32_dpp v28, v18 row_shr:8 row_mask:0xf bank_mask:0xc
	v_mov_b32_dpp v29, v19 row_shr:8 row_mask:0xf bank_mask:0xc
	v_add_f64 v[18:19], v[18:19], v[28:29]
	v_mov_b32_dpp v12, v10 row_bcast:31 row_mask:0xc bank_mask:0xf
	v_mov_b32_dpp v13, v11 row_bcast:31 row_mask:0xc bank_mask:0xf
	;; [unrolled: 1-line block ×4, first 2 shown]
	v_add_f64 v[34:35], v[18:19], v[28:29]
	v_mov_b32_dpp v18, v38 row_shr:1 row_mask:0xf bank_mask:0xf
	v_mov_b32_dpp v19, v39 row_shr:1 row_mask:0xf bank_mask:0xf
	v_add_f64 v[18:19], v[38:39], v[18:19]
	v_mov_b32_dpp v16, v14 row_bcast:31 row_mask:0xc bank_mask:0xf
	v_mov_b32_dpp v17, v15 row_bcast:31 row_mask:0xc bank_mask:0xf
	v_mov_b32_dpp v28, v18 row_shr:2 row_mask:0xf bank_mask:0xf
	v_mov_b32_dpp v29, v19 row_shr:2 row_mask:0xf bank_mask:0xf
	v_add_f64 v[18:19], v[18:19], v[28:29]
	v_mov_b32_dpp v22, v20 row_bcast:31 row_mask:0xc bank_mask:0xf
	v_mov_b32_dpp v23, v21 row_bcast:31 row_mask:0xc bank_mask:0xf
	;; [unrolled: 5-line block ×4, first 2 shown]
	v_mov_b32_dpp v28, v18 row_bcast:15 row_mask:0xa bank_mask:0xf
	v_mov_b32_dpp v29, v19 row_bcast:15 row_mask:0xa bank_mask:0xf
	v_add_f64 v[38:39], v[18:19], v[28:29]
	v_mov_b32_dpp v18, v0 row_shr:1 row_mask:0xf bank_mask:0xf
	v_mov_b32_dpp v19, v1 row_shr:1 row_mask:0xf bank_mask:0xf
	v_add_f64 v[0:1], v[0:1], v[18:19]
	v_mov_b32_dpp v36, v34 row_bcast:31 row_mask:0xc bank_mask:0xf
	v_mov_b32_dpp v37, v35 row_bcast:31 row_mask:0xc bank_mask:0xf
	v_mov_b32_dpp v18, v0 row_shr:2 row_mask:0xf bank_mask:0xf
	v_mov_b32_dpp v19, v1 row_shr:2 row_mask:0xf bank_mask:0xf
	v_add_f64 v[0:1], v[0:1], v[18:19]
	v_mov_b32_dpp v40, v38 row_bcast:31 row_mask:0xc bank_mask:0xf
	v_mov_b32_dpp v41, v39 row_bcast:31 row_mask:0xc bank_mask:0xf
	v_mov_b32_dpp v18, v0 row_shr:4 row_mask:0xf bank_mask:0xe
	v_mov_b32_dpp v19, v1 row_shr:4 row_mask:0xf bank_mask:0xe
	v_add_f64 v[0:1], v[0:1], v[18:19]
	v_cmp_eq_u32_e32 vcc, 63, v71
	s_nop 0
	v_mov_b32_dpp v18, v0 row_shr:8 row_mask:0xf bank_mask:0xc
	v_mov_b32_dpp v19, v1 row_shr:8 row_mask:0xf bank_mask:0xc
	v_add_f64 v[0:1], v[0:1], v[18:19]
	s_nop 1
	v_mov_b32_dpp v18, v0 row_bcast:15 row_mask:0xa bank_mask:0xf
	v_mov_b32_dpp v19, v1 row_bcast:15 row_mask:0xa bank_mask:0xf
	v_add_f64 v[42:43], v[0:1], v[18:19]
	s_nop 1
	v_mov_b32_dpp v44, v42 row_bcast:31 row_mask:0xc bank_mask:0xf
	v_mov_b32_dpp v45, v43 row_bcast:31 row_mask:0xc bank_mask:0xf
	s_and_b64 exec, exec, vcc
	s_cbranch_execz .LBB145_21
; %bb.17:
	s_load_dwordx2 s[2:3], s[0:1], 0x48
	v_cmp_eq_f64_e32 vcc, 0, v[6:7]
	v_cmp_eq_f64_e64 s[0:1], 0, v[8:9]
	v_add_f64 v[18:19], v[10:11], v[12:13]
	v_add_f64 v[28:29], v[14:15], v[16:17]
	;; [unrolled: 1-line block ×8, first 2 shown]
	s_and_b64 s[0:1], vcc, s[0:1]
	s_and_saveexec_b64 s[4:5], s[0:1]
	s_xor_b64 s[0:1], exec, s[4:5]
	s_cbranch_execz .LBB145_19
; %bb.18:
	v_mul_f64 v[6:7], v[28:29], -v[4:5]
	v_mul_f64 v[8:9], v[2:3], v[28:29]
	v_fmac_f64_e32 v[6:7], v[2:3], v[18:19]
	v_fmac_f64_e32 v[8:9], v[4:5], v[18:19]
	v_lshlrev_b32_e32 v18, 2, v70
	v_ashrrev_i32_e32 v19, 31, v18
	s_waitcnt lgkmcnt(0)
	v_lshl_add_u64 v[18:19], v[18:19], 4, s[2:3]
	global_store_dwordx4 v[18:19], v[6:9], off
                                        ; implicit-def: $vgpr70
                                        ; implicit-def: $vgpr28_vgpr29
	s_nop 1
	v_mul_f64 v[6:7], v[20:21], -v[4:5]
	v_mul_f64 v[8:9], v[2:3], v[20:21]
	v_fmac_f64_e32 v[6:7], v[2:3], v[12:13]
	v_fmac_f64_e32 v[8:9], v[4:5], v[12:13]
	global_store_dwordx4 v[18:19], v[6:9], off offset:16
                                        ; implicit-def: $vgpr12_vgpr13
                                        ; implicit-def: $vgpr20_vgpr21
	s_nop 1
	v_mul_f64 v[6:7], v[16:17], -v[4:5]
	v_mul_f64 v[8:9], v[2:3], v[16:17]
	v_fmac_f64_e32 v[6:7], v[2:3], v[10:11]
	v_fmac_f64_e32 v[8:9], v[4:5], v[10:11]
	global_store_dwordx4 v[18:19], v[6:9], off offset:32
                                        ; implicit-def: $vgpr10_vgpr11
                                        ; implicit-def: $vgpr16_vgpr17
	s_nop 1
	v_mul_f64 v[6:7], v[14:15], -v[4:5]
	v_mul_f64 v[8:9], v[2:3], v[14:15]
	v_fmac_f64_e32 v[6:7], v[2:3], v[0:1]
	v_fmac_f64_e32 v[8:9], v[4:5], v[0:1]
	global_store_dwordx4 v[18:19], v[6:9], off offset:48
                                        ; implicit-def: $vgpr18_vgpr19
                                        ; implicit-def: $vgpr0_vgpr1
                                        ; implicit-def: $vgpr14_vgpr15
                                        ; implicit-def: $vgpr8_vgpr9
                                        ; implicit-def: $vgpr4_vgpr5
.LBB145_19:
	s_andn2_saveexec_b64 s[0:1], s[0:1]
	s_cbranch_execz .LBB145_21
; %bb.20:
	v_lshlrev_b32_e32 v22, 2, v70
	v_ashrrev_i32_e32 v23, 31, v22
	s_waitcnt lgkmcnt(0)
	v_lshl_add_u64 v[46:47], v[22:23], 4, s[2:3]
	global_load_dwordx4 v[22:25], v[46:47], off
	global_load_dwordx4 v[30:33], v[46:47], off offset:16
	global_load_dwordx4 v[34:37], v[46:47], off offset:32
	;; [unrolled: 1-line block ×3, first 2 shown]
	v_mul_f64 v[26:27], v[28:29], -v[4:5]
	v_mul_f64 v[28:29], v[2:3], v[28:29]
	v_mul_f64 v[42:43], v[20:21], -v[4:5]
	v_mul_f64 v[20:21], v[2:3], v[20:21]
	;; [unrolled: 2-line block ×4, first 2 shown]
	v_fmac_f64_e32 v[26:27], v[2:3], v[18:19]
	v_fmac_f64_e32 v[28:29], v[4:5], v[18:19]
	;; [unrolled: 1-line block ×8, first 2 shown]
	s_waitcnt vmcnt(3)
	v_fmac_f64_e32 v[26:27], v[6:7], v[22:23]
	v_fmac_f64_e32 v[28:29], v[8:9], v[22:23]
	s_waitcnt vmcnt(2)
	v_fmac_f64_e32 v[42:43], v[6:7], v[30:31]
	v_fmac_f64_e32 v[20:21], v[8:9], v[30:31]
	s_waitcnt vmcnt(1)
	v_fmac_f64_e32 v[48:49], v[6:7], v[34:35]
	v_fmac_f64_e32 v[16:17], v[8:9], v[34:35]
	s_waitcnt vmcnt(0)
	v_fmac_f64_e32 v[50:51], v[6:7], v[38:39]
	v_fmac_f64_e32 v[44:45], v[8:9], v[38:39]
	v_fma_f64 v[26:27], -v[8:9], v[24:25], v[26:27]
	v_fmac_f64_e32 v[28:29], v[6:7], v[24:25]
	v_fma_f64 v[18:19], -v[8:9], v[32:33], v[42:43]
	v_fmac_f64_e32 v[20:21], v[6:7], v[32:33]
	;; [unrolled: 2-line block ×4, first 2 shown]
	global_store_dwordx4 v[46:47], v[26:29], off
	global_store_dwordx4 v[46:47], v[18:21], off offset:16
	global_store_dwordx4 v[46:47], v[14:17], off offset:32
	global_store_dwordx4 v[46:47], v[42:45], off offset:48
.LBB145_21:
	s_endpgm
	.section	.rodata,"a",@progbits
	.p2align	6, 0x0
	.amdhsa_kernel _ZN9rocsparseL19gebsrmvn_4xn_kernelILj128ELj8ELj64E21rocsparse_complex_numIdEEEvi20rocsparse_direction_NS_24const_host_device_scalarIT2_EEPKiS8_PKS5_SA_S6_PS5_21rocsparse_index_base_b
		.amdhsa_group_segment_fixed_size 0
		.amdhsa_private_segment_fixed_size 0
		.amdhsa_kernarg_size 88
		.amdhsa_user_sgpr_count 2
		.amdhsa_user_sgpr_dispatch_ptr 0
		.amdhsa_user_sgpr_queue_ptr 0
		.amdhsa_user_sgpr_kernarg_segment_ptr 1
		.amdhsa_user_sgpr_dispatch_id 0
		.amdhsa_user_sgpr_kernarg_preload_length 0
		.amdhsa_user_sgpr_kernarg_preload_offset 0
		.amdhsa_user_sgpr_private_segment_size 0
		.amdhsa_uses_dynamic_stack 0
		.amdhsa_enable_private_segment 0
		.amdhsa_system_sgpr_workgroup_id_x 1
		.amdhsa_system_sgpr_workgroup_id_y 0
		.amdhsa_system_sgpr_workgroup_id_z 0
		.amdhsa_system_sgpr_workgroup_info 0
		.amdhsa_system_vgpr_workitem_id 0
		.amdhsa_next_free_vgpr 110
		.amdhsa_next_free_sgpr 16
		.amdhsa_accum_offset 112
		.amdhsa_reserve_vcc 1
		.amdhsa_float_round_mode_32 0
		.amdhsa_float_round_mode_16_64 0
		.amdhsa_float_denorm_mode_32 3
		.amdhsa_float_denorm_mode_16_64 3
		.amdhsa_dx10_clamp 1
		.amdhsa_ieee_mode 1
		.amdhsa_fp16_overflow 0
		.amdhsa_tg_split 0
		.amdhsa_exception_fp_ieee_invalid_op 0
		.amdhsa_exception_fp_denorm_src 0
		.amdhsa_exception_fp_ieee_div_zero 0
		.amdhsa_exception_fp_ieee_overflow 0
		.amdhsa_exception_fp_ieee_underflow 0
		.amdhsa_exception_fp_ieee_inexact 0
		.amdhsa_exception_int_div_zero 0
	.end_amdhsa_kernel
	.section	.text._ZN9rocsparseL19gebsrmvn_4xn_kernelILj128ELj8ELj64E21rocsparse_complex_numIdEEEvi20rocsparse_direction_NS_24const_host_device_scalarIT2_EEPKiS8_PKS5_SA_S6_PS5_21rocsparse_index_base_b,"axG",@progbits,_ZN9rocsparseL19gebsrmvn_4xn_kernelILj128ELj8ELj64E21rocsparse_complex_numIdEEEvi20rocsparse_direction_NS_24const_host_device_scalarIT2_EEPKiS8_PKS5_SA_S6_PS5_21rocsparse_index_base_b,comdat
.Lfunc_end145:
	.size	_ZN9rocsparseL19gebsrmvn_4xn_kernelILj128ELj8ELj64E21rocsparse_complex_numIdEEEvi20rocsparse_direction_NS_24const_host_device_scalarIT2_EEPKiS8_PKS5_SA_S6_PS5_21rocsparse_index_base_b, .Lfunc_end145-_ZN9rocsparseL19gebsrmvn_4xn_kernelILj128ELj8ELj64E21rocsparse_complex_numIdEEEvi20rocsparse_direction_NS_24const_host_device_scalarIT2_EEPKiS8_PKS5_SA_S6_PS5_21rocsparse_index_base_b
                                        ; -- End function
	.set _ZN9rocsparseL19gebsrmvn_4xn_kernelILj128ELj8ELj64E21rocsparse_complex_numIdEEEvi20rocsparse_direction_NS_24const_host_device_scalarIT2_EEPKiS8_PKS5_SA_S6_PS5_21rocsparse_index_base_b.num_vgpr, 110
	.set _ZN9rocsparseL19gebsrmvn_4xn_kernelILj128ELj8ELj64E21rocsparse_complex_numIdEEEvi20rocsparse_direction_NS_24const_host_device_scalarIT2_EEPKiS8_PKS5_SA_S6_PS5_21rocsparse_index_base_b.num_agpr, 0
	.set _ZN9rocsparseL19gebsrmvn_4xn_kernelILj128ELj8ELj64E21rocsparse_complex_numIdEEEvi20rocsparse_direction_NS_24const_host_device_scalarIT2_EEPKiS8_PKS5_SA_S6_PS5_21rocsparse_index_base_b.numbered_sgpr, 16
	.set _ZN9rocsparseL19gebsrmvn_4xn_kernelILj128ELj8ELj64E21rocsparse_complex_numIdEEEvi20rocsparse_direction_NS_24const_host_device_scalarIT2_EEPKiS8_PKS5_SA_S6_PS5_21rocsparse_index_base_b.num_named_barrier, 0
	.set _ZN9rocsparseL19gebsrmvn_4xn_kernelILj128ELj8ELj64E21rocsparse_complex_numIdEEEvi20rocsparse_direction_NS_24const_host_device_scalarIT2_EEPKiS8_PKS5_SA_S6_PS5_21rocsparse_index_base_b.private_seg_size, 0
	.set _ZN9rocsparseL19gebsrmvn_4xn_kernelILj128ELj8ELj64E21rocsparse_complex_numIdEEEvi20rocsparse_direction_NS_24const_host_device_scalarIT2_EEPKiS8_PKS5_SA_S6_PS5_21rocsparse_index_base_b.uses_vcc, 1
	.set _ZN9rocsparseL19gebsrmvn_4xn_kernelILj128ELj8ELj64E21rocsparse_complex_numIdEEEvi20rocsparse_direction_NS_24const_host_device_scalarIT2_EEPKiS8_PKS5_SA_S6_PS5_21rocsparse_index_base_b.uses_flat_scratch, 0
	.set _ZN9rocsparseL19gebsrmvn_4xn_kernelILj128ELj8ELj64E21rocsparse_complex_numIdEEEvi20rocsparse_direction_NS_24const_host_device_scalarIT2_EEPKiS8_PKS5_SA_S6_PS5_21rocsparse_index_base_b.has_dyn_sized_stack, 0
	.set _ZN9rocsparseL19gebsrmvn_4xn_kernelILj128ELj8ELj64E21rocsparse_complex_numIdEEEvi20rocsparse_direction_NS_24const_host_device_scalarIT2_EEPKiS8_PKS5_SA_S6_PS5_21rocsparse_index_base_b.has_recursion, 0
	.set _ZN9rocsparseL19gebsrmvn_4xn_kernelILj128ELj8ELj64E21rocsparse_complex_numIdEEEvi20rocsparse_direction_NS_24const_host_device_scalarIT2_EEPKiS8_PKS5_SA_S6_PS5_21rocsparse_index_base_b.has_indirect_call, 0
	.section	.AMDGPU.csdata,"",@progbits
; Kernel info:
; codeLenInByte = 4260
; TotalNumSgprs: 22
; NumVgprs: 110
; NumAgprs: 0
; TotalNumVgprs: 110
; ScratchSize: 0
; MemoryBound: 1
; FloatMode: 240
; IeeeMode: 1
; LDSByteSize: 0 bytes/workgroup (compile time only)
; SGPRBlocks: 2
; VGPRBlocks: 13
; NumSGPRsForWavesPerEU: 22
; NumVGPRsForWavesPerEU: 110
; AccumOffset: 112
; Occupancy: 4
; WaveLimiterHint : 1
; COMPUTE_PGM_RSRC2:SCRATCH_EN: 0
; COMPUTE_PGM_RSRC2:USER_SGPR: 2
; COMPUTE_PGM_RSRC2:TRAP_HANDLER: 0
; COMPUTE_PGM_RSRC2:TGID_X_EN: 1
; COMPUTE_PGM_RSRC2:TGID_Y_EN: 0
; COMPUTE_PGM_RSRC2:TGID_Z_EN: 0
; COMPUTE_PGM_RSRC2:TIDIG_COMP_CNT: 0
; COMPUTE_PGM_RSRC3_GFX90A:ACCUM_OFFSET: 27
; COMPUTE_PGM_RSRC3_GFX90A:TG_SPLIT: 0
	.section	.text._ZN9rocsparseL23gebsrmvn_general_kernelILj64ELj16E21rocsparse_complex_numIdEEEvi20rocsparse_direction_NS_24const_host_device_scalarIT1_EEPKiS8_PKS5_iiSA_S6_PS5_21rocsparse_index_base_b,"axG",@progbits,_ZN9rocsparseL23gebsrmvn_general_kernelILj64ELj16E21rocsparse_complex_numIdEEEvi20rocsparse_direction_NS_24const_host_device_scalarIT1_EEPKiS8_PKS5_iiSA_S6_PS5_21rocsparse_index_base_b,comdat
	.globl	_ZN9rocsparseL23gebsrmvn_general_kernelILj64ELj16E21rocsparse_complex_numIdEEEvi20rocsparse_direction_NS_24const_host_device_scalarIT1_EEPKiS8_PKS5_iiSA_S6_PS5_21rocsparse_index_base_b ; -- Begin function _ZN9rocsparseL23gebsrmvn_general_kernelILj64ELj16E21rocsparse_complex_numIdEEEvi20rocsparse_direction_NS_24const_host_device_scalarIT1_EEPKiS8_PKS5_iiSA_S6_PS5_21rocsparse_index_base_b
	.p2align	8
	.type	_ZN9rocsparseL23gebsrmvn_general_kernelILj64ELj16E21rocsparse_complex_numIdEEEvi20rocsparse_direction_NS_24const_host_device_scalarIT1_EEPKiS8_PKS5_iiSA_S6_PS5_21rocsparse_index_base_b,@function
_ZN9rocsparseL23gebsrmvn_general_kernelILj64ELj16E21rocsparse_complex_numIdEEEvi20rocsparse_direction_NS_24const_host_device_scalarIT1_EEPKiS8_PKS5_iiSA_S6_PS5_21rocsparse_index_base_b: ; @_ZN9rocsparseL23gebsrmvn_general_kernelILj64ELj16E21rocsparse_complex_numIdEEEvi20rocsparse_direction_NS_24const_host_device_scalarIT1_EEPKiS8_PKS5_iiSA_S6_PS5_21rocsparse_index_base_b
; %bb.0:
	s_load_dwordx2 s[4:5], s[0:1], 0x8
	s_load_dwordx2 s[6:7], s[0:1], 0x40
	;; [unrolled: 1-line block ×3, first 2 shown]
	s_add_u32 s3, s0, 8
	s_addc_u32 s8, s1, 0
	s_add_u32 s9, s0, 64
	s_addc_u32 s10, s1, 0
	s_waitcnt lgkmcnt(0)
	s_bitcmp1_b32 s13, 0
	s_cselect_b32 s5, s8, s5
	s_cselect_b32 s3, s3, s4
	v_mov_b32_e32 v2, s3
	v_mov_b32_e32 v3, s5
	flat_load_dwordx4 v[2:5], v[2:3]
	s_cselect_b32 s3, s10, s7
	s_cselect_b32 s4, s9, s6
	v_mov_b32_e32 v6, s4
	v_mov_b32_e32 v7, s3
	flat_load_dwordx4 v[6:9], v[6:7]
	s_waitcnt vmcnt(0) lgkmcnt(0)
	v_cmp_eq_f64_e32 vcc, 0, v[2:3]
	v_cmp_eq_f64_e64 s[4:5], 0, v[4:5]
	s_and_b64 s[8:9], vcc, s[4:5]
	s_mov_b64 s[4:5], -1
	s_and_saveexec_b64 s[6:7], s[8:9]
; %bb.1:
	v_cmp_neq_f64_e32 vcc, 1.0, v[6:7]
	v_cmp_neq_f64_e64 s[4:5], 0, v[8:9]
	s_or_b64 s[4:5], vcc, s[4:5]
	s_orn2_b64 s[4:5], s[4:5], exec
; %bb.2:
	s_or_b64 exec, exec, s[6:7]
	s_and_saveexec_b64 s[6:7], s[4:5]
	s_cbranch_execz .LBB146_22
; %bb.3:
	s_load_dwordx2 s[14:15], s[0:1], 0x30
	v_lshrrev_b32_e32 v14, 4, v0
	s_waitcnt lgkmcnt(0)
	v_cmp_gt_i32_e32 vcc, s14, v14
	s_and_b64 exec, exec, vcc
	s_cbranch_execz .LBB146_22
; %bb.4:
	s_load_dwordx4 s[8:11], s[0:1], 0x18
	s_load_dword s20, s[0:1], 0x4
	s_ashr_i32 s3, s2, 31
	s_lshl_b64 s[4:5], s[2:3], 2
	s_mul_i32 s34, s14, s2
	s_waitcnt lgkmcnt(0)
	s_add_u32 s4, s8, s4
	s_addc_u32 s5, s9, s5
	s_load_dwordx2 s[6:7], s[4:5], 0x0
	s_load_dwordx2 s[8:9], s[0:1], 0x50
	;; [unrolled: 1-line block ×4, first 2 shown]
	v_and_b32_e32 v15, 15, v0
	s_waitcnt lgkmcnt(0)
	s_sub_i32 s13, s6, s12
	s_sub_i32 s33, s7, s12
	s_cmp_lt_i32 s6, s7
	s_mul_i32 s2, s14, s13
	s_cselect_b64 s[26:27], -1, 0
	v_add_u32_e32 v0, s2, v14
	s_cmp_lg_u32 s20, 0
	v_cmp_eq_f64_e32 vcc, 0, v[6:7]
	v_cmp_eq_f64_e64 s[4:5], 0, v[8:9]
	v_mul_lo_u32 v18, s15, v0
	v_cndmask_b32_e64 v0, 0, 1, s[26:27]
	v_cmp_gt_i32_e64 s[0:1], s15, v15
	s_cselect_b64 s[20:21], -1, 0
	v_cmp_eq_u32_e64 s[6:7], 15, v15
	s_mov_b64 s[22:23], 0
	s_and_b64 s[24:25], vcc, s[4:5]
	s_lshl_b32 s35, s15, 2
	s_mul_i32 s36, s15, s14
	v_cmp_ne_u32_e64 s[4:5], 1, v0
	s_branch .LBB146_6
.LBB146_5:                              ;   in Loop: Header=BB146_6 Depth=1
	s_or_b64 exec, exec, s[2:3]
	v_add_u32_e32 v14, 4, v14
	v_cmp_le_i32_e32 vcc, s14, v14
	s_or_b64 s[22:23], vcc, s[22:23]
	v_add_u32_e32 v18, s35, v18
	s_andn2_b64 exec, exec, s[22:23]
	s_cbranch_execz .LBB146_22
.LBB146_6:                              ; =>This Loop Header: Depth=1
                                        ;     Child Loop BB146_10 Depth 2
                                        ;       Child Loop BB146_13 Depth 3
	v_mov_b64_e32 v[0:1], 0
	s_and_b64 vcc, exec, s[4:5]
	v_mov_b64_e32 v[10:11], 0
	s_cbranch_vccnz .LBB146_17
; %bb.7:                                ;   in Loop: Header=BB146_6 Depth=1
	v_mov_b64_e32 v[0:1], 0
	v_mov_b32_e32 v16, v18
	s_mov_b32 s2, s13
	v_mov_b64_e32 v[10:11], 0
	s_branch .LBB146_10
.LBB146_8:                              ;   in Loop: Header=BB146_10 Depth=2
	s_or_b64 exec, exec, s[28:29]
.LBB146_9:                              ;   in Loop: Header=BB146_10 Depth=2
	s_or_b64 exec, exec, s[26:27]
	s_add_i32 s2, s2, 1
	s_cmp_ge_i32 s2, s33
	v_add_u32_e32 v16, s36, v16
	s_cbranch_scc1 .LBB146_17
.LBB146_10:                             ;   Parent Loop BB146_6 Depth=1
                                        ; =>  This Loop Header: Depth=2
                                        ;       Child Loop BB146_13 Depth 3
	s_and_saveexec_b64 s[26:27], s[0:1]
	s_cbranch_execz .LBB146_9
; %bb.11:                               ;   in Loop: Header=BB146_10 Depth=2
	s_ashr_i32 s3, s2, 31
	s_lshl_b64 s[28:29], s[2:3], 2
	s_add_u32 s28, s10, s28
	s_addc_u32 s29, s11, s29
	s_load_dword s30, s[28:29], 0x0
	s_mul_i32 s3, s2, s15
	s_mov_b64 s[28:29], 0
	v_mov_b32_e32 v17, v15
	s_waitcnt lgkmcnt(0)
	s_sub_i32 s37, s30, s12
	s_mul_i32 s37, s37, s15
	s_branch .LBB146_13
.LBB146_12:                             ;   in Loop: Header=BB146_13 Depth=3
	v_ashrrev_i32_e32 v13, 31, v12
	v_lshl_add_u64 v[12:13], v[12:13], 4, s[16:17]
	global_load_dwordx4 v[20:23], v[12:13], off
	v_add_u32_e32 v12, s37, v17
	v_ashrrev_i32_e32 v13, 31, v12
	v_lshl_add_u64 v[12:13], v[12:13], 4, s[18:19]
	global_load_dwordx4 v[24:27], v[12:13], off
	v_add_u32_e32 v17, 16, v17
	v_cmp_le_i32_e32 vcc, s15, v17
	s_or_b64 s[28:29], vcc, s[28:29]
	s_waitcnt vmcnt(0)
	v_fmac_f64_e32 v[10:11], v[20:21], v[24:25]
	v_fmac_f64_e32 v[0:1], v[22:23], v[24:25]
	v_fma_f64 v[10:11], -v[22:23], v[26:27], v[10:11]
	v_fmac_f64_e32 v[0:1], v[20:21], v[26:27]
	s_andn2_b64 exec, exec, s[28:29]
	s_cbranch_execz .LBB146_8
.LBB146_13:                             ;   Parent Loop BB146_6 Depth=1
                                        ;     Parent Loop BB146_10 Depth=2
                                        ; =>    This Inner Loop Header: Depth=3
	s_and_b64 vcc, exec, s[20:21]
	s_cbranch_vccz .LBB146_15
; %bb.14:                               ;   in Loop: Header=BB146_13 Depth=3
	v_add_u32_e32 v12, s3, v17
	v_mad_u64_u32 v[12:13], s[30:31], v12, s14, v[14:15]
	s_cbranch_execnz .LBB146_12
	s_branch .LBB146_16
.LBB146_15:                             ;   in Loop: Header=BB146_13 Depth=3
                                        ; implicit-def: $vgpr12
.LBB146_16:                             ;   in Loop: Header=BB146_13 Depth=3
	v_add_u32_e32 v12, v16, v17
	s_branch .LBB146_12
.LBB146_17:                             ;   in Loop: Header=BB146_6 Depth=1
	s_nop 0
	v_mov_b32_dpp v12, v10 row_shr:1 row_mask:0xf bank_mask:0xf
	v_mov_b32_dpp v13, v11 row_shr:1 row_mask:0xf bank_mask:0xf
	v_mov_b32_dpp v16, v0 row_shr:1 row_mask:0xf bank_mask:0xf
	v_mov_b32_dpp v17, v1 row_shr:1 row_mask:0xf bank_mask:0xf
	v_add_f64 v[10:11], v[10:11], v[12:13]
	v_add_f64 v[0:1], v[0:1], v[16:17]
	s_nop 0
	v_mov_b32_dpp v12, v10 row_shr:2 row_mask:0xf bank_mask:0xf
	v_mov_b32_dpp v13, v11 row_shr:2 row_mask:0xf bank_mask:0xf
	v_mov_b32_dpp v16, v0 row_shr:2 row_mask:0xf bank_mask:0xf
	v_mov_b32_dpp v17, v1 row_shr:2 row_mask:0xf bank_mask:0xf
	v_add_f64 v[10:11], v[10:11], v[12:13]
	v_add_f64 v[0:1], v[0:1], v[16:17]
	;; [unrolled: 7-line block ×3, first 2 shown]
	s_nop 0
	v_mov_b32_dpp v12, v10 row_shr:8 row_mask:0xf bank_mask:0xc
	v_mov_b32_dpp v13, v11 row_shr:8 row_mask:0xf bank_mask:0xc
	;; [unrolled: 1-line block ×4, first 2 shown]
	s_and_saveexec_b64 s[2:3], s[6:7]
	s_cbranch_execz .LBB146_5
; %bb.18:                               ;   in Loop: Header=BB146_6 Depth=1
	v_add_f64 v[0:1], v[0:1], v[16:17]
	v_add_f64 v[20:21], v[10:11], v[12:13]
	v_mul_f64 v[10:11], v[0:1], -v[4:5]
	v_mul_f64 v[12:13], v[2:3], v[0:1]
	v_add_u32_e32 v0, s34, v14
	v_fmac_f64_e32 v[10:11], v[2:3], v[20:21]
	v_fmac_f64_e32 v[12:13], v[4:5], v[20:21]
	v_ashrrev_i32_e32 v1, 31, v0
	s_and_saveexec_b64 s[26:27], s[24:25]
	s_xor_b64 s[26:27], exec, s[26:27]
	s_cbranch_execz .LBB146_20
; %bb.19:                               ;   in Loop: Header=BB146_6 Depth=1
	v_lshl_add_u64 v[0:1], v[0:1], 4, s[8:9]
	global_store_dwordx4 v[0:1], v[10:13], off
                                        ; implicit-def: $vgpr0
                                        ; implicit-def: $vgpr10_vgpr11
.LBB146_20:                             ;   in Loop: Header=BB146_6 Depth=1
	s_andn2_saveexec_b64 s[26:27], s[26:27]
	s_cbranch_execz .LBB146_5
; %bb.21:                               ;   in Loop: Header=BB146_6 Depth=1
	v_lshl_add_u64 v[0:1], v[0:1], 4, s[8:9]
	global_load_dwordx4 v[20:23], v[0:1], off
	s_waitcnt vmcnt(0)
	v_fmac_f64_e32 v[10:11], v[6:7], v[20:21]
	v_fmac_f64_e32 v[12:13], v[8:9], v[20:21]
	v_fma_f64 v[10:11], -v[8:9], v[22:23], v[10:11]
	v_fmac_f64_e32 v[12:13], v[6:7], v[22:23]
	global_store_dwordx4 v[0:1], v[10:13], off
	s_branch .LBB146_5
.LBB146_22:
	s_endpgm
	.section	.rodata,"a",@progbits
	.p2align	6, 0x0
	.amdhsa_kernel _ZN9rocsparseL23gebsrmvn_general_kernelILj64ELj16E21rocsparse_complex_numIdEEEvi20rocsparse_direction_NS_24const_host_device_scalarIT1_EEPKiS8_PKS5_iiSA_S6_PS5_21rocsparse_index_base_b
		.amdhsa_group_segment_fixed_size 0
		.amdhsa_private_segment_fixed_size 0
		.amdhsa_kernarg_size 96
		.amdhsa_user_sgpr_count 2
		.amdhsa_user_sgpr_dispatch_ptr 0
		.amdhsa_user_sgpr_queue_ptr 0
		.amdhsa_user_sgpr_kernarg_segment_ptr 1
		.amdhsa_user_sgpr_dispatch_id 0
		.amdhsa_user_sgpr_kernarg_preload_length 0
		.amdhsa_user_sgpr_kernarg_preload_offset 0
		.amdhsa_user_sgpr_private_segment_size 0
		.amdhsa_uses_dynamic_stack 0
		.amdhsa_enable_private_segment 0
		.amdhsa_system_sgpr_workgroup_id_x 1
		.amdhsa_system_sgpr_workgroup_id_y 0
		.amdhsa_system_sgpr_workgroup_id_z 0
		.amdhsa_system_sgpr_workgroup_info 0
		.amdhsa_system_vgpr_workitem_id 0
		.amdhsa_next_free_vgpr 28
		.amdhsa_next_free_sgpr 38
		.amdhsa_accum_offset 28
		.amdhsa_reserve_vcc 1
		.amdhsa_float_round_mode_32 0
		.amdhsa_float_round_mode_16_64 0
		.amdhsa_float_denorm_mode_32 3
		.amdhsa_float_denorm_mode_16_64 3
		.amdhsa_dx10_clamp 1
		.amdhsa_ieee_mode 1
		.amdhsa_fp16_overflow 0
		.amdhsa_tg_split 0
		.amdhsa_exception_fp_ieee_invalid_op 0
		.amdhsa_exception_fp_denorm_src 0
		.amdhsa_exception_fp_ieee_div_zero 0
		.amdhsa_exception_fp_ieee_overflow 0
		.amdhsa_exception_fp_ieee_underflow 0
		.amdhsa_exception_fp_ieee_inexact 0
		.amdhsa_exception_int_div_zero 0
	.end_amdhsa_kernel
	.section	.text._ZN9rocsparseL23gebsrmvn_general_kernelILj64ELj16E21rocsparse_complex_numIdEEEvi20rocsparse_direction_NS_24const_host_device_scalarIT1_EEPKiS8_PKS5_iiSA_S6_PS5_21rocsparse_index_base_b,"axG",@progbits,_ZN9rocsparseL23gebsrmvn_general_kernelILj64ELj16E21rocsparse_complex_numIdEEEvi20rocsparse_direction_NS_24const_host_device_scalarIT1_EEPKiS8_PKS5_iiSA_S6_PS5_21rocsparse_index_base_b,comdat
.Lfunc_end146:
	.size	_ZN9rocsparseL23gebsrmvn_general_kernelILj64ELj16E21rocsparse_complex_numIdEEEvi20rocsparse_direction_NS_24const_host_device_scalarIT1_EEPKiS8_PKS5_iiSA_S6_PS5_21rocsparse_index_base_b, .Lfunc_end146-_ZN9rocsparseL23gebsrmvn_general_kernelILj64ELj16E21rocsparse_complex_numIdEEEvi20rocsparse_direction_NS_24const_host_device_scalarIT1_EEPKiS8_PKS5_iiSA_S6_PS5_21rocsparse_index_base_b
                                        ; -- End function
	.set _ZN9rocsparseL23gebsrmvn_general_kernelILj64ELj16E21rocsparse_complex_numIdEEEvi20rocsparse_direction_NS_24const_host_device_scalarIT1_EEPKiS8_PKS5_iiSA_S6_PS5_21rocsparse_index_base_b.num_vgpr, 28
	.set _ZN9rocsparseL23gebsrmvn_general_kernelILj64ELj16E21rocsparse_complex_numIdEEEvi20rocsparse_direction_NS_24const_host_device_scalarIT1_EEPKiS8_PKS5_iiSA_S6_PS5_21rocsparse_index_base_b.num_agpr, 0
	.set _ZN9rocsparseL23gebsrmvn_general_kernelILj64ELj16E21rocsparse_complex_numIdEEEvi20rocsparse_direction_NS_24const_host_device_scalarIT1_EEPKiS8_PKS5_iiSA_S6_PS5_21rocsparse_index_base_b.numbered_sgpr, 38
	.set _ZN9rocsparseL23gebsrmvn_general_kernelILj64ELj16E21rocsparse_complex_numIdEEEvi20rocsparse_direction_NS_24const_host_device_scalarIT1_EEPKiS8_PKS5_iiSA_S6_PS5_21rocsparse_index_base_b.num_named_barrier, 0
	.set _ZN9rocsparseL23gebsrmvn_general_kernelILj64ELj16E21rocsparse_complex_numIdEEEvi20rocsparse_direction_NS_24const_host_device_scalarIT1_EEPKiS8_PKS5_iiSA_S6_PS5_21rocsparse_index_base_b.private_seg_size, 0
	.set _ZN9rocsparseL23gebsrmvn_general_kernelILj64ELj16E21rocsparse_complex_numIdEEEvi20rocsparse_direction_NS_24const_host_device_scalarIT1_EEPKiS8_PKS5_iiSA_S6_PS5_21rocsparse_index_base_b.uses_vcc, 1
	.set _ZN9rocsparseL23gebsrmvn_general_kernelILj64ELj16E21rocsparse_complex_numIdEEEvi20rocsparse_direction_NS_24const_host_device_scalarIT1_EEPKiS8_PKS5_iiSA_S6_PS5_21rocsparse_index_base_b.uses_flat_scratch, 0
	.set _ZN9rocsparseL23gebsrmvn_general_kernelILj64ELj16E21rocsparse_complex_numIdEEEvi20rocsparse_direction_NS_24const_host_device_scalarIT1_EEPKiS8_PKS5_iiSA_S6_PS5_21rocsparse_index_base_b.has_dyn_sized_stack, 0
	.set _ZN9rocsparseL23gebsrmvn_general_kernelILj64ELj16E21rocsparse_complex_numIdEEEvi20rocsparse_direction_NS_24const_host_device_scalarIT1_EEPKiS8_PKS5_iiSA_S6_PS5_21rocsparse_index_base_b.has_recursion, 0
	.set _ZN9rocsparseL23gebsrmvn_general_kernelILj64ELj16E21rocsparse_complex_numIdEEEvi20rocsparse_direction_NS_24const_host_device_scalarIT1_EEPKiS8_PKS5_iiSA_S6_PS5_21rocsparse_index_base_b.has_indirect_call, 0
	.section	.AMDGPU.csdata,"",@progbits
; Kernel info:
; codeLenInByte = 980
; TotalNumSgprs: 44
; NumVgprs: 28
; NumAgprs: 0
; TotalNumVgprs: 28
; ScratchSize: 0
; MemoryBound: 0
; FloatMode: 240
; IeeeMode: 1
; LDSByteSize: 0 bytes/workgroup (compile time only)
; SGPRBlocks: 5
; VGPRBlocks: 3
; NumSGPRsForWavesPerEU: 44
; NumVGPRsForWavesPerEU: 28
; AccumOffset: 28
; Occupancy: 8
; WaveLimiterHint : 1
; COMPUTE_PGM_RSRC2:SCRATCH_EN: 0
; COMPUTE_PGM_RSRC2:USER_SGPR: 2
; COMPUTE_PGM_RSRC2:TRAP_HANDLER: 0
; COMPUTE_PGM_RSRC2:TGID_X_EN: 1
; COMPUTE_PGM_RSRC2:TGID_Y_EN: 0
; COMPUTE_PGM_RSRC2:TGID_Z_EN: 0
; COMPUTE_PGM_RSRC2:TIDIG_COMP_CNT: 0
; COMPUTE_PGM_RSRC3_GFX90A:ACCUM_OFFSET: 6
; COMPUTE_PGM_RSRC3_GFX90A:TG_SPLIT: 0
	.section	.text._ZN9rocsparseL23gebsrmvn_general_kernelILj128ELj32E21rocsparse_complex_numIdEEEvi20rocsparse_direction_NS_24const_host_device_scalarIT1_EEPKiS8_PKS5_iiSA_S6_PS5_21rocsparse_index_base_b,"axG",@progbits,_ZN9rocsparseL23gebsrmvn_general_kernelILj128ELj32E21rocsparse_complex_numIdEEEvi20rocsparse_direction_NS_24const_host_device_scalarIT1_EEPKiS8_PKS5_iiSA_S6_PS5_21rocsparse_index_base_b,comdat
	.globl	_ZN9rocsparseL23gebsrmvn_general_kernelILj128ELj32E21rocsparse_complex_numIdEEEvi20rocsparse_direction_NS_24const_host_device_scalarIT1_EEPKiS8_PKS5_iiSA_S6_PS5_21rocsparse_index_base_b ; -- Begin function _ZN9rocsparseL23gebsrmvn_general_kernelILj128ELj32E21rocsparse_complex_numIdEEEvi20rocsparse_direction_NS_24const_host_device_scalarIT1_EEPKiS8_PKS5_iiSA_S6_PS5_21rocsparse_index_base_b
	.p2align	8
	.type	_ZN9rocsparseL23gebsrmvn_general_kernelILj128ELj32E21rocsparse_complex_numIdEEEvi20rocsparse_direction_NS_24const_host_device_scalarIT1_EEPKiS8_PKS5_iiSA_S6_PS5_21rocsparse_index_base_b,@function
_ZN9rocsparseL23gebsrmvn_general_kernelILj128ELj32E21rocsparse_complex_numIdEEEvi20rocsparse_direction_NS_24const_host_device_scalarIT1_EEPKiS8_PKS5_iiSA_S6_PS5_21rocsparse_index_base_b: ; @_ZN9rocsparseL23gebsrmvn_general_kernelILj128ELj32E21rocsparse_complex_numIdEEEvi20rocsparse_direction_NS_24const_host_device_scalarIT1_EEPKiS8_PKS5_iiSA_S6_PS5_21rocsparse_index_base_b
; %bb.0:
	s_load_dwordx2 s[4:5], s[0:1], 0x8
	s_load_dwordx2 s[6:7], s[0:1], 0x40
	;; [unrolled: 1-line block ×3, first 2 shown]
	s_add_u32 s3, s0, 8
	s_addc_u32 s8, s1, 0
	s_add_u32 s9, s0, 64
	s_addc_u32 s10, s1, 0
	s_waitcnt lgkmcnt(0)
	s_bitcmp1_b32 s13, 0
	s_cselect_b32 s5, s8, s5
	s_cselect_b32 s3, s3, s4
	v_mov_b32_e32 v2, s3
	v_mov_b32_e32 v3, s5
	flat_load_dwordx4 v[2:5], v[2:3]
	s_cselect_b32 s3, s10, s7
	s_cselect_b32 s4, s9, s6
	v_mov_b32_e32 v6, s4
	v_mov_b32_e32 v7, s3
	flat_load_dwordx4 v[6:9], v[6:7]
	s_waitcnt vmcnt(0) lgkmcnt(0)
	v_cmp_eq_f64_e32 vcc, 0, v[2:3]
	v_cmp_eq_f64_e64 s[4:5], 0, v[4:5]
	s_and_b64 s[8:9], vcc, s[4:5]
	s_mov_b64 s[4:5], -1
	s_and_saveexec_b64 s[6:7], s[8:9]
; %bb.1:
	v_cmp_neq_f64_e32 vcc, 1.0, v[6:7]
	v_cmp_neq_f64_e64 s[4:5], 0, v[8:9]
	s_or_b64 s[4:5], vcc, s[4:5]
	s_orn2_b64 s[4:5], s[4:5], exec
; %bb.2:
	s_or_b64 exec, exec, s[6:7]
	s_and_saveexec_b64 s[6:7], s[4:5]
	s_cbranch_execz .LBB147_22
; %bb.3:
	s_load_dwordx2 s[14:15], s[0:1], 0x30
	v_lshrrev_b32_e32 v14, 5, v0
	s_waitcnt lgkmcnt(0)
	v_cmp_gt_i32_e32 vcc, s14, v14
	s_and_b64 exec, exec, vcc
	s_cbranch_execz .LBB147_22
; %bb.4:
	s_load_dwordx4 s[8:11], s[0:1], 0x18
	s_load_dword s20, s[0:1], 0x4
	s_ashr_i32 s3, s2, 31
	s_lshl_b64 s[4:5], s[2:3], 2
	s_mul_i32 s34, s14, s2
	s_waitcnt lgkmcnt(0)
	s_add_u32 s4, s8, s4
	s_addc_u32 s5, s9, s5
	s_load_dwordx2 s[6:7], s[4:5], 0x0
	s_load_dwordx2 s[8:9], s[0:1], 0x50
	;; [unrolled: 1-line block ×4, first 2 shown]
	v_and_b32_e32 v15, 31, v0
	s_waitcnt lgkmcnt(0)
	s_sub_i32 s13, s6, s12
	s_sub_i32 s33, s7, s12
	s_cmp_lt_i32 s6, s7
	s_mul_i32 s2, s14, s13
	s_cselect_b64 s[26:27], -1, 0
	v_add_u32_e32 v0, s2, v14
	s_cmp_lg_u32 s20, 0
	v_cmp_eq_f64_e32 vcc, 0, v[6:7]
	v_cmp_eq_f64_e64 s[4:5], 0, v[8:9]
	v_mul_lo_u32 v18, s15, v0
	v_cndmask_b32_e64 v0, 0, 1, s[26:27]
	v_cmp_gt_i32_e64 s[0:1], s15, v15
	s_cselect_b64 s[20:21], -1, 0
	v_cmp_eq_u32_e64 s[6:7], 31, v15
	s_mov_b64 s[22:23], 0
	s_and_b64 s[24:25], vcc, s[4:5]
	s_lshl_b32 s35, s15, 2
	s_mul_i32 s36, s15, s14
	v_cmp_ne_u32_e64 s[4:5], 1, v0
	s_branch .LBB147_6
.LBB147_5:                              ;   in Loop: Header=BB147_6 Depth=1
	s_or_b64 exec, exec, s[2:3]
	v_add_u32_e32 v14, 4, v14
	v_cmp_le_i32_e32 vcc, s14, v14
	s_or_b64 s[22:23], vcc, s[22:23]
	v_add_u32_e32 v18, s35, v18
	s_andn2_b64 exec, exec, s[22:23]
	s_cbranch_execz .LBB147_22
.LBB147_6:                              ; =>This Loop Header: Depth=1
                                        ;     Child Loop BB147_10 Depth 2
                                        ;       Child Loop BB147_13 Depth 3
	v_mov_b64_e32 v[0:1], 0
	s_and_b64 vcc, exec, s[4:5]
	v_mov_b64_e32 v[10:11], 0
	s_cbranch_vccnz .LBB147_17
; %bb.7:                                ;   in Loop: Header=BB147_6 Depth=1
	v_mov_b64_e32 v[0:1], 0
	v_mov_b32_e32 v16, v18
	s_mov_b32 s2, s13
	v_mov_b64_e32 v[10:11], 0
	s_branch .LBB147_10
.LBB147_8:                              ;   in Loop: Header=BB147_10 Depth=2
	s_or_b64 exec, exec, s[28:29]
.LBB147_9:                              ;   in Loop: Header=BB147_10 Depth=2
	s_or_b64 exec, exec, s[26:27]
	s_add_i32 s2, s2, 1
	s_cmp_ge_i32 s2, s33
	v_add_u32_e32 v16, s36, v16
	s_cbranch_scc1 .LBB147_17
.LBB147_10:                             ;   Parent Loop BB147_6 Depth=1
                                        ; =>  This Loop Header: Depth=2
                                        ;       Child Loop BB147_13 Depth 3
	s_and_saveexec_b64 s[26:27], s[0:1]
	s_cbranch_execz .LBB147_9
; %bb.11:                               ;   in Loop: Header=BB147_10 Depth=2
	s_ashr_i32 s3, s2, 31
	s_lshl_b64 s[28:29], s[2:3], 2
	s_add_u32 s28, s10, s28
	s_addc_u32 s29, s11, s29
	s_load_dword s30, s[28:29], 0x0
	s_mul_i32 s3, s2, s15
	s_mov_b64 s[28:29], 0
	v_mov_b32_e32 v17, v15
	s_waitcnt lgkmcnt(0)
	s_sub_i32 s37, s30, s12
	s_mul_i32 s37, s37, s15
	s_branch .LBB147_13
.LBB147_12:                             ;   in Loop: Header=BB147_13 Depth=3
	v_ashrrev_i32_e32 v13, 31, v12
	v_lshl_add_u64 v[12:13], v[12:13], 4, s[16:17]
	global_load_dwordx4 v[20:23], v[12:13], off
	v_add_u32_e32 v12, s37, v17
	v_ashrrev_i32_e32 v13, 31, v12
	v_lshl_add_u64 v[12:13], v[12:13], 4, s[18:19]
	global_load_dwordx4 v[24:27], v[12:13], off
	v_add_u32_e32 v17, 32, v17
	v_cmp_le_i32_e32 vcc, s15, v17
	s_or_b64 s[28:29], vcc, s[28:29]
	s_waitcnt vmcnt(0)
	v_fmac_f64_e32 v[10:11], v[20:21], v[24:25]
	v_fmac_f64_e32 v[0:1], v[22:23], v[24:25]
	v_fma_f64 v[10:11], -v[22:23], v[26:27], v[10:11]
	v_fmac_f64_e32 v[0:1], v[20:21], v[26:27]
	s_andn2_b64 exec, exec, s[28:29]
	s_cbranch_execz .LBB147_8
.LBB147_13:                             ;   Parent Loop BB147_6 Depth=1
                                        ;     Parent Loop BB147_10 Depth=2
                                        ; =>    This Inner Loop Header: Depth=3
	s_and_b64 vcc, exec, s[20:21]
	s_cbranch_vccz .LBB147_15
; %bb.14:                               ;   in Loop: Header=BB147_13 Depth=3
	v_add_u32_e32 v12, s3, v17
	v_mad_u64_u32 v[12:13], s[30:31], v12, s14, v[14:15]
	s_cbranch_execnz .LBB147_12
	s_branch .LBB147_16
.LBB147_15:                             ;   in Loop: Header=BB147_13 Depth=3
                                        ; implicit-def: $vgpr12
.LBB147_16:                             ;   in Loop: Header=BB147_13 Depth=3
	v_add_u32_e32 v12, v16, v17
	s_branch .LBB147_12
.LBB147_17:                             ;   in Loop: Header=BB147_6 Depth=1
	s_nop 0
	v_mov_b32_dpp v12, v10 row_shr:1 row_mask:0xf bank_mask:0xf
	v_mov_b32_dpp v13, v11 row_shr:1 row_mask:0xf bank_mask:0xf
	v_mov_b32_dpp v16, v0 row_shr:1 row_mask:0xf bank_mask:0xf
	v_mov_b32_dpp v17, v1 row_shr:1 row_mask:0xf bank_mask:0xf
	v_add_f64 v[10:11], v[10:11], v[12:13]
	v_add_f64 v[0:1], v[0:1], v[16:17]
	s_nop 0
	v_mov_b32_dpp v12, v10 row_shr:2 row_mask:0xf bank_mask:0xf
	v_mov_b32_dpp v13, v11 row_shr:2 row_mask:0xf bank_mask:0xf
	v_mov_b32_dpp v16, v0 row_shr:2 row_mask:0xf bank_mask:0xf
	v_mov_b32_dpp v17, v1 row_shr:2 row_mask:0xf bank_mask:0xf
	v_add_f64 v[10:11], v[10:11], v[12:13]
	v_add_f64 v[0:1], v[0:1], v[16:17]
	;; [unrolled: 7-line block ×4, first 2 shown]
	s_nop 0
	v_mov_b32_dpp v12, v10 row_bcast:15 row_mask:0xa bank_mask:0xf
	v_mov_b32_dpp v13, v11 row_bcast:15 row_mask:0xa bank_mask:0xf
	v_mov_b32_dpp v16, v0 row_bcast:15 row_mask:0xa bank_mask:0xf
	v_mov_b32_dpp v17, v1 row_bcast:15 row_mask:0xa bank_mask:0xf
	s_and_saveexec_b64 s[2:3], s[6:7]
	s_cbranch_execz .LBB147_5
; %bb.18:                               ;   in Loop: Header=BB147_6 Depth=1
	v_add_f64 v[0:1], v[0:1], v[16:17]
	v_add_f64 v[20:21], v[10:11], v[12:13]
	v_mul_f64 v[10:11], v[0:1], -v[4:5]
	v_mul_f64 v[12:13], v[2:3], v[0:1]
	v_add_u32_e32 v0, s34, v14
	v_fmac_f64_e32 v[10:11], v[2:3], v[20:21]
	v_fmac_f64_e32 v[12:13], v[4:5], v[20:21]
	v_ashrrev_i32_e32 v1, 31, v0
	s_and_saveexec_b64 s[26:27], s[24:25]
	s_xor_b64 s[26:27], exec, s[26:27]
	s_cbranch_execz .LBB147_20
; %bb.19:                               ;   in Loop: Header=BB147_6 Depth=1
	v_lshl_add_u64 v[0:1], v[0:1], 4, s[8:9]
	global_store_dwordx4 v[0:1], v[10:13], off
                                        ; implicit-def: $vgpr0
                                        ; implicit-def: $vgpr10_vgpr11
.LBB147_20:                             ;   in Loop: Header=BB147_6 Depth=1
	s_andn2_saveexec_b64 s[26:27], s[26:27]
	s_cbranch_execz .LBB147_5
; %bb.21:                               ;   in Loop: Header=BB147_6 Depth=1
	v_lshl_add_u64 v[0:1], v[0:1], 4, s[8:9]
	global_load_dwordx4 v[20:23], v[0:1], off
	s_waitcnt vmcnt(0)
	v_fmac_f64_e32 v[10:11], v[6:7], v[20:21]
	v_fmac_f64_e32 v[12:13], v[8:9], v[20:21]
	v_fma_f64 v[10:11], -v[8:9], v[22:23], v[10:11]
	v_fmac_f64_e32 v[12:13], v[6:7], v[22:23]
	global_store_dwordx4 v[0:1], v[10:13], off
	s_branch .LBB147_5
.LBB147_22:
	s_endpgm
	.section	.rodata,"a",@progbits
	.p2align	6, 0x0
	.amdhsa_kernel _ZN9rocsparseL23gebsrmvn_general_kernelILj128ELj32E21rocsparse_complex_numIdEEEvi20rocsparse_direction_NS_24const_host_device_scalarIT1_EEPKiS8_PKS5_iiSA_S6_PS5_21rocsparse_index_base_b
		.amdhsa_group_segment_fixed_size 0
		.amdhsa_private_segment_fixed_size 0
		.amdhsa_kernarg_size 96
		.amdhsa_user_sgpr_count 2
		.amdhsa_user_sgpr_dispatch_ptr 0
		.amdhsa_user_sgpr_queue_ptr 0
		.amdhsa_user_sgpr_kernarg_segment_ptr 1
		.amdhsa_user_sgpr_dispatch_id 0
		.amdhsa_user_sgpr_kernarg_preload_length 0
		.amdhsa_user_sgpr_kernarg_preload_offset 0
		.amdhsa_user_sgpr_private_segment_size 0
		.amdhsa_uses_dynamic_stack 0
		.amdhsa_enable_private_segment 0
		.amdhsa_system_sgpr_workgroup_id_x 1
		.amdhsa_system_sgpr_workgroup_id_y 0
		.amdhsa_system_sgpr_workgroup_id_z 0
		.amdhsa_system_sgpr_workgroup_info 0
		.amdhsa_system_vgpr_workitem_id 0
		.amdhsa_next_free_vgpr 28
		.amdhsa_next_free_sgpr 38
		.amdhsa_accum_offset 28
		.amdhsa_reserve_vcc 1
		.amdhsa_float_round_mode_32 0
		.amdhsa_float_round_mode_16_64 0
		.amdhsa_float_denorm_mode_32 3
		.amdhsa_float_denorm_mode_16_64 3
		.amdhsa_dx10_clamp 1
		.amdhsa_ieee_mode 1
		.amdhsa_fp16_overflow 0
		.amdhsa_tg_split 0
		.amdhsa_exception_fp_ieee_invalid_op 0
		.amdhsa_exception_fp_denorm_src 0
		.amdhsa_exception_fp_ieee_div_zero 0
		.amdhsa_exception_fp_ieee_overflow 0
		.amdhsa_exception_fp_ieee_underflow 0
		.amdhsa_exception_fp_ieee_inexact 0
		.amdhsa_exception_int_div_zero 0
	.end_amdhsa_kernel
	.section	.text._ZN9rocsparseL23gebsrmvn_general_kernelILj128ELj32E21rocsparse_complex_numIdEEEvi20rocsparse_direction_NS_24const_host_device_scalarIT1_EEPKiS8_PKS5_iiSA_S6_PS5_21rocsparse_index_base_b,"axG",@progbits,_ZN9rocsparseL23gebsrmvn_general_kernelILj128ELj32E21rocsparse_complex_numIdEEEvi20rocsparse_direction_NS_24const_host_device_scalarIT1_EEPKiS8_PKS5_iiSA_S6_PS5_21rocsparse_index_base_b,comdat
.Lfunc_end147:
	.size	_ZN9rocsparseL23gebsrmvn_general_kernelILj128ELj32E21rocsparse_complex_numIdEEEvi20rocsparse_direction_NS_24const_host_device_scalarIT1_EEPKiS8_PKS5_iiSA_S6_PS5_21rocsparse_index_base_b, .Lfunc_end147-_ZN9rocsparseL23gebsrmvn_general_kernelILj128ELj32E21rocsparse_complex_numIdEEEvi20rocsparse_direction_NS_24const_host_device_scalarIT1_EEPKiS8_PKS5_iiSA_S6_PS5_21rocsparse_index_base_b
                                        ; -- End function
	.set _ZN9rocsparseL23gebsrmvn_general_kernelILj128ELj32E21rocsparse_complex_numIdEEEvi20rocsparse_direction_NS_24const_host_device_scalarIT1_EEPKiS8_PKS5_iiSA_S6_PS5_21rocsparse_index_base_b.num_vgpr, 28
	.set _ZN9rocsparseL23gebsrmvn_general_kernelILj128ELj32E21rocsparse_complex_numIdEEEvi20rocsparse_direction_NS_24const_host_device_scalarIT1_EEPKiS8_PKS5_iiSA_S6_PS5_21rocsparse_index_base_b.num_agpr, 0
	.set _ZN9rocsparseL23gebsrmvn_general_kernelILj128ELj32E21rocsparse_complex_numIdEEEvi20rocsparse_direction_NS_24const_host_device_scalarIT1_EEPKiS8_PKS5_iiSA_S6_PS5_21rocsparse_index_base_b.numbered_sgpr, 38
	.set _ZN9rocsparseL23gebsrmvn_general_kernelILj128ELj32E21rocsparse_complex_numIdEEEvi20rocsparse_direction_NS_24const_host_device_scalarIT1_EEPKiS8_PKS5_iiSA_S6_PS5_21rocsparse_index_base_b.num_named_barrier, 0
	.set _ZN9rocsparseL23gebsrmvn_general_kernelILj128ELj32E21rocsparse_complex_numIdEEEvi20rocsparse_direction_NS_24const_host_device_scalarIT1_EEPKiS8_PKS5_iiSA_S6_PS5_21rocsparse_index_base_b.private_seg_size, 0
	.set _ZN9rocsparseL23gebsrmvn_general_kernelILj128ELj32E21rocsparse_complex_numIdEEEvi20rocsparse_direction_NS_24const_host_device_scalarIT1_EEPKiS8_PKS5_iiSA_S6_PS5_21rocsparse_index_base_b.uses_vcc, 1
	.set _ZN9rocsparseL23gebsrmvn_general_kernelILj128ELj32E21rocsparse_complex_numIdEEEvi20rocsparse_direction_NS_24const_host_device_scalarIT1_EEPKiS8_PKS5_iiSA_S6_PS5_21rocsparse_index_base_b.uses_flat_scratch, 0
	.set _ZN9rocsparseL23gebsrmvn_general_kernelILj128ELj32E21rocsparse_complex_numIdEEEvi20rocsparse_direction_NS_24const_host_device_scalarIT1_EEPKiS8_PKS5_iiSA_S6_PS5_21rocsparse_index_base_b.has_dyn_sized_stack, 0
	.set _ZN9rocsparseL23gebsrmvn_general_kernelILj128ELj32E21rocsparse_complex_numIdEEEvi20rocsparse_direction_NS_24const_host_device_scalarIT1_EEPKiS8_PKS5_iiSA_S6_PS5_21rocsparse_index_base_b.has_recursion, 0
	.set _ZN9rocsparseL23gebsrmvn_general_kernelILj128ELj32E21rocsparse_complex_numIdEEEvi20rocsparse_direction_NS_24const_host_device_scalarIT1_EEPKiS8_PKS5_iiSA_S6_PS5_21rocsparse_index_base_b.has_indirect_call, 0
	.section	.AMDGPU.csdata,"",@progbits
; Kernel info:
; codeLenInByte = 1032
; TotalNumSgprs: 44
; NumVgprs: 28
; NumAgprs: 0
; TotalNumVgprs: 28
; ScratchSize: 0
; MemoryBound: 0
; FloatMode: 240
; IeeeMode: 1
; LDSByteSize: 0 bytes/workgroup (compile time only)
; SGPRBlocks: 5
; VGPRBlocks: 3
; NumSGPRsForWavesPerEU: 44
; NumVGPRsForWavesPerEU: 28
; AccumOffset: 28
; Occupancy: 8
; WaveLimiterHint : 1
; COMPUTE_PGM_RSRC2:SCRATCH_EN: 0
; COMPUTE_PGM_RSRC2:USER_SGPR: 2
; COMPUTE_PGM_RSRC2:TRAP_HANDLER: 0
; COMPUTE_PGM_RSRC2:TGID_X_EN: 1
; COMPUTE_PGM_RSRC2:TGID_Y_EN: 0
; COMPUTE_PGM_RSRC2:TGID_Z_EN: 0
; COMPUTE_PGM_RSRC2:TIDIG_COMP_CNT: 0
; COMPUTE_PGM_RSRC3_GFX90A:ACCUM_OFFSET: 6
; COMPUTE_PGM_RSRC3_GFX90A:TG_SPLIT: 0
	.section	.AMDGPU.gpr_maximums,"",@progbits
	.set amdgpu.max_num_vgpr, 0
	.set amdgpu.max_num_agpr, 0
	.set amdgpu.max_num_sgpr, 0
	.section	.AMDGPU.csdata,"",@progbits
	.type	__hip_cuid_344f0b9b4b7e030,@object ; @__hip_cuid_344f0b9b4b7e030
	.section	.bss,"aw",@nobits
	.globl	__hip_cuid_344f0b9b4b7e030
__hip_cuid_344f0b9b4b7e030:
	.byte	0                               ; 0x0
	.size	__hip_cuid_344f0b9b4b7e030, 1

	.ident	"AMD clang version 22.0.0git (https://github.com/RadeonOpenCompute/llvm-project roc-7.2.4 26084 f58b06dce1f9c15707c5f808fd002e18c2accf7e)"
	.section	".note.GNU-stack","",@progbits
	.addrsig
	.addrsig_sym __hip_cuid_344f0b9b4b7e030
	.amdgpu_metadata
---
amdhsa.kernels:
  - .agpr_count:     0
    .args:
      - .offset:         0
        .size:           4
        .value_kind:     by_value
      - .offset:         4
        .size:           4
        .value_kind:     by_value
      - .offset:         8
        .size:           8
        .value_kind:     by_value
      - .actual_access:  read_only
        .address_space:  global
        .offset:         16
        .size:           8
        .value_kind:     global_buffer
      - .actual_access:  read_only
        .address_space:  global
        .offset:         24
        .size:           8
        .value_kind:     global_buffer
      - .actual_access:  read_only
        .address_space:  global
        .offset:         32
        .size:           8
        .value_kind:     global_buffer
      - .actual_access:  read_only
        .address_space:  global
        .offset:         40
        .size:           8
        .value_kind:     global_buffer
      - .offset:         48
        .size:           8
        .value_kind:     by_value
      - .address_space:  global
        .offset:         56
        .size:           8
        .value_kind:     global_buffer
      - .offset:         64
        .size:           4
        .value_kind:     by_value
      - .offset:         68
        .size:           1
        .value_kind:     by_value
    .group_segment_fixed_size: 0
    .kernarg_segment_align: 8
    .kernarg_segment_size: 72
    .language:       OpenCL C
    .language_version:
      - 2
      - 0
    .max_flat_workgroup_size: 128
    .name:           _ZN9rocsparseL19gebsrmvn_4xn_kernelILj128ELj1ELj4EfEEvi20rocsparse_direction_NS_24const_host_device_scalarIT2_EEPKiS6_PKS3_S8_S4_PS3_21rocsparse_index_base_b
    .private_segment_fixed_size: 0
    .sgpr_count:     26
    .sgpr_spill_count: 0
    .symbol:         _ZN9rocsparseL19gebsrmvn_4xn_kernelILj128ELj1ELj4EfEEvi20rocsparse_direction_NS_24const_host_device_scalarIT2_EEPKiS6_PKS3_S8_S4_PS3_21rocsparse_index_base_b.kd
    .uniform_work_group_size: 1
    .uses_dynamic_stack: false
    .vgpr_count:     20
    .vgpr_spill_count: 0
    .wavefront_size: 64
  - .agpr_count:     0
    .args:
      - .offset:         0
        .size:           4
        .value_kind:     by_value
      - .offset:         4
        .size:           4
        .value_kind:     by_value
      - .offset:         8
        .size:           8
        .value_kind:     by_value
      - .actual_access:  read_only
        .address_space:  global
        .offset:         16
        .size:           8
        .value_kind:     global_buffer
      - .actual_access:  read_only
        .address_space:  global
        .offset:         24
        .size:           8
        .value_kind:     global_buffer
      - .actual_access:  read_only
        .address_space:  global
        .offset:         32
        .size:           8
        .value_kind:     global_buffer
      - .actual_access:  read_only
        .address_space:  global
        .offset:         40
        .size:           8
        .value_kind:     global_buffer
      - .offset:         48
        .size:           8
        .value_kind:     by_value
      - .address_space:  global
        .offset:         56
        .size:           8
        .value_kind:     global_buffer
      - .offset:         64
        .size:           4
        .value_kind:     by_value
      - .offset:         68
        .size:           1
        .value_kind:     by_value
    .group_segment_fixed_size: 0
    .kernarg_segment_align: 8
    .kernarg_segment_size: 72
    .language:       OpenCL C
    .language_version:
      - 2
      - 0
    .max_flat_workgroup_size: 128
    .name:           _ZN9rocsparseL19gebsrmvn_4xn_kernelILj128ELj1ELj8EfEEvi20rocsparse_direction_NS_24const_host_device_scalarIT2_EEPKiS6_PKS3_S8_S4_PS3_21rocsparse_index_base_b
    .private_segment_fixed_size: 0
    .sgpr_count:     26
    .sgpr_spill_count: 0
    .symbol:         _ZN9rocsparseL19gebsrmvn_4xn_kernelILj128ELj1ELj8EfEEvi20rocsparse_direction_NS_24const_host_device_scalarIT2_EEPKiS6_PKS3_S8_S4_PS3_21rocsparse_index_base_b.kd
    .uniform_work_group_size: 1
    .uses_dynamic_stack: false
    .vgpr_count:     20
    .vgpr_spill_count: 0
    .wavefront_size: 64
  - .agpr_count:     0
    .args:
      - .offset:         0
        .size:           4
        .value_kind:     by_value
      - .offset:         4
        .size:           4
        .value_kind:     by_value
      - .offset:         8
        .size:           8
        .value_kind:     by_value
      - .actual_access:  read_only
        .address_space:  global
        .offset:         16
        .size:           8
        .value_kind:     global_buffer
      - .actual_access:  read_only
        .address_space:  global
        .offset:         24
        .size:           8
        .value_kind:     global_buffer
      - .actual_access:  read_only
        .address_space:  global
        .offset:         32
        .size:           8
        .value_kind:     global_buffer
      - .actual_access:  read_only
        .address_space:  global
        .offset:         40
        .size:           8
        .value_kind:     global_buffer
      - .offset:         48
        .size:           8
        .value_kind:     by_value
      - .address_space:  global
        .offset:         56
        .size:           8
        .value_kind:     global_buffer
      - .offset:         64
        .size:           4
        .value_kind:     by_value
      - .offset:         68
        .size:           1
        .value_kind:     by_value
    .group_segment_fixed_size: 0
    .kernarg_segment_align: 8
    .kernarg_segment_size: 72
    .language:       OpenCL C
    .language_version:
      - 2
      - 0
    .max_flat_workgroup_size: 128
    .name:           _ZN9rocsparseL19gebsrmvn_4xn_kernelILj128ELj1ELj16EfEEvi20rocsparse_direction_NS_24const_host_device_scalarIT2_EEPKiS6_PKS3_S8_S4_PS3_21rocsparse_index_base_b
    .private_segment_fixed_size: 0
    .sgpr_count:     26
    .sgpr_spill_count: 0
    .symbol:         _ZN9rocsparseL19gebsrmvn_4xn_kernelILj128ELj1ELj16EfEEvi20rocsparse_direction_NS_24const_host_device_scalarIT2_EEPKiS6_PKS3_S8_S4_PS3_21rocsparse_index_base_b.kd
    .uniform_work_group_size: 1
    .uses_dynamic_stack: false
    .vgpr_count:     20
    .vgpr_spill_count: 0
    .wavefront_size: 64
  - .agpr_count:     0
    .args:
      - .offset:         0
        .size:           4
        .value_kind:     by_value
      - .offset:         4
        .size:           4
        .value_kind:     by_value
      - .offset:         8
        .size:           8
        .value_kind:     by_value
      - .actual_access:  read_only
        .address_space:  global
        .offset:         16
        .size:           8
        .value_kind:     global_buffer
      - .actual_access:  read_only
        .address_space:  global
        .offset:         24
        .size:           8
        .value_kind:     global_buffer
      - .actual_access:  read_only
        .address_space:  global
        .offset:         32
        .size:           8
        .value_kind:     global_buffer
      - .actual_access:  read_only
        .address_space:  global
        .offset:         40
        .size:           8
        .value_kind:     global_buffer
      - .offset:         48
        .size:           8
        .value_kind:     by_value
      - .address_space:  global
        .offset:         56
        .size:           8
        .value_kind:     global_buffer
      - .offset:         64
        .size:           4
        .value_kind:     by_value
      - .offset:         68
        .size:           1
        .value_kind:     by_value
    .group_segment_fixed_size: 0
    .kernarg_segment_align: 8
    .kernarg_segment_size: 72
    .language:       OpenCL C
    .language_version:
      - 2
      - 0
    .max_flat_workgroup_size: 128
    .name:           _ZN9rocsparseL19gebsrmvn_4xn_kernelILj128ELj1ELj32EfEEvi20rocsparse_direction_NS_24const_host_device_scalarIT2_EEPKiS6_PKS3_S8_S4_PS3_21rocsparse_index_base_b
    .private_segment_fixed_size: 0
    .sgpr_count:     26
    .sgpr_spill_count: 0
    .symbol:         _ZN9rocsparseL19gebsrmvn_4xn_kernelILj128ELj1ELj32EfEEvi20rocsparse_direction_NS_24const_host_device_scalarIT2_EEPKiS6_PKS3_S8_S4_PS3_21rocsparse_index_base_b.kd
    .uniform_work_group_size: 1
    .uses_dynamic_stack: false
    .vgpr_count:     20
    .vgpr_spill_count: 0
    .wavefront_size: 64
  - .agpr_count:     0
    .args:
      - .offset:         0
        .size:           4
        .value_kind:     by_value
      - .offset:         4
        .size:           4
        .value_kind:     by_value
      - .offset:         8
        .size:           8
        .value_kind:     by_value
      - .actual_access:  read_only
        .address_space:  global
        .offset:         16
        .size:           8
        .value_kind:     global_buffer
      - .actual_access:  read_only
        .address_space:  global
        .offset:         24
        .size:           8
        .value_kind:     global_buffer
      - .actual_access:  read_only
        .address_space:  global
        .offset:         32
        .size:           8
        .value_kind:     global_buffer
      - .actual_access:  read_only
        .address_space:  global
        .offset:         40
        .size:           8
        .value_kind:     global_buffer
      - .offset:         48
        .size:           8
        .value_kind:     by_value
      - .address_space:  global
        .offset:         56
        .size:           8
        .value_kind:     global_buffer
      - .offset:         64
        .size:           4
        .value_kind:     by_value
      - .offset:         68
        .size:           1
        .value_kind:     by_value
    .group_segment_fixed_size: 0
    .kernarg_segment_align: 8
    .kernarg_segment_size: 72
    .language:       OpenCL C
    .language_version:
      - 2
      - 0
    .max_flat_workgroup_size: 128
    .name:           _ZN9rocsparseL19gebsrmvn_4xn_kernelILj128ELj1ELj64EfEEvi20rocsparse_direction_NS_24const_host_device_scalarIT2_EEPKiS6_PKS3_S8_S4_PS3_21rocsparse_index_base_b
    .private_segment_fixed_size: 0
    .sgpr_count:     26
    .sgpr_spill_count: 0
    .symbol:         _ZN9rocsparseL19gebsrmvn_4xn_kernelILj128ELj1ELj64EfEEvi20rocsparse_direction_NS_24const_host_device_scalarIT2_EEPKiS6_PKS3_S8_S4_PS3_21rocsparse_index_base_b.kd
    .uniform_work_group_size: 1
    .uses_dynamic_stack: false
    .vgpr_count:     20
    .vgpr_spill_count: 0
    .wavefront_size: 64
  - .agpr_count:     0
    .args:
      - .offset:         0
        .size:           4
        .value_kind:     by_value
      - .offset:         4
        .size:           4
        .value_kind:     by_value
      - .offset:         8
        .size:           8
        .value_kind:     by_value
      - .actual_access:  read_only
        .address_space:  global
        .offset:         16
        .size:           8
        .value_kind:     global_buffer
      - .actual_access:  read_only
        .address_space:  global
        .offset:         24
        .size:           8
        .value_kind:     global_buffer
      - .actual_access:  read_only
        .address_space:  global
        .offset:         32
        .size:           8
        .value_kind:     global_buffer
      - .actual_access:  read_only
        .address_space:  global
        .offset:         40
        .size:           8
        .value_kind:     global_buffer
      - .offset:         48
        .size:           8
        .value_kind:     by_value
      - .address_space:  global
        .offset:         56
        .size:           8
        .value_kind:     global_buffer
      - .offset:         64
        .size:           4
        .value_kind:     by_value
      - .offset:         68
        .size:           1
        .value_kind:     by_value
    .group_segment_fixed_size: 0
    .kernarg_segment_align: 8
    .kernarg_segment_size: 72
    .language:       OpenCL C
    .language_version:
      - 2
      - 0
    .max_flat_workgroup_size: 128
    .name:           _ZN9rocsparseL19gebsrmvn_4xn_kernelILj128ELj2ELj4EfEEvi20rocsparse_direction_NS_24const_host_device_scalarIT2_EEPKiS6_PKS3_S8_S4_PS3_21rocsparse_index_base_b
    .private_segment_fixed_size: 0
    .sgpr_count:     26
    .sgpr_spill_count: 0
    .symbol:         _ZN9rocsparseL19gebsrmvn_4xn_kernelILj128ELj2ELj4EfEEvi20rocsparse_direction_NS_24const_host_device_scalarIT2_EEPKiS6_PKS3_S8_S4_PS3_21rocsparse_index_base_b.kd
    .uniform_work_group_size: 1
    .uses_dynamic_stack: false
    .vgpr_count:     26
    .vgpr_spill_count: 0
    .wavefront_size: 64
  - .agpr_count:     0
    .args:
      - .offset:         0
        .size:           4
        .value_kind:     by_value
      - .offset:         4
        .size:           4
        .value_kind:     by_value
      - .offset:         8
        .size:           8
        .value_kind:     by_value
      - .actual_access:  read_only
        .address_space:  global
        .offset:         16
        .size:           8
        .value_kind:     global_buffer
      - .actual_access:  read_only
        .address_space:  global
        .offset:         24
        .size:           8
        .value_kind:     global_buffer
      - .actual_access:  read_only
        .address_space:  global
        .offset:         32
        .size:           8
        .value_kind:     global_buffer
      - .actual_access:  read_only
        .address_space:  global
        .offset:         40
        .size:           8
        .value_kind:     global_buffer
      - .offset:         48
        .size:           8
        .value_kind:     by_value
      - .address_space:  global
        .offset:         56
        .size:           8
        .value_kind:     global_buffer
      - .offset:         64
        .size:           4
        .value_kind:     by_value
      - .offset:         68
        .size:           1
        .value_kind:     by_value
    .group_segment_fixed_size: 0
    .kernarg_segment_align: 8
    .kernarg_segment_size: 72
    .language:       OpenCL C
    .language_version:
      - 2
      - 0
    .max_flat_workgroup_size: 128
    .name:           _ZN9rocsparseL19gebsrmvn_4xn_kernelILj128ELj2ELj8EfEEvi20rocsparse_direction_NS_24const_host_device_scalarIT2_EEPKiS6_PKS3_S8_S4_PS3_21rocsparse_index_base_b
    .private_segment_fixed_size: 0
    .sgpr_count:     26
    .sgpr_spill_count: 0
    .symbol:         _ZN9rocsparseL19gebsrmvn_4xn_kernelILj128ELj2ELj8EfEEvi20rocsparse_direction_NS_24const_host_device_scalarIT2_EEPKiS6_PKS3_S8_S4_PS3_21rocsparse_index_base_b.kd
    .uniform_work_group_size: 1
    .uses_dynamic_stack: false
    .vgpr_count:     26
    .vgpr_spill_count: 0
    .wavefront_size: 64
  - .agpr_count:     0
    .args:
      - .offset:         0
        .size:           4
        .value_kind:     by_value
      - .offset:         4
        .size:           4
        .value_kind:     by_value
      - .offset:         8
        .size:           8
        .value_kind:     by_value
      - .actual_access:  read_only
        .address_space:  global
        .offset:         16
        .size:           8
        .value_kind:     global_buffer
      - .actual_access:  read_only
        .address_space:  global
        .offset:         24
        .size:           8
        .value_kind:     global_buffer
      - .actual_access:  read_only
        .address_space:  global
        .offset:         32
        .size:           8
        .value_kind:     global_buffer
      - .actual_access:  read_only
        .address_space:  global
        .offset:         40
        .size:           8
        .value_kind:     global_buffer
      - .offset:         48
        .size:           8
        .value_kind:     by_value
      - .address_space:  global
        .offset:         56
        .size:           8
        .value_kind:     global_buffer
      - .offset:         64
        .size:           4
        .value_kind:     by_value
      - .offset:         68
        .size:           1
        .value_kind:     by_value
    .group_segment_fixed_size: 0
    .kernarg_segment_align: 8
    .kernarg_segment_size: 72
    .language:       OpenCL C
    .language_version:
      - 2
      - 0
    .max_flat_workgroup_size: 128
    .name:           _ZN9rocsparseL19gebsrmvn_4xn_kernelILj128ELj2ELj16EfEEvi20rocsparse_direction_NS_24const_host_device_scalarIT2_EEPKiS6_PKS3_S8_S4_PS3_21rocsparse_index_base_b
    .private_segment_fixed_size: 0
    .sgpr_count:     26
    .sgpr_spill_count: 0
    .symbol:         _ZN9rocsparseL19gebsrmvn_4xn_kernelILj128ELj2ELj16EfEEvi20rocsparse_direction_NS_24const_host_device_scalarIT2_EEPKiS6_PKS3_S8_S4_PS3_21rocsparse_index_base_b.kd
    .uniform_work_group_size: 1
    .uses_dynamic_stack: false
    .vgpr_count:     26
    .vgpr_spill_count: 0
    .wavefront_size: 64
  - .agpr_count:     0
    .args:
      - .offset:         0
        .size:           4
        .value_kind:     by_value
      - .offset:         4
        .size:           4
        .value_kind:     by_value
      - .offset:         8
        .size:           8
        .value_kind:     by_value
      - .actual_access:  read_only
        .address_space:  global
        .offset:         16
        .size:           8
        .value_kind:     global_buffer
      - .actual_access:  read_only
        .address_space:  global
        .offset:         24
        .size:           8
        .value_kind:     global_buffer
      - .actual_access:  read_only
        .address_space:  global
        .offset:         32
        .size:           8
        .value_kind:     global_buffer
      - .actual_access:  read_only
        .address_space:  global
        .offset:         40
        .size:           8
        .value_kind:     global_buffer
      - .offset:         48
        .size:           8
        .value_kind:     by_value
      - .address_space:  global
        .offset:         56
        .size:           8
        .value_kind:     global_buffer
      - .offset:         64
        .size:           4
        .value_kind:     by_value
      - .offset:         68
        .size:           1
        .value_kind:     by_value
    .group_segment_fixed_size: 0
    .kernarg_segment_align: 8
    .kernarg_segment_size: 72
    .language:       OpenCL C
    .language_version:
      - 2
      - 0
    .max_flat_workgroup_size: 128
    .name:           _ZN9rocsparseL19gebsrmvn_4xn_kernelILj128ELj2ELj32EfEEvi20rocsparse_direction_NS_24const_host_device_scalarIT2_EEPKiS6_PKS3_S8_S4_PS3_21rocsparse_index_base_b
    .private_segment_fixed_size: 0
    .sgpr_count:     26
    .sgpr_spill_count: 0
    .symbol:         _ZN9rocsparseL19gebsrmvn_4xn_kernelILj128ELj2ELj32EfEEvi20rocsparse_direction_NS_24const_host_device_scalarIT2_EEPKiS6_PKS3_S8_S4_PS3_21rocsparse_index_base_b.kd
    .uniform_work_group_size: 1
    .uses_dynamic_stack: false
    .vgpr_count:     26
    .vgpr_spill_count: 0
    .wavefront_size: 64
  - .agpr_count:     0
    .args:
      - .offset:         0
        .size:           4
        .value_kind:     by_value
      - .offset:         4
        .size:           4
        .value_kind:     by_value
      - .offset:         8
        .size:           8
        .value_kind:     by_value
      - .actual_access:  read_only
        .address_space:  global
        .offset:         16
        .size:           8
        .value_kind:     global_buffer
      - .actual_access:  read_only
        .address_space:  global
        .offset:         24
        .size:           8
        .value_kind:     global_buffer
      - .actual_access:  read_only
        .address_space:  global
        .offset:         32
        .size:           8
        .value_kind:     global_buffer
      - .actual_access:  read_only
        .address_space:  global
        .offset:         40
        .size:           8
        .value_kind:     global_buffer
      - .offset:         48
        .size:           8
        .value_kind:     by_value
      - .address_space:  global
        .offset:         56
        .size:           8
        .value_kind:     global_buffer
      - .offset:         64
        .size:           4
        .value_kind:     by_value
      - .offset:         68
        .size:           1
        .value_kind:     by_value
    .group_segment_fixed_size: 0
    .kernarg_segment_align: 8
    .kernarg_segment_size: 72
    .language:       OpenCL C
    .language_version:
      - 2
      - 0
    .max_flat_workgroup_size: 128
    .name:           _ZN9rocsparseL19gebsrmvn_4xn_kernelILj128ELj2ELj64EfEEvi20rocsparse_direction_NS_24const_host_device_scalarIT2_EEPKiS6_PKS3_S8_S4_PS3_21rocsparse_index_base_b
    .private_segment_fixed_size: 0
    .sgpr_count:     26
    .sgpr_spill_count: 0
    .symbol:         _ZN9rocsparseL19gebsrmvn_4xn_kernelILj128ELj2ELj64EfEEvi20rocsparse_direction_NS_24const_host_device_scalarIT2_EEPKiS6_PKS3_S8_S4_PS3_21rocsparse_index_base_b.kd
    .uniform_work_group_size: 1
    .uses_dynamic_stack: false
    .vgpr_count:     26
    .vgpr_spill_count: 0
    .wavefront_size: 64
  - .agpr_count:     0
    .args:
      - .offset:         0
        .size:           4
        .value_kind:     by_value
      - .offset:         4
        .size:           4
        .value_kind:     by_value
      - .offset:         8
        .size:           8
        .value_kind:     by_value
      - .actual_access:  read_only
        .address_space:  global
        .offset:         16
        .size:           8
        .value_kind:     global_buffer
      - .actual_access:  read_only
        .address_space:  global
        .offset:         24
        .size:           8
        .value_kind:     global_buffer
      - .actual_access:  read_only
        .address_space:  global
        .offset:         32
        .size:           8
        .value_kind:     global_buffer
      - .actual_access:  read_only
        .address_space:  global
        .offset:         40
        .size:           8
        .value_kind:     global_buffer
      - .offset:         48
        .size:           8
        .value_kind:     by_value
      - .address_space:  global
        .offset:         56
        .size:           8
        .value_kind:     global_buffer
      - .offset:         64
        .size:           4
        .value_kind:     by_value
      - .offset:         68
        .size:           1
        .value_kind:     by_value
    .group_segment_fixed_size: 0
    .kernarg_segment_align: 8
    .kernarg_segment_size: 72
    .language:       OpenCL C
    .language_version:
      - 2
      - 0
    .max_flat_workgroup_size: 128
    .name:           _ZN9rocsparseL19gebsrmvn_4xn_kernelILj128ELj3ELj4EfEEvi20rocsparse_direction_NS_24const_host_device_scalarIT2_EEPKiS6_PKS3_S8_S4_PS3_21rocsparse_index_base_b
    .private_segment_fixed_size: 0
    .sgpr_count:     26
    .sgpr_spill_count: 0
    .symbol:         _ZN9rocsparseL19gebsrmvn_4xn_kernelILj128ELj3ELj4EfEEvi20rocsparse_direction_NS_24const_host_device_scalarIT2_EEPKiS6_PKS3_S8_S4_PS3_21rocsparse_index_base_b.kd
    .uniform_work_group_size: 1
    .uses_dynamic_stack: false
    .vgpr_count:     40
    .vgpr_spill_count: 0
    .wavefront_size: 64
  - .agpr_count:     0
    .args:
      - .offset:         0
        .size:           4
        .value_kind:     by_value
      - .offset:         4
        .size:           4
        .value_kind:     by_value
      - .offset:         8
        .size:           8
        .value_kind:     by_value
      - .actual_access:  read_only
        .address_space:  global
        .offset:         16
        .size:           8
        .value_kind:     global_buffer
      - .actual_access:  read_only
        .address_space:  global
        .offset:         24
        .size:           8
        .value_kind:     global_buffer
      - .actual_access:  read_only
        .address_space:  global
        .offset:         32
        .size:           8
        .value_kind:     global_buffer
      - .actual_access:  read_only
        .address_space:  global
        .offset:         40
        .size:           8
        .value_kind:     global_buffer
      - .offset:         48
        .size:           8
        .value_kind:     by_value
      - .address_space:  global
        .offset:         56
        .size:           8
        .value_kind:     global_buffer
      - .offset:         64
        .size:           4
        .value_kind:     by_value
      - .offset:         68
        .size:           1
        .value_kind:     by_value
    .group_segment_fixed_size: 0
    .kernarg_segment_align: 8
    .kernarg_segment_size: 72
    .language:       OpenCL C
    .language_version:
      - 2
      - 0
    .max_flat_workgroup_size: 128
    .name:           _ZN9rocsparseL19gebsrmvn_4xn_kernelILj128ELj3ELj8EfEEvi20rocsparse_direction_NS_24const_host_device_scalarIT2_EEPKiS6_PKS3_S8_S4_PS3_21rocsparse_index_base_b
    .private_segment_fixed_size: 0
    .sgpr_count:     26
    .sgpr_spill_count: 0
    .symbol:         _ZN9rocsparseL19gebsrmvn_4xn_kernelILj128ELj3ELj8EfEEvi20rocsparse_direction_NS_24const_host_device_scalarIT2_EEPKiS6_PKS3_S8_S4_PS3_21rocsparse_index_base_b.kd
    .uniform_work_group_size: 1
    .uses_dynamic_stack: false
    .vgpr_count:     40
    .vgpr_spill_count: 0
    .wavefront_size: 64
  - .agpr_count:     0
    .args:
      - .offset:         0
        .size:           4
        .value_kind:     by_value
      - .offset:         4
        .size:           4
        .value_kind:     by_value
      - .offset:         8
        .size:           8
        .value_kind:     by_value
      - .actual_access:  read_only
        .address_space:  global
        .offset:         16
        .size:           8
        .value_kind:     global_buffer
      - .actual_access:  read_only
        .address_space:  global
        .offset:         24
        .size:           8
        .value_kind:     global_buffer
      - .actual_access:  read_only
        .address_space:  global
        .offset:         32
        .size:           8
        .value_kind:     global_buffer
      - .actual_access:  read_only
        .address_space:  global
        .offset:         40
        .size:           8
        .value_kind:     global_buffer
      - .offset:         48
        .size:           8
        .value_kind:     by_value
      - .address_space:  global
        .offset:         56
        .size:           8
        .value_kind:     global_buffer
      - .offset:         64
        .size:           4
        .value_kind:     by_value
      - .offset:         68
        .size:           1
        .value_kind:     by_value
    .group_segment_fixed_size: 0
    .kernarg_segment_align: 8
    .kernarg_segment_size: 72
    .language:       OpenCL C
    .language_version:
      - 2
      - 0
    .max_flat_workgroup_size: 128
    .name:           _ZN9rocsparseL19gebsrmvn_4xn_kernelILj128ELj3ELj16EfEEvi20rocsparse_direction_NS_24const_host_device_scalarIT2_EEPKiS6_PKS3_S8_S4_PS3_21rocsparse_index_base_b
    .private_segment_fixed_size: 0
    .sgpr_count:     26
    .sgpr_spill_count: 0
    .symbol:         _ZN9rocsparseL19gebsrmvn_4xn_kernelILj128ELj3ELj16EfEEvi20rocsparse_direction_NS_24const_host_device_scalarIT2_EEPKiS6_PKS3_S8_S4_PS3_21rocsparse_index_base_b.kd
    .uniform_work_group_size: 1
    .uses_dynamic_stack: false
    .vgpr_count:     40
    .vgpr_spill_count: 0
    .wavefront_size: 64
  - .agpr_count:     0
    .args:
      - .offset:         0
        .size:           4
        .value_kind:     by_value
      - .offset:         4
        .size:           4
        .value_kind:     by_value
      - .offset:         8
        .size:           8
        .value_kind:     by_value
      - .actual_access:  read_only
        .address_space:  global
        .offset:         16
        .size:           8
        .value_kind:     global_buffer
      - .actual_access:  read_only
        .address_space:  global
        .offset:         24
        .size:           8
        .value_kind:     global_buffer
      - .actual_access:  read_only
        .address_space:  global
        .offset:         32
        .size:           8
        .value_kind:     global_buffer
      - .actual_access:  read_only
        .address_space:  global
        .offset:         40
        .size:           8
        .value_kind:     global_buffer
      - .offset:         48
        .size:           8
        .value_kind:     by_value
      - .address_space:  global
        .offset:         56
        .size:           8
        .value_kind:     global_buffer
      - .offset:         64
        .size:           4
        .value_kind:     by_value
      - .offset:         68
        .size:           1
        .value_kind:     by_value
    .group_segment_fixed_size: 0
    .kernarg_segment_align: 8
    .kernarg_segment_size: 72
    .language:       OpenCL C
    .language_version:
      - 2
      - 0
    .max_flat_workgroup_size: 128
    .name:           _ZN9rocsparseL19gebsrmvn_4xn_kernelILj128ELj3ELj32EfEEvi20rocsparse_direction_NS_24const_host_device_scalarIT2_EEPKiS6_PKS3_S8_S4_PS3_21rocsparse_index_base_b
    .private_segment_fixed_size: 0
    .sgpr_count:     26
    .sgpr_spill_count: 0
    .symbol:         _ZN9rocsparseL19gebsrmvn_4xn_kernelILj128ELj3ELj32EfEEvi20rocsparse_direction_NS_24const_host_device_scalarIT2_EEPKiS6_PKS3_S8_S4_PS3_21rocsparse_index_base_b.kd
    .uniform_work_group_size: 1
    .uses_dynamic_stack: false
    .vgpr_count:     40
    .vgpr_spill_count: 0
    .wavefront_size: 64
  - .agpr_count:     0
    .args:
      - .offset:         0
        .size:           4
        .value_kind:     by_value
      - .offset:         4
        .size:           4
        .value_kind:     by_value
      - .offset:         8
        .size:           8
        .value_kind:     by_value
      - .actual_access:  read_only
        .address_space:  global
        .offset:         16
        .size:           8
        .value_kind:     global_buffer
      - .actual_access:  read_only
        .address_space:  global
        .offset:         24
        .size:           8
        .value_kind:     global_buffer
      - .actual_access:  read_only
        .address_space:  global
        .offset:         32
        .size:           8
        .value_kind:     global_buffer
      - .actual_access:  read_only
        .address_space:  global
        .offset:         40
        .size:           8
        .value_kind:     global_buffer
      - .offset:         48
        .size:           8
        .value_kind:     by_value
      - .address_space:  global
        .offset:         56
        .size:           8
        .value_kind:     global_buffer
      - .offset:         64
        .size:           4
        .value_kind:     by_value
      - .offset:         68
        .size:           1
        .value_kind:     by_value
    .group_segment_fixed_size: 0
    .kernarg_segment_align: 8
    .kernarg_segment_size: 72
    .language:       OpenCL C
    .language_version:
      - 2
      - 0
    .max_flat_workgroup_size: 128
    .name:           _ZN9rocsparseL19gebsrmvn_4xn_kernelILj128ELj3ELj64EfEEvi20rocsparse_direction_NS_24const_host_device_scalarIT2_EEPKiS6_PKS3_S8_S4_PS3_21rocsparse_index_base_b
    .private_segment_fixed_size: 0
    .sgpr_count:     26
    .sgpr_spill_count: 0
    .symbol:         _ZN9rocsparseL19gebsrmvn_4xn_kernelILj128ELj3ELj64EfEEvi20rocsparse_direction_NS_24const_host_device_scalarIT2_EEPKiS6_PKS3_S8_S4_PS3_21rocsparse_index_base_b.kd
    .uniform_work_group_size: 1
    .uses_dynamic_stack: false
    .vgpr_count:     40
    .vgpr_spill_count: 0
    .wavefront_size: 64
  - .agpr_count:     0
    .args:
      - .offset:         0
        .size:           4
        .value_kind:     by_value
      - .offset:         4
        .size:           4
        .value_kind:     by_value
      - .offset:         8
        .size:           8
        .value_kind:     by_value
      - .actual_access:  read_only
        .address_space:  global
        .offset:         16
        .size:           8
        .value_kind:     global_buffer
      - .actual_access:  read_only
        .address_space:  global
        .offset:         24
        .size:           8
        .value_kind:     global_buffer
      - .actual_access:  read_only
        .address_space:  global
        .offset:         32
        .size:           8
        .value_kind:     global_buffer
      - .actual_access:  read_only
        .address_space:  global
        .offset:         40
        .size:           8
        .value_kind:     global_buffer
      - .offset:         48
        .size:           8
        .value_kind:     by_value
      - .address_space:  global
        .offset:         56
        .size:           8
        .value_kind:     global_buffer
      - .offset:         64
        .size:           4
        .value_kind:     by_value
      - .offset:         68
        .size:           1
        .value_kind:     by_value
    .group_segment_fixed_size: 0
    .kernarg_segment_align: 8
    .kernarg_segment_size: 72
    .language:       OpenCL C
    .language_version:
      - 2
      - 0
    .max_flat_workgroup_size: 128
    .name:           _ZN9rocsparseL19gebsrmvn_4xn_kernelILj128ELj5ELj4EfEEvi20rocsparse_direction_NS_24const_host_device_scalarIT2_EEPKiS6_PKS3_S8_S4_PS3_21rocsparse_index_base_b
    .private_segment_fixed_size: 0
    .sgpr_count:     26
    .sgpr_spill_count: 0
    .symbol:         _ZN9rocsparseL19gebsrmvn_4xn_kernelILj128ELj5ELj4EfEEvi20rocsparse_direction_NS_24const_host_device_scalarIT2_EEPKiS6_PKS3_S8_S4_PS3_21rocsparse_index_base_b.kd
    .uniform_work_group_size: 1
    .uses_dynamic_stack: false
    .vgpr_count:     54
    .vgpr_spill_count: 0
    .wavefront_size: 64
  - .agpr_count:     0
    .args:
      - .offset:         0
        .size:           4
        .value_kind:     by_value
      - .offset:         4
        .size:           4
        .value_kind:     by_value
      - .offset:         8
        .size:           8
        .value_kind:     by_value
      - .actual_access:  read_only
        .address_space:  global
        .offset:         16
        .size:           8
        .value_kind:     global_buffer
      - .actual_access:  read_only
        .address_space:  global
        .offset:         24
        .size:           8
        .value_kind:     global_buffer
      - .actual_access:  read_only
        .address_space:  global
        .offset:         32
        .size:           8
        .value_kind:     global_buffer
      - .actual_access:  read_only
        .address_space:  global
        .offset:         40
        .size:           8
        .value_kind:     global_buffer
      - .offset:         48
        .size:           8
        .value_kind:     by_value
      - .address_space:  global
        .offset:         56
        .size:           8
        .value_kind:     global_buffer
      - .offset:         64
        .size:           4
        .value_kind:     by_value
      - .offset:         68
        .size:           1
        .value_kind:     by_value
    .group_segment_fixed_size: 0
    .kernarg_segment_align: 8
    .kernarg_segment_size: 72
    .language:       OpenCL C
    .language_version:
      - 2
      - 0
    .max_flat_workgroup_size: 128
    .name:           _ZN9rocsparseL19gebsrmvn_4xn_kernelILj128ELj5ELj8EfEEvi20rocsparse_direction_NS_24const_host_device_scalarIT2_EEPKiS6_PKS3_S8_S4_PS3_21rocsparse_index_base_b
    .private_segment_fixed_size: 0
    .sgpr_count:     26
    .sgpr_spill_count: 0
    .symbol:         _ZN9rocsparseL19gebsrmvn_4xn_kernelILj128ELj5ELj8EfEEvi20rocsparse_direction_NS_24const_host_device_scalarIT2_EEPKiS6_PKS3_S8_S4_PS3_21rocsparse_index_base_b.kd
    .uniform_work_group_size: 1
    .uses_dynamic_stack: false
    .vgpr_count:     54
    .vgpr_spill_count: 0
    .wavefront_size: 64
  - .agpr_count:     0
    .args:
      - .offset:         0
        .size:           4
        .value_kind:     by_value
      - .offset:         4
        .size:           4
        .value_kind:     by_value
      - .offset:         8
        .size:           8
        .value_kind:     by_value
      - .actual_access:  read_only
        .address_space:  global
        .offset:         16
        .size:           8
        .value_kind:     global_buffer
      - .actual_access:  read_only
        .address_space:  global
        .offset:         24
        .size:           8
        .value_kind:     global_buffer
      - .actual_access:  read_only
        .address_space:  global
        .offset:         32
        .size:           8
        .value_kind:     global_buffer
      - .actual_access:  read_only
        .address_space:  global
        .offset:         40
        .size:           8
        .value_kind:     global_buffer
      - .offset:         48
        .size:           8
        .value_kind:     by_value
      - .address_space:  global
        .offset:         56
        .size:           8
        .value_kind:     global_buffer
      - .offset:         64
        .size:           4
        .value_kind:     by_value
      - .offset:         68
        .size:           1
        .value_kind:     by_value
    .group_segment_fixed_size: 0
    .kernarg_segment_align: 8
    .kernarg_segment_size: 72
    .language:       OpenCL C
    .language_version:
      - 2
      - 0
    .max_flat_workgroup_size: 128
    .name:           _ZN9rocsparseL19gebsrmvn_4xn_kernelILj128ELj5ELj16EfEEvi20rocsparse_direction_NS_24const_host_device_scalarIT2_EEPKiS6_PKS3_S8_S4_PS3_21rocsparse_index_base_b
    .private_segment_fixed_size: 0
    .sgpr_count:     26
    .sgpr_spill_count: 0
    .symbol:         _ZN9rocsparseL19gebsrmvn_4xn_kernelILj128ELj5ELj16EfEEvi20rocsparse_direction_NS_24const_host_device_scalarIT2_EEPKiS6_PKS3_S8_S4_PS3_21rocsparse_index_base_b.kd
    .uniform_work_group_size: 1
    .uses_dynamic_stack: false
    .vgpr_count:     54
    .vgpr_spill_count: 0
    .wavefront_size: 64
  - .agpr_count:     0
    .args:
      - .offset:         0
        .size:           4
        .value_kind:     by_value
      - .offset:         4
        .size:           4
        .value_kind:     by_value
      - .offset:         8
        .size:           8
        .value_kind:     by_value
      - .actual_access:  read_only
        .address_space:  global
        .offset:         16
        .size:           8
        .value_kind:     global_buffer
      - .actual_access:  read_only
        .address_space:  global
        .offset:         24
        .size:           8
        .value_kind:     global_buffer
      - .actual_access:  read_only
        .address_space:  global
        .offset:         32
        .size:           8
        .value_kind:     global_buffer
      - .actual_access:  read_only
        .address_space:  global
        .offset:         40
        .size:           8
        .value_kind:     global_buffer
      - .offset:         48
        .size:           8
        .value_kind:     by_value
      - .address_space:  global
        .offset:         56
        .size:           8
        .value_kind:     global_buffer
      - .offset:         64
        .size:           4
        .value_kind:     by_value
      - .offset:         68
        .size:           1
        .value_kind:     by_value
    .group_segment_fixed_size: 0
    .kernarg_segment_align: 8
    .kernarg_segment_size: 72
    .language:       OpenCL C
    .language_version:
      - 2
      - 0
    .max_flat_workgroup_size: 128
    .name:           _ZN9rocsparseL19gebsrmvn_4xn_kernelILj128ELj5ELj32EfEEvi20rocsparse_direction_NS_24const_host_device_scalarIT2_EEPKiS6_PKS3_S8_S4_PS3_21rocsparse_index_base_b
    .private_segment_fixed_size: 0
    .sgpr_count:     26
    .sgpr_spill_count: 0
    .symbol:         _ZN9rocsparseL19gebsrmvn_4xn_kernelILj128ELj5ELj32EfEEvi20rocsparse_direction_NS_24const_host_device_scalarIT2_EEPKiS6_PKS3_S8_S4_PS3_21rocsparse_index_base_b.kd
    .uniform_work_group_size: 1
    .uses_dynamic_stack: false
    .vgpr_count:     54
    .vgpr_spill_count: 0
    .wavefront_size: 64
  - .agpr_count:     0
    .args:
      - .offset:         0
        .size:           4
        .value_kind:     by_value
      - .offset:         4
        .size:           4
        .value_kind:     by_value
      - .offset:         8
        .size:           8
        .value_kind:     by_value
      - .actual_access:  read_only
        .address_space:  global
        .offset:         16
        .size:           8
        .value_kind:     global_buffer
      - .actual_access:  read_only
        .address_space:  global
        .offset:         24
        .size:           8
        .value_kind:     global_buffer
      - .actual_access:  read_only
        .address_space:  global
        .offset:         32
        .size:           8
        .value_kind:     global_buffer
      - .actual_access:  read_only
        .address_space:  global
        .offset:         40
        .size:           8
        .value_kind:     global_buffer
      - .offset:         48
        .size:           8
        .value_kind:     by_value
      - .address_space:  global
        .offset:         56
        .size:           8
        .value_kind:     global_buffer
      - .offset:         64
        .size:           4
        .value_kind:     by_value
      - .offset:         68
        .size:           1
        .value_kind:     by_value
    .group_segment_fixed_size: 0
    .kernarg_segment_align: 8
    .kernarg_segment_size: 72
    .language:       OpenCL C
    .language_version:
      - 2
      - 0
    .max_flat_workgroup_size: 128
    .name:           _ZN9rocsparseL19gebsrmvn_4xn_kernelILj128ELj5ELj64EfEEvi20rocsparse_direction_NS_24const_host_device_scalarIT2_EEPKiS6_PKS3_S8_S4_PS3_21rocsparse_index_base_b
    .private_segment_fixed_size: 0
    .sgpr_count:     26
    .sgpr_spill_count: 0
    .symbol:         _ZN9rocsparseL19gebsrmvn_4xn_kernelILj128ELj5ELj64EfEEvi20rocsparse_direction_NS_24const_host_device_scalarIT2_EEPKiS6_PKS3_S8_S4_PS3_21rocsparse_index_base_b.kd
    .uniform_work_group_size: 1
    .uses_dynamic_stack: false
    .vgpr_count:     54
    .vgpr_spill_count: 0
    .wavefront_size: 64
  - .agpr_count:     0
    .args:
      - .offset:         0
        .size:           4
        .value_kind:     by_value
      - .offset:         4
        .size:           4
        .value_kind:     by_value
      - .offset:         8
        .size:           8
        .value_kind:     by_value
      - .actual_access:  read_only
        .address_space:  global
        .offset:         16
        .size:           8
        .value_kind:     global_buffer
      - .actual_access:  read_only
        .address_space:  global
        .offset:         24
        .size:           8
        .value_kind:     global_buffer
      - .actual_access:  read_only
        .address_space:  global
        .offset:         32
        .size:           8
        .value_kind:     global_buffer
      - .actual_access:  read_only
        .address_space:  global
        .offset:         40
        .size:           8
        .value_kind:     global_buffer
      - .offset:         48
        .size:           8
        .value_kind:     by_value
      - .address_space:  global
        .offset:         56
        .size:           8
        .value_kind:     global_buffer
      - .offset:         64
        .size:           4
        .value_kind:     by_value
      - .offset:         68
        .size:           1
        .value_kind:     by_value
    .group_segment_fixed_size: 0
    .kernarg_segment_align: 8
    .kernarg_segment_size: 72
    .language:       OpenCL C
    .language_version:
      - 2
      - 0
    .max_flat_workgroup_size: 128
    .name:           _ZN9rocsparseL19gebsrmvn_4xn_kernelILj128ELj6ELj4EfEEvi20rocsparse_direction_NS_24const_host_device_scalarIT2_EEPKiS6_PKS3_S8_S4_PS3_21rocsparse_index_base_b
    .private_segment_fixed_size: 0
    .sgpr_count:     26
    .sgpr_spill_count: 0
    .symbol:         _ZN9rocsparseL19gebsrmvn_4xn_kernelILj128ELj6ELj4EfEEvi20rocsparse_direction_NS_24const_host_device_scalarIT2_EEPKiS6_PKS3_S8_S4_PS3_21rocsparse_index_base_b.kd
    .uniform_work_group_size: 1
    .uses_dynamic_stack: false
    .vgpr_count:     54
    .vgpr_spill_count: 0
    .wavefront_size: 64
  - .agpr_count:     0
    .args:
      - .offset:         0
        .size:           4
        .value_kind:     by_value
      - .offset:         4
        .size:           4
        .value_kind:     by_value
      - .offset:         8
        .size:           8
        .value_kind:     by_value
      - .actual_access:  read_only
        .address_space:  global
        .offset:         16
        .size:           8
        .value_kind:     global_buffer
      - .actual_access:  read_only
        .address_space:  global
        .offset:         24
        .size:           8
        .value_kind:     global_buffer
      - .actual_access:  read_only
        .address_space:  global
        .offset:         32
        .size:           8
        .value_kind:     global_buffer
      - .actual_access:  read_only
        .address_space:  global
        .offset:         40
        .size:           8
        .value_kind:     global_buffer
      - .offset:         48
        .size:           8
        .value_kind:     by_value
      - .address_space:  global
        .offset:         56
        .size:           8
        .value_kind:     global_buffer
      - .offset:         64
        .size:           4
        .value_kind:     by_value
      - .offset:         68
        .size:           1
        .value_kind:     by_value
    .group_segment_fixed_size: 0
    .kernarg_segment_align: 8
    .kernarg_segment_size: 72
    .language:       OpenCL C
    .language_version:
      - 2
      - 0
    .max_flat_workgroup_size: 128
    .name:           _ZN9rocsparseL19gebsrmvn_4xn_kernelILj128ELj6ELj8EfEEvi20rocsparse_direction_NS_24const_host_device_scalarIT2_EEPKiS6_PKS3_S8_S4_PS3_21rocsparse_index_base_b
    .private_segment_fixed_size: 0
    .sgpr_count:     26
    .sgpr_spill_count: 0
    .symbol:         _ZN9rocsparseL19gebsrmvn_4xn_kernelILj128ELj6ELj8EfEEvi20rocsparse_direction_NS_24const_host_device_scalarIT2_EEPKiS6_PKS3_S8_S4_PS3_21rocsparse_index_base_b.kd
    .uniform_work_group_size: 1
    .uses_dynamic_stack: false
    .vgpr_count:     54
    .vgpr_spill_count: 0
    .wavefront_size: 64
  - .agpr_count:     0
    .args:
      - .offset:         0
        .size:           4
        .value_kind:     by_value
      - .offset:         4
        .size:           4
        .value_kind:     by_value
      - .offset:         8
        .size:           8
        .value_kind:     by_value
      - .actual_access:  read_only
        .address_space:  global
        .offset:         16
        .size:           8
        .value_kind:     global_buffer
      - .actual_access:  read_only
        .address_space:  global
        .offset:         24
        .size:           8
        .value_kind:     global_buffer
      - .actual_access:  read_only
        .address_space:  global
        .offset:         32
        .size:           8
        .value_kind:     global_buffer
      - .actual_access:  read_only
        .address_space:  global
        .offset:         40
        .size:           8
        .value_kind:     global_buffer
      - .offset:         48
        .size:           8
        .value_kind:     by_value
      - .address_space:  global
        .offset:         56
        .size:           8
        .value_kind:     global_buffer
      - .offset:         64
        .size:           4
        .value_kind:     by_value
      - .offset:         68
        .size:           1
        .value_kind:     by_value
    .group_segment_fixed_size: 0
    .kernarg_segment_align: 8
    .kernarg_segment_size: 72
    .language:       OpenCL C
    .language_version:
      - 2
      - 0
    .max_flat_workgroup_size: 128
    .name:           _ZN9rocsparseL19gebsrmvn_4xn_kernelILj128ELj6ELj16EfEEvi20rocsparse_direction_NS_24const_host_device_scalarIT2_EEPKiS6_PKS3_S8_S4_PS3_21rocsparse_index_base_b
    .private_segment_fixed_size: 0
    .sgpr_count:     26
    .sgpr_spill_count: 0
    .symbol:         _ZN9rocsparseL19gebsrmvn_4xn_kernelILj128ELj6ELj16EfEEvi20rocsparse_direction_NS_24const_host_device_scalarIT2_EEPKiS6_PKS3_S8_S4_PS3_21rocsparse_index_base_b.kd
    .uniform_work_group_size: 1
    .uses_dynamic_stack: false
    .vgpr_count:     54
    .vgpr_spill_count: 0
    .wavefront_size: 64
  - .agpr_count:     0
    .args:
      - .offset:         0
        .size:           4
        .value_kind:     by_value
      - .offset:         4
        .size:           4
        .value_kind:     by_value
      - .offset:         8
        .size:           8
        .value_kind:     by_value
      - .actual_access:  read_only
        .address_space:  global
        .offset:         16
        .size:           8
        .value_kind:     global_buffer
      - .actual_access:  read_only
        .address_space:  global
        .offset:         24
        .size:           8
        .value_kind:     global_buffer
      - .actual_access:  read_only
        .address_space:  global
        .offset:         32
        .size:           8
        .value_kind:     global_buffer
      - .actual_access:  read_only
        .address_space:  global
        .offset:         40
        .size:           8
        .value_kind:     global_buffer
      - .offset:         48
        .size:           8
        .value_kind:     by_value
      - .address_space:  global
        .offset:         56
        .size:           8
        .value_kind:     global_buffer
      - .offset:         64
        .size:           4
        .value_kind:     by_value
      - .offset:         68
        .size:           1
        .value_kind:     by_value
    .group_segment_fixed_size: 0
    .kernarg_segment_align: 8
    .kernarg_segment_size: 72
    .language:       OpenCL C
    .language_version:
      - 2
      - 0
    .max_flat_workgroup_size: 128
    .name:           _ZN9rocsparseL19gebsrmvn_4xn_kernelILj128ELj6ELj32EfEEvi20rocsparse_direction_NS_24const_host_device_scalarIT2_EEPKiS6_PKS3_S8_S4_PS3_21rocsparse_index_base_b
    .private_segment_fixed_size: 0
    .sgpr_count:     26
    .sgpr_spill_count: 0
    .symbol:         _ZN9rocsparseL19gebsrmvn_4xn_kernelILj128ELj6ELj32EfEEvi20rocsparse_direction_NS_24const_host_device_scalarIT2_EEPKiS6_PKS3_S8_S4_PS3_21rocsparse_index_base_b.kd
    .uniform_work_group_size: 1
    .uses_dynamic_stack: false
    .vgpr_count:     54
    .vgpr_spill_count: 0
    .wavefront_size: 64
  - .agpr_count:     0
    .args:
      - .offset:         0
        .size:           4
        .value_kind:     by_value
      - .offset:         4
        .size:           4
        .value_kind:     by_value
      - .offset:         8
        .size:           8
        .value_kind:     by_value
      - .actual_access:  read_only
        .address_space:  global
        .offset:         16
        .size:           8
        .value_kind:     global_buffer
      - .actual_access:  read_only
        .address_space:  global
        .offset:         24
        .size:           8
        .value_kind:     global_buffer
      - .actual_access:  read_only
        .address_space:  global
        .offset:         32
        .size:           8
        .value_kind:     global_buffer
      - .actual_access:  read_only
        .address_space:  global
        .offset:         40
        .size:           8
        .value_kind:     global_buffer
      - .offset:         48
        .size:           8
        .value_kind:     by_value
      - .address_space:  global
        .offset:         56
        .size:           8
        .value_kind:     global_buffer
      - .offset:         64
        .size:           4
        .value_kind:     by_value
      - .offset:         68
        .size:           1
        .value_kind:     by_value
    .group_segment_fixed_size: 0
    .kernarg_segment_align: 8
    .kernarg_segment_size: 72
    .language:       OpenCL C
    .language_version:
      - 2
      - 0
    .max_flat_workgroup_size: 128
    .name:           _ZN9rocsparseL19gebsrmvn_4xn_kernelILj128ELj6ELj64EfEEvi20rocsparse_direction_NS_24const_host_device_scalarIT2_EEPKiS6_PKS3_S8_S4_PS3_21rocsparse_index_base_b
    .private_segment_fixed_size: 0
    .sgpr_count:     26
    .sgpr_spill_count: 0
    .symbol:         _ZN9rocsparseL19gebsrmvn_4xn_kernelILj128ELj6ELj64EfEEvi20rocsparse_direction_NS_24const_host_device_scalarIT2_EEPKiS6_PKS3_S8_S4_PS3_21rocsparse_index_base_b.kd
    .uniform_work_group_size: 1
    .uses_dynamic_stack: false
    .vgpr_count:     54
    .vgpr_spill_count: 0
    .wavefront_size: 64
  - .agpr_count:     0
    .args:
      - .offset:         0
        .size:           4
        .value_kind:     by_value
      - .offset:         4
        .size:           4
        .value_kind:     by_value
      - .offset:         8
        .size:           8
        .value_kind:     by_value
      - .actual_access:  read_only
        .address_space:  global
        .offset:         16
        .size:           8
        .value_kind:     global_buffer
      - .actual_access:  read_only
        .address_space:  global
        .offset:         24
        .size:           8
        .value_kind:     global_buffer
      - .actual_access:  read_only
        .address_space:  global
        .offset:         32
        .size:           8
        .value_kind:     global_buffer
      - .actual_access:  read_only
        .address_space:  global
        .offset:         40
        .size:           8
        .value_kind:     global_buffer
      - .offset:         48
        .size:           8
        .value_kind:     by_value
      - .address_space:  global
        .offset:         56
        .size:           8
        .value_kind:     global_buffer
      - .offset:         64
        .size:           4
        .value_kind:     by_value
      - .offset:         68
        .size:           1
        .value_kind:     by_value
    .group_segment_fixed_size: 0
    .kernarg_segment_align: 8
    .kernarg_segment_size: 72
    .language:       OpenCL C
    .language_version:
      - 2
      - 0
    .max_flat_workgroup_size: 128
    .name:           _ZN9rocsparseL19gebsrmvn_4xn_kernelILj128ELj7ELj4EfEEvi20rocsparse_direction_NS_24const_host_device_scalarIT2_EEPKiS6_PKS3_S8_S4_PS3_21rocsparse_index_base_b
    .private_segment_fixed_size: 0
    .sgpr_count:     26
    .sgpr_spill_count: 0
    .symbol:         _ZN9rocsparseL19gebsrmvn_4xn_kernelILj128ELj7ELj4EfEEvi20rocsparse_direction_NS_24const_host_device_scalarIT2_EEPKiS6_PKS3_S8_S4_PS3_21rocsparse_index_base_b.kd
    .uniform_work_group_size: 1
    .uses_dynamic_stack: false
    .vgpr_count:     66
    .vgpr_spill_count: 0
    .wavefront_size: 64
  - .agpr_count:     0
    .args:
      - .offset:         0
        .size:           4
        .value_kind:     by_value
      - .offset:         4
        .size:           4
        .value_kind:     by_value
      - .offset:         8
        .size:           8
        .value_kind:     by_value
      - .actual_access:  read_only
        .address_space:  global
        .offset:         16
        .size:           8
        .value_kind:     global_buffer
      - .actual_access:  read_only
        .address_space:  global
        .offset:         24
        .size:           8
        .value_kind:     global_buffer
      - .actual_access:  read_only
        .address_space:  global
        .offset:         32
        .size:           8
        .value_kind:     global_buffer
      - .actual_access:  read_only
        .address_space:  global
        .offset:         40
        .size:           8
        .value_kind:     global_buffer
      - .offset:         48
        .size:           8
        .value_kind:     by_value
      - .address_space:  global
        .offset:         56
        .size:           8
        .value_kind:     global_buffer
      - .offset:         64
        .size:           4
        .value_kind:     by_value
      - .offset:         68
        .size:           1
        .value_kind:     by_value
    .group_segment_fixed_size: 0
    .kernarg_segment_align: 8
    .kernarg_segment_size: 72
    .language:       OpenCL C
    .language_version:
      - 2
      - 0
    .max_flat_workgroup_size: 128
    .name:           _ZN9rocsparseL19gebsrmvn_4xn_kernelILj128ELj7ELj8EfEEvi20rocsparse_direction_NS_24const_host_device_scalarIT2_EEPKiS6_PKS3_S8_S4_PS3_21rocsparse_index_base_b
    .private_segment_fixed_size: 0
    .sgpr_count:     26
    .sgpr_spill_count: 0
    .symbol:         _ZN9rocsparseL19gebsrmvn_4xn_kernelILj128ELj7ELj8EfEEvi20rocsparse_direction_NS_24const_host_device_scalarIT2_EEPKiS6_PKS3_S8_S4_PS3_21rocsparse_index_base_b.kd
    .uniform_work_group_size: 1
    .uses_dynamic_stack: false
    .vgpr_count:     66
    .vgpr_spill_count: 0
    .wavefront_size: 64
  - .agpr_count:     0
    .args:
      - .offset:         0
        .size:           4
        .value_kind:     by_value
      - .offset:         4
        .size:           4
        .value_kind:     by_value
      - .offset:         8
        .size:           8
        .value_kind:     by_value
      - .actual_access:  read_only
        .address_space:  global
        .offset:         16
        .size:           8
        .value_kind:     global_buffer
      - .actual_access:  read_only
        .address_space:  global
        .offset:         24
        .size:           8
        .value_kind:     global_buffer
      - .actual_access:  read_only
        .address_space:  global
        .offset:         32
        .size:           8
        .value_kind:     global_buffer
      - .actual_access:  read_only
        .address_space:  global
        .offset:         40
        .size:           8
        .value_kind:     global_buffer
      - .offset:         48
        .size:           8
        .value_kind:     by_value
      - .address_space:  global
        .offset:         56
        .size:           8
        .value_kind:     global_buffer
      - .offset:         64
        .size:           4
        .value_kind:     by_value
      - .offset:         68
        .size:           1
        .value_kind:     by_value
    .group_segment_fixed_size: 0
    .kernarg_segment_align: 8
    .kernarg_segment_size: 72
    .language:       OpenCL C
    .language_version:
      - 2
      - 0
    .max_flat_workgroup_size: 128
    .name:           _ZN9rocsparseL19gebsrmvn_4xn_kernelILj128ELj7ELj16EfEEvi20rocsparse_direction_NS_24const_host_device_scalarIT2_EEPKiS6_PKS3_S8_S4_PS3_21rocsparse_index_base_b
    .private_segment_fixed_size: 0
    .sgpr_count:     26
    .sgpr_spill_count: 0
    .symbol:         _ZN9rocsparseL19gebsrmvn_4xn_kernelILj128ELj7ELj16EfEEvi20rocsparse_direction_NS_24const_host_device_scalarIT2_EEPKiS6_PKS3_S8_S4_PS3_21rocsparse_index_base_b.kd
    .uniform_work_group_size: 1
    .uses_dynamic_stack: false
    .vgpr_count:     66
    .vgpr_spill_count: 0
    .wavefront_size: 64
  - .agpr_count:     0
    .args:
      - .offset:         0
        .size:           4
        .value_kind:     by_value
      - .offset:         4
        .size:           4
        .value_kind:     by_value
      - .offset:         8
        .size:           8
        .value_kind:     by_value
      - .actual_access:  read_only
        .address_space:  global
        .offset:         16
        .size:           8
        .value_kind:     global_buffer
      - .actual_access:  read_only
        .address_space:  global
        .offset:         24
        .size:           8
        .value_kind:     global_buffer
      - .actual_access:  read_only
        .address_space:  global
        .offset:         32
        .size:           8
        .value_kind:     global_buffer
      - .actual_access:  read_only
        .address_space:  global
        .offset:         40
        .size:           8
        .value_kind:     global_buffer
      - .offset:         48
        .size:           8
        .value_kind:     by_value
      - .address_space:  global
        .offset:         56
        .size:           8
        .value_kind:     global_buffer
      - .offset:         64
        .size:           4
        .value_kind:     by_value
      - .offset:         68
        .size:           1
        .value_kind:     by_value
    .group_segment_fixed_size: 0
    .kernarg_segment_align: 8
    .kernarg_segment_size: 72
    .language:       OpenCL C
    .language_version:
      - 2
      - 0
    .max_flat_workgroup_size: 128
    .name:           _ZN9rocsparseL19gebsrmvn_4xn_kernelILj128ELj7ELj32EfEEvi20rocsparse_direction_NS_24const_host_device_scalarIT2_EEPKiS6_PKS3_S8_S4_PS3_21rocsparse_index_base_b
    .private_segment_fixed_size: 0
    .sgpr_count:     26
    .sgpr_spill_count: 0
    .symbol:         _ZN9rocsparseL19gebsrmvn_4xn_kernelILj128ELj7ELj32EfEEvi20rocsparse_direction_NS_24const_host_device_scalarIT2_EEPKiS6_PKS3_S8_S4_PS3_21rocsparse_index_base_b.kd
    .uniform_work_group_size: 1
    .uses_dynamic_stack: false
    .vgpr_count:     66
    .vgpr_spill_count: 0
    .wavefront_size: 64
  - .agpr_count:     0
    .args:
      - .offset:         0
        .size:           4
        .value_kind:     by_value
      - .offset:         4
        .size:           4
        .value_kind:     by_value
      - .offset:         8
        .size:           8
        .value_kind:     by_value
      - .actual_access:  read_only
        .address_space:  global
        .offset:         16
        .size:           8
        .value_kind:     global_buffer
      - .actual_access:  read_only
        .address_space:  global
        .offset:         24
        .size:           8
        .value_kind:     global_buffer
      - .actual_access:  read_only
        .address_space:  global
        .offset:         32
        .size:           8
        .value_kind:     global_buffer
      - .actual_access:  read_only
        .address_space:  global
        .offset:         40
        .size:           8
        .value_kind:     global_buffer
      - .offset:         48
        .size:           8
        .value_kind:     by_value
      - .address_space:  global
        .offset:         56
        .size:           8
        .value_kind:     global_buffer
      - .offset:         64
        .size:           4
        .value_kind:     by_value
      - .offset:         68
        .size:           1
        .value_kind:     by_value
    .group_segment_fixed_size: 0
    .kernarg_segment_align: 8
    .kernarg_segment_size: 72
    .language:       OpenCL C
    .language_version:
      - 2
      - 0
    .max_flat_workgroup_size: 128
    .name:           _ZN9rocsparseL19gebsrmvn_4xn_kernelILj128ELj7ELj64EfEEvi20rocsparse_direction_NS_24const_host_device_scalarIT2_EEPKiS6_PKS3_S8_S4_PS3_21rocsparse_index_base_b
    .private_segment_fixed_size: 0
    .sgpr_count:     26
    .sgpr_spill_count: 0
    .symbol:         _ZN9rocsparseL19gebsrmvn_4xn_kernelILj128ELj7ELj64EfEEvi20rocsparse_direction_NS_24const_host_device_scalarIT2_EEPKiS6_PKS3_S8_S4_PS3_21rocsparse_index_base_b.kd
    .uniform_work_group_size: 1
    .uses_dynamic_stack: false
    .vgpr_count:     66
    .vgpr_spill_count: 0
    .wavefront_size: 64
  - .agpr_count:     0
    .args:
      - .offset:         0
        .size:           4
        .value_kind:     by_value
      - .offset:         4
        .size:           4
        .value_kind:     by_value
      - .offset:         8
        .size:           8
        .value_kind:     by_value
      - .actual_access:  read_only
        .address_space:  global
        .offset:         16
        .size:           8
        .value_kind:     global_buffer
      - .actual_access:  read_only
        .address_space:  global
        .offset:         24
        .size:           8
        .value_kind:     global_buffer
      - .actual_access:  read_only
        .address_space:  global
        .offset:         32
        .size:           8
        .value_kind:     global_buffer
      - .actual_access:  read_only
        .address_space:  global
        .offset:         40
        .size:           8
        .value_kind:     global_buffer
      - .offset:         48
        .size:           8
        .value_kind:     by_value
      - .address_space:  global
        .offset:         56
        .size:           8
        .value_kind:     global_buffer
      - .offset:         64
        .size:           4
        .value_kind:     by_value
      - .offset:         68
        .size:           1
        .value_kind:     by_value
    .group_segment_fixed_size: 0
    .kernarg_segment_align: 8
    .kernarg_segment_size: 72
    .language:       OpenCL C
    .language_version:
      - 2
      - 0
    .max_flat_workgroup_size: 128
    .name:           _ZN9rocsparseL19gebsrmvn_4xn_kernelILj128ELj8ELj4EfEEvi20rocsparse_direction_NS_24const_host_device_scalarIT2_EEPKiS6_PKS3_S8_S4_PS3_21rocsparse_index_base_b
    .private_segment_fixed_size: 0
    .sgpr_count:     26
    .sgpr_spill_count: 0
    .symbol:         _ZN9rocsparseL19gebsrmvn_4xn_kernelILj128ELj8ELj4EfEEvi20rocsparse_direction_NS_24const_host_device_scalarIT2_EEPKiS6_PKS3_S8_S4_PS3_21rocsparse_index_base_b.kd
    .uniform_work_group_size: 1
    .uses_dynamic_stack: false
    .vgpr_count:     58
    .vgpr_spill_count: 0
    .wavefront_size: 64
  - .agpr_count:     0
    .args:
      - .offset:         0
        .size:           4
        .value_kind:     by_value
      - .offset:         4
        .size:           4
        .value_kind:     by_value
      - .offset:         8
        .size:           8
        .value_kind:     by_value
      - .actual_access:  read_only
        .address_space:  global
        .offset:         16
        .size:           8
        .value_kind:     global_buffer
      - .actual_access:  read_only
        .address_space:  global
        .offset:         24
        .size:           8
        .value_kind:     global_buffer
      - .actual_access:  read_only
        .address_space:  global
        .offset:         32
        .size:           8
        .value_kind:     global_buffer
      - .actual_access:  read_only
        .address_space:  global
        .offset:         40
        .size:           8
        .value_kind:     global_buffer
      - .offset:         48
        .size:           8
        .value_kind:     by_value
      - .address_space:  global
        .offset:         56
        .size:           8
        .value_kind:     global_buffer
      - .offset:         64
        .size:           4
        .value_kind:     by_value
      - .offset:         68
        .size:           1
        .value_kind:     by_value
    .group_segment_fixed_size: 0
    .kernarg_segment_align: 8
    .kernarg_segment_size: 72
    .language:       OpenCL C
    .language_version:
      - 2
      - 0
    .max_flat_workgroup_size: 128
    .name:           _ZN9rocsparseL19gebsrmvn_4xn_kernelILj128ELj8ELj8EfEEvi20rocsparse_direction_NS_24const_host_device_scalarIT2_EEPKiS6_PKS3_S8_S4_PS3_21rocsparse_index_base_b
    .private_segment_fixed_size: 0
    .sgpr_count:     26
    .sgpr_spill_count: 0
    .symbol:         _ZN9rocsparseL19gebsrmvn_4xn_kernelILj128ELj8ELj8EfEEvi20rocsparse_direction_NS_24const_host_device_scalarIT2_EEPKiS6_PKS3_S8_S4_PS3_21rocsparse_index_base_b.kd
    .uniform_work_group_size: 1
    .uses_dynamic_stack: false
    .vgpr_count:     58
    .vgpr_spill_count: 0
    .wavefront_size: 64
  - .agpr_count:     0
    .args:
      - .offset:         0
        .size:           4
        .value_kind:     by_value
      - .offset:         4
        .size:           4
        .value_kind:     by_value
      - .offset:         8
        .size:           8
        .value_kind:     by_value
      - .actual_access:  read_only
        .address_space:  global
        .offset:         16
        .size:           8
        .value_kind:     global_buffer
      - .actual_access:  read_only
        .address_space:  global
        .offset:         24
        .size:           8
        .value_kind:     global_buffer
      - .actual_access:  read_only
        .address_space:  global
        .offset:         32
        .size:           8
        .value_kind:     global_buffer
      - .actual_access:  read_only
        .address_space:  global
        .offset:         40
        .size:           8
        .value_kind:     global_buffer
      - .offset:         48
        .size:           8
        .value_kind:     by_value
      - .address_space:  global
        .offset:         56
        .size:           8
        .value_kind:     global_buffer
      - .offset:         64
        .size:           4
        .value_kind:     by_value
      - .offset:         68
        .size:           1
        .value_kind:     by_value
    .group_segment_fixed_size: 0
    .kernarg_segment_align: 8
    .kernarg_segment_size: 72
    .language:       OpenCL C
    .language_version:
      - 2
      - 0
    .max_flat_workgroup_size: 128
    .name:           _ZN9rocsparseL19gebsrmvn_4xn_kernelILj128ELj8ELj16EfEEvi20rocsparse_direction_NS_24const_host_device_scalarIT2_EEPKiS6_PKS3_S8_S4_PS3_21rocsparse_index_base_b
    .private_segment_fixed_size: 0
    .sgpr_count:     26
    .sgpr_spill_count: 0
    .symbol:         _ZN9rocsparseL19gebsrmvn_4xn_kernelILj128ELj8ELj16EfEEvi20rocsparse_direction_NS_24const_host_device_scalarIT2_EEPKiS6_PKS3_S8_S4_PS3_21rocsparse_index_base_b.kd
    .uniform_work_group_size: 1
    .uses_dynamic_stack: false
    .vgpr_count:     58
    .vgpr_spill_count: 0
    .wavefront_size: 64
  - .agpr_count:     0
    .args:
      - .offset:         0
        .size:           4
        .value_kind:     by_value
      - .offset:         4
        .size:           4
        .value_kind:     by_value
      - .offset:         8
        .size:           8
        .value_kind:     by_value
      - .actual_access:  read_only
        .address_space:  global
        .offset:         16
        .size:           8
        .value_kind:     global_buffer
      - .actual_access:  read_only
        .address_space:  global
        .offset:         24
        .size:           8
        .value_kind:     global_buffer
      - .actual_access:  read_only
        .address_space:  global
        .offset:         32
        .size:           8
        .value_kind:     global_buffer
      - .actual_access:  read_only
        .address_space:  global
        .offset:         40
        .size:           8
        .value_kind:     global_buffer
      - .offset:         48
        .size:           8
        .value_kind:     by_value
      - .address_space:  global
        .offset:         56
        .size:           8
        .value_kind:     global_buffer
      - .offset:         64
        .size:           4
        .value_kind:     by_value
      - .offset:         68
        .size:           1
        .value_kind:     by_value
    .group_segment_fixed_size: 0
    .kernarg_segment_align: 8
    .kernarg_segment_size: 72
    .language:       OpenCL C
    .language_version:
      - 2
      - 0
    .max_flat_workgroup_size: 128
    .name:           _ZN9rocsparseL19gebsrmvn_4xn_kernelILj128ELj8ELj32EfEEvi20rocsparse_direction_NS_24const_host_device_scalarIT2_EEPKiS6_PKS3_S8_S4_PS3_21rocsparse_index_base_b
    .private_segment_fixed_size: 0
    .sgpr_count:     26
    .sgpr_spill_count: 0
    .symbol:         _ZN9rocsparseL19gebsrmvn_4xn_kernelILj128ELj8ELj32EfEEvi20rocsparse_direction_NS_24const_host_device_scalarIT2_EEPKiS6_PKS3_S8_S4_PS3_21rocsparse_index_base_b.kd
    .uniform_work_group_size: 1
    .uses_dynamic_stack: false
    .vgpr_count:     58
    .vgpr_spill_count: 0
    .wavefront_size: 64
  - .agpr_count:     0
    .args:
      - .offset:         0
        .size:           4
        .value_kind:     by_value
      - .offset:         4
        .size:           4
        .value_kind:     by_value
      - .offset:         8
        .size:           8
        .value_kind:     by_value
      - .actual_access:  read_only
        .address_space:  global
        .offset:         16
        .size:           8
        .value_kind:     global_buffer
      - .actual_access:  read_only
        .address_space:  global
        .offset:         24
        .size:           8
        .value_kind:     global_buffer
      - .actual_access:  read_only
        .address_space:  global
        .offset:         32
        .size:           8
        .value_kind:     global_buffer
      - .actual_access:  read_only
        .address_space:  global
        .offset:         40
        .size:           8
        .value_kind:     global_buffer
      - .offset:         48
        .size:           8
        .value_kind:     by_value
      - .address_space:  global
        .offset:         56
        .size:           8
        .value_kind:     global_buffer
      - .offset:         64
        .size:           4
        .value_kind:     by_value
      - .offset:         68
        .size:           1
        .value_kind:     by_value
    .group_segment_fixed_size: 0
    .kernarg_segment_align: 8
    .kernarg_segment_size: 72
    .language:       OpenCL C
    .language_version:
      - 2
      - 0
    .max_flat_workgroup_size: 128
    .name:           _ZN9rocsparseL19gebsrmvn_4xn_kernelILj128ELj8ELj64EfEEvi20rocsparse_direction_NS_24const_host_device_scalarIT2_EEPKiS6_PKS3_S8_S4_PS3_21rocsparse_index_base_b
    .private_segment_fixed_size: 0
    .sgpr_count:     26
    .sgpr_spill_count: 0
    .symbol:         _ZN9rocsparseL19gebsrmvn_4xn_kernelILj128ELj8ELj64EfEEvi20rocsparse_direction_NS_24const_host_device_scalarIT2_EEPKiS6_PKS3_S8_S4_PS3_21rocsparse_index_base_b.kd
    .uniform_work_group_size: 1
    .uses_dynamic_stack: false
    .vgpr_count:     58
    .vgpr_spill_count: 0
    .wavefront_size: 64
  - .agpr_count:     0
    .args:
      - .offset:         0
        .size:           4
        .value_kind:     by_value
      - .offset:         4
        .size:           4
        .value_kind:     by_value
      - .offset:         8
        .size:           8
        .value_kind:     by_value
      - .actual_access:  read_only
        .address_space:  global
        .offset:         16
        .size:           8
        .value_kind:     global_buffer
      - .actual_access:  read_only
        .address_space:  global
        .offset:         24
        .size:           8
        .value_kind:     global_buffer
      - .actual_access:  read_only
        .address_space:  global
        .offset:         32
        .size:           8
        .value_kind:     global_buffer
      - .offset:         40
        .size:           4
        .value_kind:     by_value
      - .offset:         44
        .size:           4
        .value_kind:     by_value
      - .actual_access:  read_only
        .address_space:  global
        .offset:         48
        .size:           8
        .value_kind:     global_buffer
      - .offset:         56
        .size:           8
        .value_kind:     by_value
      - .address_space:  global
        .offset:         64
        .size:           8
        .value_kind:     global_buffer
      - .offset:         72
        .size:           4
        .value_kind:     by_value
      - .offset:         76
        .size:           1
        .value_kind:     by_value
    .group_segment_fixed_size: 0
    .kernarg_segment_align: 8
    .kernarg_segment_size: 80
    .language:       OpenCL C
    .language_version:
      - 2
      - 0
    .max_flat_workgroup_size: 64
    .name:           _ZN9rocsparseL23gebsrmvn_general_kernelILj64ELj16EfEEvi20rocsparse_direction_NS_24const_host_device_scalarIT1_EEPKiS6_PKS3_iiS8_S4_PS3_21rocsparse_index_base_b
    .private_segment_fixed_size: 0
    .sgpr_count:     46
    .sgpr_spill_count: 0
    .symbol:         _ZN9rocsparseL23gebsrmvn_general_kernelILj64ELj16EfEEvi20rocsparse_direction_NS_24const_host_device_scalarIT1_EEPKiS6_PKS3_iiS8_S4_PS3_21rocsparse_index_base_b.kd
    .uniform_work_group_size: 1
    .uses_dynamic_stack: false
    .vgpr_count:     9
    .vgpr_spill_count: 0
    .wavefront_size: 64
  - .agpr_count:     0
    .args:
      - .offset:         0
        .size:           4
        .value_kind:     by_value
      - .offset:         4
        .size:           4
        .value_kind:     by_value
      - .offset:         8
        .size:           8
        .value_kind:     by_value
      - .actual_access:  read_only
        .address_space:  global
        .offset:         16
        .size:           8
        .value_kind:     global_buffer
      - .actual_access:  read_only
        .address_space:  global
        .offset:         24
        .size:           8
        .value_kind:     global_buffer
      - .actual_access:  read_only
        .address_space:  global
        .offset:         32
        .size:           8
        .value_kind:     global_buffer
      - .offset:         40
        .size:           4
        .value_kind:     by_value
      - .offset:         44
        .size:           4
        .value_kind:     by_value
      - .actual_access:  read_only
        .address_space:  global
        .offset:         48
        .size:           8
        .value_kind:     global_buffer
      - .offset:         56
        .size:           8
        .value_kind:     by_value
      - .address_space:  global
        .offset:         64
        .size:           8
        .value_kind:     global_buffer
      - .offset:         72
        .size:           4
        .value_kind:     by_value
      - .offset:         76
        .size:           1
        .value_kind:     by_value
    .group_segment_fixed_size: 0
    .kernarg_segment_align: 8
    .kernarg_segment_size: 80
    .language:       OpenCL C
    .language_version:
      - 2
      - 0
    .max_flat_workgroup_size: 128
    .name:           _ZN9rocsparseL23gebsrmvn_general_kernelILj128ELj32EfEEvi20rocsparse_direction_NS_24const_host_device_scalarIT1_EEPKiS6_PKS3_iiS8_S4_PS3_21rocsparse_index_base_b
    .private_segment_fixed_size: 0
    .sgpr_count:     46
    .sgpr_spill_count: 0
    .symbol:         _ZN9rocsparseL23gebsrmvn_general_kernelILj128ELj32EfEEvi20rocsparse_direction_NS_24const_host_device_scalarIT1_EEPKiS6_PKS3_iiS8_S4_PS3_21rocsparse_index_base_b.kd
    .uniform_work_group_size: 1
    .uses_dynamic_stack: false
    .vgpr_count:     9
    .vgpr_spill_count: 0
    .wavefront_size: 64
  - .agpr_count:     0
    .args:
      - .offset:         0
        .size:           4
        .value_kind:     by_value
      - .offset:         4
        .size:           4
        .value_kind:     by_value
      - .offset:         8
        .size:           8
        .value_kind:     by_value
      - .actual_access:  read_only
        .address_space:  global
        .offset:         16
        .size:           8
        .value_kind:     global_buffer
      - .actual_access:  read_only
        .address_space:  global
        .offset:         24
        .size:           8
        .value_kind:     global_buffer
      - .actual_access:  read_only
        .address_space:  global
        .offset:         32
        .size:           8
        .value_kind:     global_buffer
      - .actual_access:  read_only
        .address_space:  global
        .offset:         40
        .size:           8
        .value_kind:     global_buffer
      - .offset:         48
        .size:           8
        .value_kind:     by_value
      - .address_space:  global
        .offset:         56
        .size:           8
        .value_kind:     global_buffer
      - .offset:         64
        .size:           4
        .value_kind:     by_value
      - .offset:         68
        .size:           1
        .value_kind:     by_value
    .group_segment_fixed_size: 0
    .kernarg_segment_align: 8
    .kernarg_segment_size: 72
    .language:       OpenCL C
    .language_version:
      - 2
      - 0
    .max_flat_workgroup_size: 128
    .name:           _ZN9rocsparseL19gebsrmvn_4xn_kernelILj128ELj1ELj4EdEEvi20rocsparse_direction_NS_24const_host_device_scalarIT2_EEPKiS6_PKS3_S8_S4_PS3_21rocsparse_index_base_b
    .private_segment_fixed_size: 0
    .sgpr_count:     22
    .sgpr_spill_count: 0
    .symbol:         _ZN9rocsparseL19gebsrmvn_4xn_kernelILj128ELj1ELj4EdEEvi20rocsparse_direction_NS_24const_host_device_scalarIT2_EEPKiS6_PKS3_S8_S4_PS3_21rocsparse_index_base_b.kd
    .uniform_work_group_size: 1
    .uses_dynamic_stack: false
    .vgpr_count:     34
    .vgpr_spill_count: 0
    .wavefront_size: 64
  - .agpr_count:     0
    .args:
      - .offset:         0
        .size:           4
        .value_kind:     by_value
      - .offset:         4
        .size:           4
        .value_kind:     by_value
      - .offset:         8
        .size:           8
        .value_kind:     by_value
      - .actual_access:  read_only
        .address_space:  global
        .offset:         16
        .size:           8
        .value_kind:     global_buffer
      - .actual_access:  read_only
        .address_space:  global
        .offset:         24
        .size:           8
        .value_kind:     global_buffer
      - .actual_access:  read_only
        .address_space:  global
        .offset:         32
        .size:           8
        .value_kind:     global_buffer
      - .actual_access:  read_only
        .address_space:  global
        .offset:         40
        .size:           8
        .value_kind:     global_buffer
      - .offset:         48
        .size:           8
        .value_kind:     by_value
      - .address_space:  global
        .offset:         56
        .size:           8
        .value_kind:     global_buffer
      - .offset:         64
        .size:           4
        .value_kind:     by_value
      - .offset:         68
        .size:           1
        .value_kind:     by_value
    .group_segment_fixed_size: 0
    .kernarg_segment_align: 8
    .kernarg_segment_size: 72
    .language:       OpenCL C
    .language_version:
      - 2
      - 0
    .max_flat_workgroup_size: 128
    .name:           _ZN9rocsparseL19gebsrmvn_4xn_kernelILj128ELj1ELj8EdEEvi20rocsparse_direction_NS_24const_host_device_scalarIT2_EEPKiS6_PKS3_S8_S4_PS3_21rocsparse_index_base_b
    .private_segment_fixed_size: 0
    .sgpr_count:     22
    .sgpr_spill_count: 0
    .symbol:         _ZN9rocsparseL19gebsrmvn_4xn_kernelILj128ELj1ELj8EdEEvi20rocsparse_direction_NS_24const_host_device_scalarIT2_EEPKiS6_PKS3_S8_S4_PS3_21rocsparse_index_base_b.kd
    .uniform_work_group_size: 1
    .uses_dynamic_stack: false
    .vgpr_count:     34
    .vgpr_spill_count: 0
    .wavefront_size: 64
  - .agpr_count:     0
    .args:
      - .offset:         0
        .size:           4
        .value_kind:     by_value
      - .offset:         4
        .size:           4
        .value_kind:     by_value
      - .offset:         8
        .size:           8
        .value_kind:     by_value
      - .actual_access:  read_only
        .address_space:  global
        .offset:         16
        .size:           8
        .value_kind:     global_buffer
      - .actual_access:  read_only
        .address_space:  global
        .offset:         24
        .size:           8
        .value_kind:     global_buffer
      - .actual_access:  read_only
        .address_space:  global
        .offset:         32
        .size:           8
        .value_kind:     global_buffer
      - .actual_access:  read_only
        .address_space:  global
        .offset:         40
        .size:           8
        .value_kind:     global_buffer
      - .offset:         48
        .size:           8
        .value_kind:     by_value
      - .address_space:  global
        .offset:         56
        .size:           8
        .value_kind:     global_buffer
      - .offset:         64
        .size:           4
        .value_kind:     by_value
      - .offset:         68
        .size:           1
        .value_kind:     by_value
    .group_segment_fixed_size: 0
    .kernarg_segment_align: 8
    .kernarg_segment_size: 72
    .language:       OpenCL C
    .language_version:
      - 2
      - 0
    .max_flat_workgroup_size: 128
    .name:           _ZN9rocsparseL19gebsrmvn_4xn_kernelILj128ELj1ELj16EdEEvi20rocsparse_direction_NS_24const_host_device_scalarIT2_EEPKiS6_PKS3_S8_S4_PS3_21rocsparse_index_base_b
    .private_segment_fixed_size: 0
    .sgpr_count:     22
    .sgpr_spill_count: 0
    .symbol:         _ZN9rocsparseL19gebsrmvn_4xn_kernelILj128ELj1ELj16EdEEvi20rocsparse_direction_NS_24const_host_device_scalarIT2_EEPKiS6_PKS3_S8_S4_PS3_21rocsparse_index_base_b.kd
    .uniform_work_group_size: 1
    .uses_dynamic_stack: false
    .vgpr_count:     34
    .vgpr_spill_count: 0
    .wavefront_size: 64
  - .agpr_count:     0
    .args:
      - .offset:         0
        .size:           4
        .value_kind:     by_value
      - .offset:         4
        .size:           4
        .value_kind:     by_value
      - .offset:         8
        .size:           8
        .value_kind:     by_value
      - .actual_access:  read_only
        .address_space:  global
        .offset:         16
        .size:           8
        .value_kind:     global_buffer
      - .actual_access:  read_only
        .address_space:  global
        .offset:         24
        .size:           8
        .value_kind:     global_buffer
      - .actual_access:  read_only
        .address_space:  global
        .offset:         32
        .size:           8
        .value_kind:     global_buffer
      - .actual_access:  read_only
        .address_space:  global
        .offset:         40
        .size:           8
        .value_kind:     global_buffer
      - .offset:         48
        .size:           8
        .value_kind:     by_value
      - .address_space:  global
        .offset:         56
        .size:           8
        .value_kind:     global_buffer
      - .offset:         64
        .size:           4
        .value_kind:     by_value
      - .offset:         68
        .size:           1
        .value_kind:     by_value
    .group_segment_fixed_size: 0
    .kernarg_segment_align: 8
    .kernarg_segment_size: 72
    .language:       OpenCL C
    .language_version:
      - 2
      - 0
    .max_flat_workgroup_size: 128
    .name:           _ZN9rocsparseL19gebsrmvn_4xn_kernelILj128ELj1ELj32EdEEvi20rocsparse_direction_NS_24const_host_device_scalarIT2_EEPKiS6_PKS3_S8_S4_PS3_21rocsparse_index_base_b
    .private_segment_fixed_size: 0
    .sgpr_count:     22
    .sgpr_spill_count: 0
    .symbol:         _ZN9rocsparseL19gebsrmvn_4xn_kernelILj128ELj1ELj32EdEEvi20rocsparse_direction_NS_24const_host_device_scalarIT2_EEPKiS6_PKS3_S8_S4_PS3_21rocsparse_index_base_b.kd
    .uniform_work_group_size: 1
    .uses_dynamic_stack: false
    .vgpr_count:     34
    .vgpr_spill_count: 0
    .wavefront_size: 64
  - .agpr_count:     0
    .args:
      - .offset:         0
        .size:           4
        .value_kind:     by_value
      - .offset:         4
        .size:           4
        .value_kind:     by_value
      - .offset:         8
        .size:           8
        .value_kind:     by_value
      - .actual_access:  read_only
        .address_space:  global
        .offset:         16
        .size:           8
        .value_kind:     global_buffer
      - .actual_access:  read_only
        .address_space:  global
        .offset:         24
        .size:           8
        .value_kind:     global_buffer
      - .actual_access:  read_only
        .address_space:  global
        .offset:         32
        .size:           8
        .value_kind:     global_buffer
      - .actual_access:  read_only
        .address_space:  global
        .offset:         40
        .size:           8
        .value_kind:     global_buffer
      - .offset:         48
        .size:           8
        .value_kind:     by_value
      - .address_space:  global
        .offset:         56
        .size:           8
        .value_kind:     global_buffer
      - .offset:         64
        .size:           4
        .value_kind:     by_value
      - .offset:         68
        .size:           1
        .value_kind:     by_value
    .group_segment_fixed_size: 0
    .kernarg_segment_align: 8
    .kernarg_segment_size: 72
    .language:       OpenCL C
    .language_version:
      - 2
      - 0
    .max_flat_workgroup_size: 128
    .name:           _ZN9rocsparseL19gebsrmvn_4xn_kernelILj128ELj1ELj64EdEEvi20rocsparse_direction_NS_24const_host_device_scalarIT2_EEPKiS6_PKS3_S8_S4_PS3_21rocsparse_index_base_b
    .private_segment_fixed_size: 0
    .sgpr_count:     22
    .sgpr_spill_count: 0
    .symbol:         _ZN9rocsparseL19gebsrmvn_4xn_kernelILj128ELj1ELj64EdEEvi20rocsparse_direction_NS_24const_host_device_scalarIT2_EEPKiS6_PKS3_S8_S4_PS3_21rocsparse_index_base_b.kd
    .uniform_work_group_size: 1
    .uses_dynamic_stack: false
    .vgpr_count:     34
    .vgpr_spill_count: 0
    .wavefront_size: 64
  - .agpr_count:     0
    .args:
      - .offset:         0
        .size:           4
        .value_kind:     by_value
      - .offset:         4
        .size:           4
        .value_kind:     by_value
      - .offset:         8
        .size:           8
        .value_kind:     by_value
      - .actual_access:  read_only
        .address_space:  global
        .offset:         16
        .size:           8
        .value_kind:     global_buffer
      - .actual_access:  read_only
        .address_space:  global
        .offset:         24
        .size:           8
        .value_kind:     global_buffer
      - .actual_access:  read_only
        .address_space:  global
        .offset:         32
        .size:           8
        .value_kind:     global_buffer
      - .actual_access:  read_only
        .address_space:  global
        .offset:         40
        .size:           8
        .value_kind:     global_buffer
      - .offset:         48
        .size:           8
        .value_kind:     by_value
      - .address_space:  global
        .offset:         56
        .size:           8
        .value_kind:     global_buffer
      - .offset:         64
        .size:           4
        .value_kind:     by_value
      - .offset:         68
        .size:           1
        .value_kind:     by_value
    .group_segment_fixed_size: 0
    .kernarg_segment_align: 8
    .kernarg_segment_size: 72
    .language:       OpenCL C
    .language_version:
      - 2
      - 0
    .max_flat_workgroup_size: 128
    .name:           _ZN9rocsparseL19gebsrmvn_4xn_kernelILj128ELj2ELj4EdEEvi20rocsparse_direction_NS_24const_host_device_scalarIT2_EEPKiS6_PKS3_S8_S4_PS3_21rocsparse_index_base_b
    .private_segment_fixed_size: 0
    .sgpr_count:     22
    .sgpr_spill_count: 0
    .symbol:         _ZN9rocsparseL19gebsrmvn_4xn_kernelILj128ELj2ELj4EdEEvi20rocsparse_direction_NS_24const_host_device_scalarIT2_EEPKiS6_PKS3_S8_S4_PS3_21rocsparse_index_base_b.kd
    .uniform_work_group_size: 1
    .uses_dynamic_stack: false
    .vgpr_count:     46
    .vgpr_spill_count: 0
    .wavefront_size: 64
  - .agpr_count:     0
    .args:
      - .offset:         0
        .size:           4
        .value_kind:     by_value
      - .offset:         4
        .size:           4
        .value_kind:     by_value
      - .offset:         8
        .size:           8
        .value_kind:     by_value
      - .actual_access:  read_only
        .address_space:  global
        .offset:         16
        .size:           8
        .value_kind:     global_buffer
      - .actual_access:  read_only
        .address_space:  global
        .offset:         24
        .size:           8
        .value_kind:     global_buffer
      - .actual_access:  read_only
        .address_space:  global
        .offset:         32
        .size:           8
        .value_kind:     global_buffer
      - .actual_access:  read_only
        .address_space:  global
        .offset:         40
        .size:           8
        .value_kind:     global_buffer
      - .offset:         48
        .size:           8
        .value_kind:     by_value
      - .address_space:  global
        .offset:         56
        .size:           8
        .value_kind:     global_buffer
      - .offset:         64
        .size:           4
        .value_kind:     by_value
      - .offset:         68
        .size:           1
        .value_kind:     by_value
    .group_segment_fixed_size: 0
    .kernarg_segment_align: 8
    .kernarg_segment_size: 72
    .language:       OpenCL C
    .language_version:
      - 2
      - 0
    .max_flat_workgroup_size: 128
    .name:           _ZN9rocsparseL19gebsrmvn_4xn_kernelILj128ELj2ELj8EdEEvi20rocsparse_direction_NS_24const_host_device_scalarIT2_EEPKiS6_PKS3_S8_S4_PS3_21rocsparse_index_base_b
    .private_segment_fixed_size: 0
    .sgpr_count:     22
    .sgpr_spill_count: 0
    .symbol:         _ZN9rocsparseL19gebsrmvn_4xn_kernelILj128ELj2ELj8EdEEvi20rocsparse_direction_NS_24const_host_device_scalarIT2_EEPKiS6_PKS3_S8_S4_PS3_21rocsparse_index_base_b.kd
    .uniform_work_group_size: 1
    .uses_dynamic_stack: false
    .vgpr_count:     46
    .vgpr_spill_count: 0
    .wavefront_size: 64
  - .agpr_count:     0
    .args:
      - .offset:         0
        .size:           4
        .value_kind:     by_value
      - .offset:         4
        .size:           4
        .value_kind:     by_value
      - .offset:         8
        .size:           8
        .value_kind:     by_value
      - .actual_access:  read_only
        .address_space:  global
        .offset:         16
        .size:           8
        .value_kind:     global_buffer
      - .actual_access:  read_only
        .address_space:  global
        .offset:         24
        .size:           8
        .value_kind:     global_buffer
      - .actual_access:  read_only
        .address_space:  global
        .offset:         32
        .size:           8
        .value_kind:     global_buffer
      - .actual_access:  read_only
        .address_space:  global
        .offset:         40
        .size:           8
        .value_kind:     global_buffer
      - .offset:         48
        .size:           8
        .value_kind:     by_value
      - .address_space:  global
        .offset:         56
        .size:           8
        .value_kind:     global_buffer
      - .offset:         64
        .size:           4
        .value_kind:     by_value
      - .offset:         68
        .size:           1
        .value_kind:     by_value
    .group_segment_fixed_size: 0
    .kernarg_segment_align: 8
    .kernarg_segment_size: 72
    .language:       OpenCL C
    .language_version:
      - 2
      - 0
    .max_flat_workgroup_size: 128
    .name:           _ZN9rocsparseL19gebsrmvn_4xn_kernelILj128ELj2ELj16EdEEvi20rocsparse_direction_NS_24const_host_device_scalarIT2_EEPKiS6_PKS3_S8_S4_PS3_21rocsparse_index_base_b
    .private_segment_fixed_size: 0
    .sgpr_count:     22
    .sgpr_spill_count: 0
    .symbol:         _ZN9rocsparseL19gebsrmvn_4xn_kernelILj128ELj2ELj16EdEEvi20rocsparse_direction_NS_24const_host_device_scalarIT2_EEPKiS6_PKS3_S8_S4_PS3_21rocsparse_index_base_b.kd
    .uniform_work_group_size: 1
    .uses_dynamic_stack: false
    .vgpr_count:     46
    .vgpr_spill_count: 0
    .wavefront_size: 64
  - .agpr_count:     0
    .args:
      - .offset:         0
        .size:           4
        .value_kind:     by_value
      - .offset:         4
        .size:           4
        .value_kind:     by_value
      - .offset:         8
        .size:           8
        .value_kind:     by_value
      - .actual_access:  read_only
        .address_space:  global
        .offset:         16
        .size:           8
        .value_kind:     global_buffer
      - .actual_access:  read_only
        .address_space:  global
        .offset:         24
        .size:           8
        .value_kind:     global_buffer
      - .actual_access:  read_only
        .address_space:  global
        .offset:         32
        .size:           8
        .value_kind:     global_buffer
      - .actual_access:  read_only
        .address_space:  global
        .offset:         40
        .size:           8
        .value_kind:     global_buffer
      - .offset:         48
        .size:           8
        .value_kind:     by_value
      - .address_space:  global
        .offset:         56
        .size:           8
        .value_kind:     global_buffer
      - .offset:         64
        .size:           4
        .value_kind:     by_value
      - .offset:         68
        .size:           1
        .value_kind:     by_value
    .group_segment_fixed_size: 0
    .kernarg_segment_align: 8
    .kernarg_segment_size: 72
    .language:       OpenCL C
    .language_version:
      - 2
      - 0
    .max_flat_workgroup_size: 128
    .name:           _ZN9rocsparseL19gebsrmvn_4xn_kernelILj128ELj2ELj32EdEEvi20rocsparse_direction_NS_24const_host_device_scalarIT2_EEPKiS6_PKS3_S8_S4_PS3_21rocsparse_index_base_b
    .private_segment_fixed_size: 0
    .sgpr_count:     22
    .sgpr_spill_count: 0
    .symbol:         _ZN9rocsparseL19gebsrmvn_4xn_kernelILj128ELj2ELj32EdEEvi20rocsparse_direction_NS_24const_host_device_scalarIT2_EEPKiS6_PKS3_S8_S4_PS3_21rocsparse_index_base_b.kd
    .uniform_work_group_size: 1
    .uses_dynamic_stack: false
    .vgpr_count:     46
    .vgpr_spill_count: 0
    .wavefront_size: 64
  - .agpr_count:     0
    .args:
      - .offset:         0
        .size:           4
        .value_kind:     by_value
      - .offset:         4
        .size:           4
        .value_kind:     by_value
      - .offset:         8
        .size:           8
        .value_kind:     by_value
      - .actual_access:  read_only
        .address_space:  global
        .offset:         16
        .size:           8
        .value_kind:     global_buffer
      - .actual_access:  read_only
        .address_space:  global
        .offset:         24
        .size:           8
        .value_kind:     global_buffer
      - .actual_access:  read_only
        .address_space:  global
        .offset:         32
        .size:           8
        .value_kind:     global_buffer
      - .actual_access:  read_only
        .address_space:  global
        .offset:         40
        .size:           8
        .value_kind:     global_buffer
      - .offset:         48
        .size:           8
        .value_kind:     by_value
      - .address_space:  global
        .offset:         56
        .size:           8
        .value_kind:     global_buffer
      - .offset:         64
        .size:           4
        .value_kind:     by_value
      - .offset:         68
        .size:           1
        .value_kind:     by_value
    .group_segment_fixed_size: 0
    .kernarg_segment_align: 8
    .kernarg_segment_size: 72
    .language:       OpenCL C
    .language_version:
      - 2
      - 0
    .max_flat_workgroup_size: 128
    .name:           _ZN9rocsparseL19gebsrmvn_4xn_kernelILj128ELj2ELj64EdEEvi20rocsparse_direction_NS_24const_host_device_scalarIT2_EEPKiS6_PKS3_S8_S4_PS3_21rocsparse_index_base_b
    .private_segment_fixed_size: 0
    .sgpr_count:     22
    .sgpr_spill_count: 0
    .symbol:         _ZN9rocsparseL19gebsrmvn_4xn_kernelILj128ELj2ELj64EdEEvi20rocsparse_direction_NS_24const_host_device_scalarIT2_EEPKiS6_PKS3_S8_S4_PS3_21rocsparse_index_base_b.kd
    .uniform_work_group_size: 1
    .uses_dynamic_stack: false
    .vgpr_count:     46
    .vgpr_spill_count: 0
    .wavefront_size: 64
  - .agpr_count:     0
    .args:
      - .offset:         0
        .size:           4
        .value_kind:     by_value
      - .offset:         4
        .size:           4
        .value_kind:     by_value
      - .offset:         8
        .size:           8
        .value_kind:     by_value
      - .actual_access:  read_only
        .address_space:  global
        .offset:         16
        .size:           8
        .value_kind:     global_buffer
      - .actual_access:  read_only
        .address_space:  global
        .offset:         24
        .size:           8
        .value_kind:     global_buffer
      - .actual_access:  read_only
        .address_space:  global
        .offset:         32
        .size:           8
        .value_kind:     global_buffer
      - .actual_access:  read_only
        .address_space:  global
        .offset:         40
        .size:           8
        .value_kind:     global_buffer
      - .offset:         48
        .size:           8
        .value_kind:     by_value
      - .address_space:  global
        .offset:         56
        .size:           8
        .value_kind:     global_buffer
      - .offset:         64
        .size:           4
        .value_kind:     by_value
      - .offset:         68
        .size:           1
        .value_kind:     by_value
    .group_segment_fixed_size: 0
    .kernarg_segment_align: 8
    .kernarg_segment_size: 72
    .language:       OpenCL C
    .language_version:
      - 2
      - 0
    .max_flat_workgroup_size: 128
    .name:           _ZN9rocsparseL19gebsrmvn_4xn_kernelILj128ELj3ELj4EdEEvi20rocsparse_direction_NS_24const_host_device_scalarIT2_EEPKiS6_PKS3_S8_S4_PS3_21rocsparse_index_base_b
    .private_segment_fixed_size: 0
    .sgpr_count:     22
    .sgpr_spill_count: 0
    .symbol:         _ZN9rocsparseL19gebsrmvn_4xn_kernelILj128ELj3ELj4EdEEvi20rocsparse_direction_NS_24const_host_device_scalarIT2_EEPKiS6_PKS3_S8_S4_PS3_21rocsparse_index_base_b.kd
    .uniform_work_group_size: 1
    .uses_dynamic_stack: false
    .vgpr_count:     58
    .vgpr_spill_count: 0
    .wavefront_size: 64
  - .agpr_count:     0
    .args:
      - .offset:         0
        .size:           4
        .value_kind:     by_value
      - .offset:         4
        .size:           4
        .value_kind:     by_value
      - .offset:         8
        .size:           8
        .value_kind:     by_value
      - .actual_access:  read_only
        .address_space:  global
        .offset:         16
        .size:           8
        .value_kind:     global_buffer
      - .actual_access:  read_only
        .address_space:  global
        .offset:         24
        .size:           8
        .value_kind:     global_buffer
      - .actual_access:  read_only
        .address_space:  global
        .offset:         32
        .size:           8
        .value_kind:     global_buffer
      - .actual_access:  read_only
        .address_space:  global
        .offset:         40
        .size:           8
        .value_kind:     global_buffer
      - .offset:         48
        .size:           8
        .value_kind:     by_value
      - .address_space:  global
        .offset:         56
        .size:           8
        .value_kind:     global_buffer
      - .offset:         64
        .size:           4
        .value_kind:     by_value
      - .offset:         68
        .size:           1
        .value_kind:     by_value
    .group_segment_fixed_size: 0
    .kernarg_segment_align: 8
    .kernarg_segment_size: 72
    .language:       OpenCL C
    .language_version:
      - 2
      - 0
    .max_flat_workgroup_size: 128
    .name:           _ZN9rocsparseL19gebsrmvn_4xn_kernelILj128ELj3ELj8EdEEvi20rocsparse_direction_NS_24const_host_device_scalarIT2_EEPKiS6_PKS3_S8_S4_PS3_21rocsparse_index_base_b
    .private_segment_fixed_size: 0
    .sgpr_count:     22
    .sgpr_spill_count: 0
    .symbol:         _ZN9rocsparseL19gebsrmvn_4xn_kernelILj128ELj3ELj8EdEEvi20rocsparse_direction_NS_24const_host_device_scalarIT2_EEPKiS6_PKS3_S8_S4_PS3_21rocsparse_index_base_b.kd
    .uniform_work_group_size: 1
    .uses_dynamic_stack: false
    .vgpr_count:     58
    .vgpr_spill_count: 0
    .wavefront_size: 64
  - .agpr_count:     0
    .args:
      - .offset:         0
        .size:           4
        .value_kind:     by_value
      - .offset:         4
        .size:           4
        .value_kind:     by_value
      - .offset:         8
        .size:           8
        .value_kind:     by_value
      - .actual_access:  read_only
        .address_space:  global
        .offset:         16
        .size:           8
        .value_kind:     global_buffer
      - .actual_access:  read_only
        .address_space:  global
        .offset:         24
        .size:           8
        .value_kind:     global_buffer
      - .actual_access:  read_only
        .address_space:  global
        .offset:         32
        .size:           8
        .value_kind:     global_buffer
      - .actual_access:  read_only
        .address_space:  global
        .offset:         40
        .size:           8
        .value_kind:     global_buffer
      - .offset:         48
        .size:           8
        .value_kind:     by_value
      - .address_space:  global
        .offset:         56
        .size:           8
        .value_kind:     global_buffer
      - .offset:         64
        .size:           4
        .value_kind:     by_value
      - .offset:         68
        .size:           1
        .value_kind:     by_value
    .group_segment_fixed_size: 0
    .kernarg_segment_align: 8
    .kernarg_segment_size: 72
    .language:       OpenCL C
    .language_version:
      - 2
      - 0
    .max_flat_workgroup_size: 128
    .name:           _ZN9rocsparseL19gebsrmvn_4xn_kernelILj128ELj3ELj16EdEEvi20rocsparse_direction_NS_24const_host_device_scalarIT2_EEPKiS6_PKS3_S8_S4_PS3_21rocsparse_index_base_b
    .private_segment_fixed_size: 0
    .sgpr_count:     22
    .sgpr_spill_count: 0
    .symbol:         _ZN9rocsparseL19gebsrmvn_4xn_kernelILj128ELj3ELj16EdEEvi20rocsparse_direction_NS_24const_host_device_scalarIT2_EEPKiS6_PKS3_S8_S4_PS3_21rocsparse_index_base_b.kd
    .uniform_work_group_size: 1
    .uses_dynamic_stack: false
    .vgpr_count:     58
    .vgpr_spill_count: 0
    .wavefront_size: 64
  - .agpr_count:     0
    .args:
      - .offset:         0
        .size:           4
        .value_kind:     by_value
      - .offset:         4
        .size:           4
        .value_kind:     by_value
      - .offset:         8
        .size:           8
        .value_kind:     by_value
      - .actual_access:  read_only
        .address_space:  global
        .offset:         16
        .size:           8
        .value_kind:     global_buffer
      - .actual_access:  read_only
        .address_space:  global
        .offset:         24
        .size:           8
        .value_kind:     global_buffer
      - .actual_access:  read_only
        .address_space:  global
        .offset:         32
        .size:           8
        .value_kind:     global_buffer
      - .actual_access:  read_only
        .address_space:  global
        .offset:         40
        .size:           8
        .value_kind:     global_buffer
      - .offset:         48
        .size:           8
        .value_kind:     by_value
      - .address_space:  global
        .offset:         56
        .size:           8
        .value_kind:     global_buffer
      - .offset:         64
        .size:           4
        .value_kind:     by_value
      - .offset:         68
        .size:           1
        .value_kind:     by_value
    .group_segment_fixed_size: 0
    .kernarg_segment_align: 8
    .kernarg_segment_size: 72
    .language:       OpenCL C
    .language_version:
      - 2
      - 0
    .max_flat_workgroup_size: 128
    .name:           _ZN9rocsparseL19gebsrmvn_4xn_kernelILj128ELj3ELj32EdEEvi20rocsparse_direction_NS_24const_host_device_scalarIT2_EEPKiS6_PKS3_S8_S4_PS3_21rocsparse_index_base_b
    .private_segment_fixed_size: 0
    .sgpr_count:     22
    .sgpr_spill_count: 0
    .symbol:         _ZN9rocsparseL19gebsrmvn_4xn_kernelILj128ELj3ELj32EdEEvi20rocsparse_direction_NS_24const_host_device_scalarIT2_EEPKiS6_PKS3_S8_S4_PS3_21rocsparse_index_base_b.kd
    .uniform_work_group_size: 1
    .uses_dynamic_stack: false
    .vgpr_count:     58
    .vgpr_spill_count: 0
    .wavefront_size: 64
  - .agpr_count:     0
    .args:
      - .offset:         0
        .size:           4
        .value_kind:     by_value
      - .offset:         4
        .size:           4
        .value_kind:     by_value
      - .offset:         8
        .size:           8
        .value_kind:     by_value
      - .actual_access:  read_only
        .address_space:  global
        .offset:         16
        .size:           8
        .value_kind:     global_buffer
      - .actual_access:  read_only
        .address_space:  global
        .offset:         24
        .size:           8
        .value_kind:     global_buffer
      - .actual_access:  read_only
        .address_space:  global
        .offset:         32
        .size:           8
        .value_kind:     global_buffer
      - .actual_access:  read_only
        .address_space:  global
        .offset:         40
        .size:           8
        .value_kind:     global_buffer
      - .offset:         48
        .size:           8
        .value_kind:     by_value
      - .address_space:  global
        .offset:         56
        .size:           8
        .value_kind:     global_buffer
      - .offset:         64
        .size:           4
        .value_kind:     by_value
      - .offset:         68
        .size:           1
        .value_kind:     by_value
    .group_segment_fixed_size: 0
    .kernarg_segment_align: 8
    .kernarg_segment_size: 72
    .language:       OpenCL C
    .language_version:
      - 2
      - 0
    .max_flat_workgroup_size: 128
    .name:           _ZN9rocsparseL19gebsrmvn_4xn_kernelILj128ELj3ELj64EdEEvi20rocsparse_direction_NS_24const_host_device_scalarIT2_EEPKiS6_PKS3_S8_S4_PS3_21rocsparse_index_base_b
    .private_segment_fixed_size: 0
    .sgpr_count:     22
    .sgpr_spill_count: 0
    .symbol:         _ZN9rocsparseL19gebsrmvn_4xn_kernelILj128ELj3ELj64EdEEvi20rocsparse_direction_NS_24const_host_device_scalarIT2_EEPKiS6_PKS3_S8_S4_PS3_21rocsparse_index_base_b.kd
    .uniform_work_group_size: 1
    .uses_dynamic_stack: false
    .vgpr_count:     58
    .vgpr_spill_count: 0
    .wavefront_size: 64
  - .agpr_count:     0
    .args:
      - .offset:         0
        .size:           4
        .value_kind:     by_value
      - .offset:         4
        .size:           4
        .value_kind:     by_value
      - .offset:         8
        .size:           8
        .value_kind:     by_value
      - .actual_access:  read_only
        .address_space:  global
        .offset:         16
        .size:           8
        .value_kind:     global_buffer
      - .actual_access:  read_only
        .address_space:  global
        .offset:         24
        .size:           8
        .value_kind:     global_buffer
      - .actual_access:  read_only
        .address_space:  global
        .offset:         32
        .size:           8
        .value_kind:     global_buffer
      - .actual_access:  read_only
        .address_space:  global
        .offset:         40
        .size:           8
        .value_kind:     global_buffer
      - .offset:         48
        .size:           8
        .value_kind:     by_value
      - .address_space:  global
        .offset:         56
        .size:           8
        .value_kind:     global_buffer
      - .offset:         64
        .size:           4
        .value_kind:     by_value
      - .offset:         68
        .size:           1
        .value_kind:     by_value
    .group_segment_fixed_size: 0
    .kernarg_segment_align: 8
    .kernarg_segment_size: 72
    .language:       OpenCL C
    .language_version:
      - 2
      - 0
    .max_flat_workgroup_size: 128
    .name:           _ZN9rocsparseL19gebsrmvn_4xn_kernelILj128ELj5ELj4EdEEvi20rocsparse_direction_NS_24const_host_device_scalarIT2_EEPKiS6_PKS3_S8_S4_PS3_21rocsparse_index_base_b
    .private_segment_fixed_size: 0
    .sgpr_count:     22
    .sgpr_spill_count: 0
    .symbol:         _ZN9rocsparseL19gebsrmvn_4xn_kernelILj128ELj5ELj4EdEEvi20rocsparse_direction_NS_24const_host_device_scalarIT2_EEPKiS6_PKS3_S8_S4_PS3_21rocsparse_index_base_b.kd
    .uniform_work_group_size: 1
    .uses_dynamic_stack: false
    .vgpr_count:     90
    .vgpr_spill_count: 0
    .wavefront_size: 64
  - .agpr_count:     0
    .args:
      - .offset:         0
        .size:           4
        .value_kind:     by_value
      - .offset:         4
        .size:           4
        .value_kind:     by_value
      - .offset:         8
        .size:           8
        .value_kind:     by_value
      - .actual_access:  read_only
        .address_space:  global
        .offset:         16
        .size:           8
        .value_kind:     global_buffer
      - .actual_access:  read_only
        .address_space:  global
        .offset:         24
        .size:           8
        .value_kind:     global_buffer
      - .actual_access:  read_only
        .address_space:  global
        .offset:         32
        .size:           8
        .value_kind:     global_buffer
      - .actual_access:  read_only
        .address_space:  global
        .offset:         40
        .size:           8
        .value_kind:     global_buffer
      - .offset:         48
        .size:           8
        .value_kind:     by_value
      - .address_space:  global
        .offset:         56
        .size:           8
        .value_kind:     global_buffer
      - .offset:         64
        .size:           4
        .value_kind:     by_value
      - .offset:         68
        .size:           1
        .value_kind:     by_value
    .group_segment_fixed_size: 0
    .kernarg_segment_align: 8
    .kernarg_segment_size: 72
    .language:       OpenCL C
    .language_version:
      - 2
      - 0
    .max_flat_workgroup_size: 128
    .name:           _ZN9rocsparseL19gebsrmvn_4xn_kernelILj128ELj5ELj8EdEEvi20rocsparse_direction_NS_24const_host_device_scalarIT2_EEPKiS6_PKS3_S8_S4_PS3_21rocsparse_index_base_b
    .private_segment_fixed_size: 0
    .sgpr_count:     22
    .sgpr_spill_count: 0
    .symbol:         _ZN9rocsparseL19gebsrmvn_4xn_kernelILj128ELj5ELj8EdEEvi20rocsparse_direction_NS_24const_host_device_scalarIT2_EEPKiS6_PKS3_S8_S4_PS3_21rocsparse_index_base_b.kd
    .uniform_work_group_size: 1
    .uses_dynamic_stack: false
    .vgpr_count:     90
    .vgpr_spill_count: 0
    .wavefront_size: 64
  - .agpr_count:     0
    .args:
      - .offset:         0
        .size:           4
        .value_kind:     by_value
      - .offset:         4
        .size:           4
        .value_kind:     by_value
      - .offset:         8
        .size:           8
        .value_kind:     by_value
      - .actual_access:  read_only
        .address_space:  global
        .offset:         16
        .size:           8
        .value_kind:     global_buffer
      - .actual_access:  read_only
        .address_space:  global
        .offset:         24
        .size:           8
        .value_kind:     global_buffer
      - .actual_access:  read_only
        .address_space:  global
        .offset:         32
        .size:           8
        .value_kind:     global_buffer
      - .actual_access:  read_only
        .address_space:  global
        .offset:         40
        .size:           8
        .value_kind:     global_buffer
      - .offset:         48
        .size:           8
        .value_kind:     by_value
      - .address_space:  global
        .offset:         56
        .size:           8
        .value_kind:     global_buffer
      - .offset:         64
        .size:           4
        .value_kind:     by_value
      - .offset:         68
        .size:           1
        .value_kind:     by_value
    .group_segment_fixed_size: 0
    .kernarg_segment_align: 8
    .kernarg_segment_size: 72
    .language:       OpenCL C
    .language_version:
      - 2
      - 0
    .max_flat_workgroup_size: 128
    .name:           _ZN9rocsparseL19gebsrmvn_4xn_kernelILj128ELj5ELj16EdEEvi20rocsparse_direction_NS_24const_host_device_scalarIT2_EEPKiS6_PKS3_S8_S4_PS3_21rocsparse_index_base_b
    .private_segment_fixed_size: 0
    .sgpr_count:     22
    .sgpr_spill_count: 0
    .symbol:         _ZN9rocsparseL19gebsrmvn_4xn_kernelILj128ELj5ELj16EdEEvi20rocsparse_direction_NS_24const_host_device_scalarIT2_EEPKiS6_PKS3_S8_S4_PS3_21rocsparse_index_base_b.kd
    .uniform_work_group_size: 1
    .uses_dynamic_stack: false
    .vgpr_count:     90
    .vgpr_spill_count: 0
    .wavefront_size: 64
  - .agpr_count:     0
    .args:
      - .offset:         0
        .size:           4
        .value_kind:     by_value
      - .offset:         4
        .size:           4
        .value_kind:     by_value
      - .offset:         8
        .size:           8
        .value_kind:     by_value
      - .actual_access:  read_only
        .address_space:  global
        .offset:         16
        .size:           8
        .value_kind:     global_buffer
      - .actual_access:  read_only
        .address_space:  global
        .offset:         24
        .size:           8
        .value_kind:     global_buffer
      - .actual_access:  read_only
        .address_space:  global
        .offset:         32
        .size:           8
        .value_kind:     global_buffer
      - .actual_access:  read_only
        .address_space:  global
        .offset:         40
        .size:           8
        .value_kind:     global_buffer
      - .offset:         48
        .size:           8
        .value_kind:     by_value
      - .address_space:  global
        .offset:         56
        .size:           8
        .value_kind:     global_buffer
      - .offset:         64
        .size:           4
        .value_kind:     by_value
      - .offset:         68
        .size:           1
        .value_kind:     by_value
    .group_segment_fixed_size: 0
    .kernarg_segment_align: 8
    .kernarg_segment_size: 72
    .language:       OpenCL C
    .language_version:
      - 2
      - 0
    .max_flat_workgroup_size: 128
    .name:           _ZN9rocsparseL19gebsrmvn_4xn_kernelILj128ELj5ELj32EdEEvi20rocsparse_direction_NS_24const_host_device_scalarIT2_EEPKiS6_PKS3_S8_S4_PS3_21rocsparse_index_base_b
    .private_segment_fixed_size: 0
    .sgpr_count:     22
    .sgpr_spill_count: 0
    .symbol:         _ZN9rocsparseL19gebsrmvn_4xn_kernelILj128ELj5ELj32EdEEvi20rocsparse_direction_NS_24const_host_device_scalarIT2_EEPKiS6_PKS3_S8_S4_PS3_21rocsparse_index_base_b.kd
    .uniform_work_group_size: 1
    .uses_dynamic_stack: false
    .vgpr_count:     90
    .vgpr_spill_count: 0
    .wavefront_size: 64
  - .agpr_count:     0
    .args:
      - .offset:         0
        .size:           4
        .value_kind:     by_value
      - .offset:         4
        .size:           4
        .value_kind:     by_value
      - .offset:         8
        .size:           8
        .value_kind:     by_value
      - .actual_access:  read_only
        .address_space:  global
        .offset:         16
        .size:           8
        .value_kind:     global_buffer
      - .actual_access:  read_only
        .address_space:  global
        .offset:         24
        .size:           8
        .value_kind:     global_buffer
      - .actual_access:  read_only
        .address_space:  global
        .offset:         32
        .size:           8
        .value_kind:     global_buffer
      - .actual_access:  read_only
        .address_space:  global
        .offset:         40
        .size:           8
        .value_kind:     global_buffer
      - .offset:         48
        .size:           8
        .value_kind:     by_value
      - .address_space:  global
        .offset:         56
        .size:           8
        .value_kind:     global_buffer
      - .offset:         64
        .size:           4
        .value_kind:     by_value
      - .offset:         68
        .size:           1
        .value_kind:     by_value
    .group_segment_fixed_size: 0
    .kernarg_segment_align: 8
    .kernarg_segment_size: 72
    .language:       OpenCL C
    .language_version:
      - 2
      - 0
    .max_flat_workgroup_size: 128
    .name:           _ZN9rocsparseL19gebsrmvn_4xn_kernelILj128ELj5ELj64EdEEvi20rocsparse_direction_NS_24const_host_device_scalarIT2_EEPKiS6_PKS3_S8_S4_PS3_21rocsparse_index_base_b
    .private_segment_fixed_size: 0
    .sgpr_count:     22
    .sgpr_spill_count: 0
    .symbol:         _ZN9rocsparseL19gebsrmvn_4xn_kernelILj128ELj5ELj64EdEEvi20rocsparse_direction_NS_24const_host_device_scalarIT2_EEPKiS6_PKS3_S8_S4_PS3_21rocsparse_index_base_b.kd
    .uniform_work_group_size: 1
    .uses_dynamic_stack: false
    .vgpr_count:     90
    .vgpr_spill_count: 0
    .wavefront_size: 64
  - .agpr_count:     0
    .args:
      - .offset:         0
        .size:           4
        .value_kind:     by_value
      - .offset:         4
        .size:           4
        .value_kind:     by_value
      - .offset:         8
        .size:           8
        .value_kind:     by_value
      - .actual_access:  read_only
        .address_space:  global
        .offset:         16
        .size:           8
        .value_kind:     global_buffer
      - .actual_access:  read_only
        .address_space:  global
        .offset:         24
        .size:           8
        .value_kind:     global_buffer
      - .actual_access:  read_only
        .address_space:  global
        .offset:         32
        .size:           8
        .value_kind:     global_buffer
      - .actual_access:  read_only
        .address_space:  global
        .offset:         40
        .size:           8
        .value_kind:     global_buffer
      - .offset:         48
        .size:           8
        .value_kind:     by_value
      - .address_space:  global
        .offset:         56
        .size:           8
        .value_kind:     global_buffer
      - .offset:         64
        .size:           4
        .value_kind:     by_value
      - .offset:         68
        .size:           1
        .value_kind:     by_value
    .group_segment_fixed_size: 0
    .kernarg_segment_align: 8
    .kernarg_segment_size: 72
    .language:       OpenCL C
    .language_version:
      - 2
      - 0
    .max_flat_workgroup_size: 128
    .name:           _ZN9rocsparseL19gebsrmvn_4xn_kernelILj128ELj6ELj4EdEEvi20rocsparse_direction_NS_24const_host_device_scalarIT2_EEPKiS6_PKS3_S8_S4_PS3_21rocsparse_index_base_b
    .private_segment_fixed_size: 0
    .sgpr_count:     22
    .sgpr_spill_count: 0
    .symbol:         _ZN9rocsparseL19gebsrmvn_4xn_kernelILj128ELj6ELj4EdEEvi20rocsparse_direction_NS_24const_host_device_scalarIT2_EEPKiS6_PKS3_S8_S4_PS3_21rocsparse_index_base_b.kd
    .uniform_work_group_size: 1
    .uses_dynamic_stack: false
    .vgpr_count:     74
    .vgpr_spill_count: 0
    .wavefront_size: 64
  - .agpr_count:     0
    .args:
      - .offset:         0
        .size:           4
        .value_kind:     by_value
      - .offset:         4
        .size:           4
        .value_kind:     by_value
      - .offset:         8
        .size:           8
        .value_kind:     by_value
      - .actual_access:  read_only
        .address_space:  global
        .offset:         16
        .size:           8
        .value_kind:     global_buffer
      - .actual_access:  read_only
        .address_space:  global
        .offset:         24
        .size:           8
        .value_kind:     global_buffer
      - .actual_access:  read_only
        .address_space:  global
        .offset:         32
        .size:           8
        .value_kind:     global_buffer
      - .actual_access:  read_only
        .address_space:  global
        .offset:         40
        .size:           8
        .value_kind:     global_buffer
      - .offset:         48
        .size:           8
        .value_kind:     by_value
      - .address_space:  global
        .offset:         56
        .size:           8
        .value_kind:     global_buffer
      - .offset:         64
        .size:           4
        .value_kind:     by_value
      - .offset:         68
        .size:           1
        .value_kind:     by_value
    .group_segment_fixed_size: 0
    .kernarg_segment_align: 8
    .kernarg_segment_size: 72
    .language:       OpenCL C
    .language_version:
      - 2
      - 0
    .max_flat_workgroup_size: 128
    .name:           _ZN9rocsparseL19gebsrmvn_4xn_kernelILj128ELj6ELj8EdEEvi20rocsparse_direction_NS_24const_host_device_scalarIT2_EEPKiS6_PKS3_S8_S4_PS3_21rocsparse_index_base_b
    .private_segment_fixed_size: 0
    .sgpr_count:     22
    .sgpr_spill_count: 0
    .symbol:         _ZN9rocsparseL19gebsrmvn_4xn_kernelILj128ELj6ELj8EdEEvi20rocsparse_direction_NS_24const_host_device_scalarIT2_EEPKiS6_PKS3_S8_S4_PS3_21rocsparse_index_base_b.kd
    .uniform_work_group_size: 1
    .uses_dynamic_stack: false
    .vgpr_count:     74
    .vgpr_spill_count: 0
    .wavefront_size: 64
  - .agpr_count:     0
    .args:
      - .offset:         0
        .size:           4
        .value_kind:     by_value
      - .offset:         4
        .size:           4
        .value_kind:     by_value
      - .offset:         8
        .size:           8
        .value_kind:     by_value
      - .actual_access:  read_only
        .address_space:  global
        .offset:         16
        .size:           8
        .value_kind:     global_buffer
      - .actual_access:  read_only
        .address_space:  global
        .offset:         24
        .size:           8
        .value_kind:     global_buffer
      - .actual_access:  read_only
        .address_space:  global
        .offset:         32
        .size:           8
        .value_kind:     global_buffer
      - .actual_access:  read_only
        .address_space:  global
        .offset:         40
        .size:           8
        .value_kind:     global_buffer
      - .offset:         48
        .size:           8
        .value_kind:     by_value
      - .address_space:  global
        .offset:         56
        .size:           8
        .value_kind:     global_buffer
      - .offset:         64
        .size:           4
        .value_kind:     by_value
      - .offset:         68
        .size:           1
        .value_kind:     by_value
    .group_segment_fixed_size: 0
    .kernarg_segment_align: 8
    .kernarg_segment_size: 72
    .language:       OpenCL C
    .language_version:
      - 2
      - 0
    .max_flat_workgroup_size: 128
    .name:           _ZN9rocsparseL19gebsrmvn_4xn_kernelILj128ELj6ELj16EdEEvi20rocsparse_direction_NS_24const_host_device_scalarIT2_EEPKiS6_PKS3_S8_S4_PS3_21rocsparse_index_base_b
    .private_segment_fixed_size: 0
    .sgpr_count:     22
    .sgpr_spill_count: 0
    .symbol:         _ZN9rocsparseL19gebsrmvn_4xn_kernelILj128ELj6ELj16EdEEvi20rocsparse_direction_NS_24const_host_device_scalarIT2_EEPKiS6_PKS3_S8_S4_PS3_21rocsparse_index_base_b.kd
    .uniform_work_group_size: 1
    .uses_dynamic_stack: false
    .vgpr_count:     74
    .vgpr_spill_count: 0
    .wavefront_size: 64
  - .agpr_count:     0
    .args:
      - .offset:         0
        .size:           4
        .value_kind:     by_value
      - .offset:         4
        .size:           4
        .value_kind:     by_value
      - .offset:         8
        .size:           8
        .value_kind:     by_value
      - .actual_access:  read_only
        .address_space:  global
        .offset:         16
        .size:           8
        .value_kind:     global_buffer
      - .actual_access:  read_only
        .address_space:  global
        .offset:         24
        .size:           8
        .value_kind:     global_buffer
      - .actual_access:  read_only
        .address_space:  global
        .offset:         32
        .size:           8
        .value_kind:     global_buffer
      - .actual_access:  read_only
        .address_space:  global
        .offset:         40
        .size:           8
        .value_kind:     global_buffer
      - .offset:         48
        .size:           8
        .value_kind:     by_value
      - .address_space:  global
        .offset:         56
        .size:           8
        .value_kind:     global_buffer
      - .offset:         64
        .size:           4
        .value_kind:     by_value
      - .offset:         68
        .size:           1
        .value_kind:     by_value
    .group_segment_fixed_size: 0
    .kernarg_segment_align: 8
    .kernarg_segment_size: 72
    .language:       OpenCL C
    .language_version:
      - 2
      - 0
    .max_flat_workgroup_size: 128
    .name:           _ZN9rocsparseL19gebsrmvn_4xn_kernelILj128ELj6ELj32EdEEvi20rocsparse_direction_NS_24const_host_device_scalarIT2_EEPKiS6_PKS3_S8_S4_PS3_21rocsparse_index_base_b
    .private_segment_fixed_size: 0
    .sgpr_count:     22
    .sgpr_spill_count: 0
    .symbol:         _ZN9rocsparseL19gebsrmvn_4xn_kernelILj128ELj6ELj32EdEEvi20rocsparse_direction_NS_24const_host_device_scalarIT2_EEPKiS6_PKS3_S8_S4_PS3_21rocsparse_index_base_b.kd
    .uniform_work_group_size: 1
    .uses_dynamic_stack: false
    .vgpr_count:     74
    .vgpr_spill_count: 0
    .wavefront_size: 64
  - .agpr_count:     0
    .args:
      - .offset:         0
        .size:           4
        .value_kind:     by_value
      - .offset:         4
        .size:           4
        .value_kind:     by_value
      - .offset:         8
        .size:           8
        .value_kind:     by_value
      - .actual_access:  read_only
        .address_space:  global
        .offset:         16
        .size:           8
        .value_kind:     global_buffer
      - .actual_access:  read_only
        .address_space:  global
        .offset:         24
        .size:           8
        .value_kind:     global_buffer
      - .actual_access:  read_only
        .address_space:  global
        .offset:         32
        .size:           8
        .value_kind:     global_buffer
      - .actual_access:  read_only
        .address_space:  global
        .offset:         40
        .size:           8
        .value_kind:     global_buffer
      - .offset:         48
        .size:           8
        .value_kind:     by_value
      - .address_space:  global
        .offset:         56
        .size:           8
        .value_kind:     global_buffer
      - .offset:         64
        .size:           4
        .value_kind:     by_value
      - .offset:         68
        .size:           1
        .value_kind:     by_value
    .group_segment_fixed_size: 0
    .kernarg_segment_align: 8
    .kernarg_segment_size: 72
    .language:       OpenCL C
    .language_version:
      - 2
      - 0
    .max_flat_workgroup_size: 128
    .name:           _ZN9rocsparseL19gebsrmvn_4xn_kernelILj128ELj6ELj64EdEEvi20rocsparse_direction_NS_24const_host_device_scalarIT2_EEPKiS6_PKS3_S8_S4_PS3_21rocsparse_index_base_b
    .private_segment_fixed_size: 0
    .sgpr_count:     22
    .sgpr_spill_count: 0
    .symbol:         _ZN9rocsparseL19gebsrmvn_4xn_kernelILj128ELj6ELj64EdEEvi20rocsparse_direction_NS_24const_host_device_scalarIT2_EEPKiS6_PKS3_S8_S4_PS3_21rocsparse_index_base_b.kd
    .uniform_work_group_size: 1
    .uses_dynamic_stack: false
    .vgpr_count:     74
    .vgpr_spill_count: 0
    .wavefront_size: 64
  - .agpr_count:     0
    .args:
      - .offset:         0
        .size:           4
        .value_kind:     by_value
      - .offset:         4
        .size:           4
        .value_kind:     by_value
      - .offset:         8
        .size:           8
        .value_kind:     by_value
      - .actual_access:  read_only
        .address_space:  global
        .offset:         16
        .size:           8
        .value_kind:     global_buffer
      - .actual_access:  read_only
        .address_space:  global
        .offset:         24
        .size:           8
        .value_kind:     global_buffer
      - .actual_access:  read_only
        .address_space:  global
        .offset:         32
        .size:           8
        .value_kind:     global_buffer
      - .actual_access:  read_only
        .address_space:  global
        .offset:         40
        .size:           8
        .value_kind:     global_buffer
      - .offset:         48
        .size:           8
        .value_kind:     by_value
      - .address_space:  global
        .offset:         56
        .size:           8
        .value_kind:     global_buffer
      - .offset:         64
        .size:           4
        .value_kind:     by_value
      - .offset:         68
        .size:           1
        .value_kind:     by_value
    .group_segment_fixed_size: 0
    .kernarg_segment_align: 8
    .kernarg_segment_size: 72
    .language:       OpenCL C
    .language_version:
      - 2
      - 0
    .max_flat_workgroup_size: 128
    .name:           _ZN9rocsparseL19gebsrmvn_4xn_kernelILj128ELj7ELj4EdEEvi20rocsparse_direction_NS_24const_host_device_scalarIT2_EEPKiS6_PKS3_S8_S4_PS3_21rocsparse_index_base_b
    .private_segment_fixed_size: 0
    .sgpr_count:     22
    .sgpr_spill_count: 0
    .symbol:         _ZN9rocsparseL19gebsrmvn_4xn_kernelILj128ELj7ELj4EdEEvi20rocsparse_direction_NS_24const_host_device_scalarIT2_EEPKiS6_PKS3_S8_S4_PS3_21rocsparse_index_base_b.kd
    .uniform_work_group_size: 1
    .uses_dynamic_stack: false
    .vgpr_count:     90
    .vgpr_spill_count: 0
    .wavefront_size: 64
  - .agpr_count:     0
    .args:
      - .offset:         0
        .size:           4
        .value_kind:     by_value
      - .offset:         4
        .size:           4
        .value_kind:     by_value
      - .offset:         8
        .size:           8
        .value_kind:     by_value
      - .actual_access:  read_only
        .address_space:  global
        .offset:         16
        .size:           8
        .value_kind:     global_buffer
      - .actual_access:  read_only
        .address_space:  global
        .offset:         24
        .size:           8
        .value_kind:     global_buffer
      - .actual_access:  read_only
        .address_space:  global
        .offset:         32
        .size:           8
        .value_kind:     global_buffer
      - .actual_access:  read_only
        .address_space:  global
        .offset:         40
        .size:           8
        .value_kind:     global_buffer
      - .offset:         48
        .size:           8
        .value_kind:     by_value
      - .address_space:  global
        .offset:         56
        .size:           8
        .value_kind:     global_buffer
      - .offset:         64
        .size:           4
        .value_kind:     by_value
      - .offset:         68
        .size:           1
        .value_kind:     by_value
    .group_segment_fixed_size: 0
    .kernarg_segment_align: 8
    .kernarg_segment_size: 72
    .language:       OpenCL C
    .language_version:
      - 2
      - 0
    .max_flat_workgroup_size: 128
    .name:           _ZN9rocsparseL19gebsrmvn_4xn_kernelILj128ELj7ELj8EdEEvi20rocsparse_direction_NS_24const_host_device_scalarIT2_EEPKiS6_PKS3_S8_S4_PS3_21rocsparse_index_base_b
    .private_segment_fixed_size: 0
    .sgpr_count:     22
    .sgpr_spill_count: 0
    .symbol:         _ZN9rocsparseL19gebsrmvn_4xn_kernelILj128ELj7ELj8EdEEvi20rocsparse_direction_NS_24const_host_device_scalarIT2_EEPKiS6_PKS3_S8_S4_PS3_21rocsparse_index_base_b.kd
    .uniform_work_group_size: 1
    .uses_dynamic_stack: false
    .vgpr_count:     90
    .vgpr_spill_count: 0
    .wavefront_size: 64
  - .agpr_count:     0
    .args:
      - .offset:         0
        .size:           4
        .value_kind:     by_value
      - .offset:         4
        .size:           4
        .value_kind:     by_value
      - .offset:         8
        .size:           8
        .value_kind:     by_value
      - .actual_access:  read_only
        .address_space:  global
        .offset:         16
        .size:           8
        .value_kind:     global_buffer
      - .actual_access:  read_only
        .address_space:  global
        .offset:         24
        .size:           8
        .value_kind:     global_buffer
      - .actual_access:  read_only
        .address_space:  global
        .offset:         32
        .size:           8
        .value_kind:     global_buffer
      - .actual_access:  read_only
        .address_space:  global
        .offset:         40
        .size:           8
        .value_kind:     global_buffer
      - .offset:         48
        .size:           8
        .value_kind:     by_value
      - .address_space:  global
        .offset:         56
        .size:           8
        .value_kind:     global_buffer
      - .offset:         64
        .size:           4
        .value_kind:     by_value
      - .offset:         68
        .size:           1
        .value_kind:     by_value
    .group_segment_fixed_size: 0
    .kernarg_segment_align: 8
    .kernarg_segment_size: 72
    .language:       OpenCL C
    .language_version:
      - 2
      - 0
    .max_flat_workgroup_size: 128
    .name:           _ZN9rocsparseL19gebsrmvn_4xn_kernelILj128ELj7ELj16EdEEvi20rocsparse_direction_NS_24const_host_device_scalarIT2_EEPKiS6_PKS3_S8_S4_PS3_21rocsparse_index_base_b
    .private_segment_fixed_size: 0
    .sgpr_count:     22
    .sgpr_spill_count: 0
    .symbol:         _ZN9rocsparseL19gebsrmvn_4xn_kernelILj128ELj7ELj16EdEEvi20rocsparse_direction_NS_24const_host_device_scalarIT2_EEPKiS6_PKS3_S8_S4_PS3_21rocsparse_index_base_b.kd
    .uniform_work_group_size: 1
    .uses_dynamic_stack: false
    .vgpr_count:     90
    .vgpr_spill_count: 0
    .wavefront_size: 64
  - .agpr_count:     0
    .args:
      - .offset:         0
        .size:           4
        .value_kind:     by_value
      - .offset:         4
        .size:           4
        .value_kind:     by_value
      - .offset:         8
        .size:           8
        .value_kind:     by_value
      - .actual_access:  read_only
        .address_space:  global
        .offset:         16
        .size:           8
        .value_kind:     global_buffer
      - .actual_access:  read_only
        .address_space:  global
        .offset:         24
        .size:           8
        .value_kind:     global_buffer
      - .actual_access:  read_only
        .address_space:  global
        .offset:         32
        .size:           8
        .value_kind:     global_buffer
      - .actual_access:  read_only
        .address_space:  global
        .offset:         40
        .size:           8
        .value_kind:     global_buffer
      - .offset:         48
        .size:           8
        .value_kind:     by_value
      - .address_space:  global
        .offset:         56
        .size:           8
        .value_kind:     global_buffer
      - .offset:         64
        .size:           4
        .value_kind:     by_value
      - .offset:         68
        .size:           1
        .value_kind:     by_value
    .group_segment_fixed_size: 0
    .kernarg_segment_align: 8
    .kernarg_segment_size: 72
    .language:       OpenCL C
    .language_version:
      - 2
      - 0
    .max_flat_workgroup_size: 128
    .name:           _ZN9rocsparseL19gebsrmvn_4xn_kernelILj128ELj7ELj32EdEEvi20rocsparse_direction_NS_24const_host_device_scalarIT2_EEPKiS6_PKS3_S8_S4_PS3_21rocsparse_index_base_b
    .private_segment_fixed_size: 0
    .sgpr_count:     22
    .sgpr_spill_count: 0
    .symbol:         _ZN9rocsparseL19gebsrmvn_4xn_kernelILj128ELj7ELj32EdEEvi20rocsparse_direction_NS_24const_host_device_scalarIT2_EEPKiS6_PKS3_S8_S4_PS3_21rocsparse_index_base_b.kd
    .uniform_work_group_size: 1
    .uses_dynamic_stack: false
    .vgpr_count:     90
    .vgpr_spill_count: 0
    .wavefront_size: 64
  - .agpr_count:     0
    .args:
      - .offset:         0
        .size:           4
        .value_kind:     by_value
      - .offset:         4
        .size:           4
        .value_kind:     by_value
      - .offset:         8
        .size:           8
        .value_kind:     by_value
      - .actual_access:  read_only
        .address_space:  global
        .offset:         16
        .size:           8
        .value_kind:     global_buffer
      - .actual_access:  read_only
        .address_space:  global
        .offset:         24
        .size:           8
        .value_kind:     global_buffer
      - .actual_access:  read_only
        .address_space:  global
        .offset:         32
        .size:           8
        .value_kind:     global_buffer
      - .actual_access:  read_only
        .address_space:  global
        .offset:         40
        .size:           8
        .value_kind:     global_buffer
      - .offset:         48
        .size:           8
        .value_kind:     by_value
      - .address_space:  global
        .offset:         56
        .size:           8
        .value_kind:     global_buffer
      - .offset:         64
        .size:           4
        .value_kind:     by_value
      - .offset:         68
        .size:           1
        .value_kind:     by_value
    .group_segment_fixed_size: 0
    .kernarg_segment_align: 8
    .kernarg_segment_size: 72
    .language:       OpenCL C
    .language_version:
      - 2
      - 0
    .max_flat_workgroup_size: 128
    .name:           _ZN9rocsparseL19gebsrmvn_4xn_kernelILj128ELj7ELj64EdEEvi20rocsparse_direction_NS_24const_host_device_scalarIT2_EEPKiS6_PKS3_S8_S4_PS3_21rocsparse_index_base_b
    .private_segment_fixed_size: 0
    .sgpr_count:     22
    .sgpr_spill_count: 0
    .symbol:         _ZN9rocsparseL19gebsrmvn_4xn_kernelILj128ELj7ELj64EdEEvi20rocsparse_direction_NS_24const_host_device_scalarIT2_EEPKiS6_PKS3_S8_S4_PS3_21rocsparse_index_base_b.kd
    .uniform_work_group_size: 1
    .uses_dynamic_stack: false
    .vgpr_count:     90
    .vgpr_spill_count: 0
    .wavefront_size: 64
  - .agpr_count:     0
    .args:
      - .offset:         0
        .size:           4
        .value_kind:     by_value
      - .offset:         4
        .size:           4
        .value_kind:     by_value
      - .offset:         8
        .size:           8
        .value_kind:     by_value
      - .actual_access:  read_only
        .address_space:  global
        .offset:         16
        .size:           8
        .value_kind:     global_buffer
      - .actual_access:  read_only
        .address_space:  global
        .offset:         24
        .size:           8
        .value_kind:     global_buffer
      - .actual_access:  read_only
        .address_space:  global
        .offset:         32
        .size:           8
        .value_kind:     global_buffer
      - .actual_access:  read_only
        .address_space:  global
        .offset:         40
        .size:           8
        .value_kind:     global_buffer
      - .offset:         48
        .size:           8
        .value_kind:     by_value
      - .address_space:  global
        .offset:         56
        .size:           8
        .value_kind:     global_buffer
      - .offset:         64
        .size:           4
        .value_kind:     by_value
      - .offset:         68
        .size:           1
        .value_kind:     by_value
    .group_segment_fixed_size: 0
    .kernarg_segment_align: 8
    .kernarg_segment_size: 72
    .language:       OpenCL C
    .language_version:
      - 2
      - 0
    .max_flat_workgroup_size: 128
    .name:           _ZN9rocsparseL19gebsrmvn_4xn_kernelILj128ELj8ELj4EdEEvi20rocsparse_direction_NS_24const_host_device_scalarIT2_EEPKiS6_PKS3_S8_S4_PS3_21rocsparse_index_base_b
    .private_segment_fixed_size: 0
    .sgpr_count:     22
    .sgpr_spill_count: 0
    .symbol:         _ZN9rocsparseL19gebsrmvn_4xn_kernelILj128ELj8ELj4EdEEvi20rocsparse_direction_NS_24const_host_device_scalarIT2_EEPKiS6_PKS3_S8_S4_PS3_21rocsparse_index_base_b.kd
    .uniform_work_group_size: 1
    .uses_dynamic_stack: false
    .vgpr_count:     86
    .vgpr_spill_count: 0
    .wavefront_size: 64
  - .agpr_count:     0
    .args:
      - .offset:         0
        .size:           4
        .value_kind:     by_value
      - .offset:         4
        .size:           4
        .value_kind:     by_value
      - .offset:         8
        .size:           8
        .value_kind:     by_value
      - .actual_access:  read_only
        .address_space:  global
        .offset:         16
        .size:           8
        .value_kind:     global_buffer
      - .actual_access:  read_only
        .address_space:  global
        .offset:         24
        .size:           8
        .value_kind:     global_buffer
      - .actual_access:  read_only
        .address_space:  global
        .offset:         32
        .size:           8
        .value_kind:     global_buffer
      - .actual_access:  read_only
        .address_space:  global
        .offset:         40
        .size:           8
        .value_kind:     global_buffer
      - .offset:         48
        .size:           8
        .value_kind:     by_value
      - .address_space:  global
        .offset:         56
        .size:           8
        .value_kind:     global_buffer
      - .offset:         64
        .size:           4
        .value_kind:     by_value
      - .offset:         68
        .size:           1
        .value_kind:     by_value
    .group_segment_fixed_size: 0
    .kernarg_segment_align: 8
    .kernarg_segment_size: 72
    .language:       OpenCL C
    .language_version:
      - 2
      - 0
    .max_flat_workgroup_size: 128
    .name:           _ZN9rocsparseL19gebsrmvn_4xn_kernelILj128ELj8ELj8EdEEvi20rocsparse_direction_NS_24const_host_device_scalarIT2_EEPKiS6_PKS3_S8_S4_PS3_21rocsparse_index_base_b
    .private_segment_fixed_size: 0
    .sgpr_count:     22
    .sgpr_spill_count: 0
    .symbol:         _ZN9rocsparseL19gebsrmvn_4xn_kernelILj128ELj8ELj8EdEEvi20rocsparse_direction_NS_24const_host_device_scalarIT2_EEPKiS6_PKS3_S8_S4_PS3_21rocsparse_index_base_b.kd
    .uniform_work_group_size: 1
    .uses_dynamic_stack: false
    .vgpr_count:     86
    .vgpr_spill_count: 0
    .wavefront_size: 64
  - .agpr_count:     0
    .args:
      - .offset:         0
        .size:           4
        .value_kind:     by_value
      - .offset:         4
        .size:           4
        .value_kind:     by_value
      - .offset:         8
        .size:           8
        .value_kind:     by_value
      - .actual_access:  read_only
        .address_space:  global
        .offset:         16
        .size:           8
        .value_kind:     global_buffer
      - .actual_access:  read_only
        .address_space:  global
        .offset:         24
        .size:           8
        .value_kind:     global_buffer
      - .actual_access:  read_only
        .address_space:  global
        .offset:         32
        .size:           8
        .value_kind:     global_buffer
      - .actual_access:  read_only
        .address_space:  global
        .offset:         40
        .size:           8
        .value_kind:     global_buffer
      - .offset:         48
        .size:           8
        .value_kind:     by_value
      - .address_space:  global
        .offset:         56
        .size:           8
        .value_kind:     global_buffer
      - .offset:         64
        .size:           4
        .value_kind:     by_value
      - .offset:         68
        .size:           1
        .value_kind:     by_value
    .group_segment_fixed_size: 0
    .kernarg_segment_align: 8
    .kernarg_segment_size: 72
    .language:       OpenCL C
    .language_version:
      - 2
      - 0
    .max_flat_workgroup_size: 128
    .name:           _ZN9rocsparseL19gebsrmvn_4xn_kernelILj128ELj8ELj16EdEEvi20rocsparse_direction_NS_24const_host_device_scalarIT2_EEPKiS6_PKS3_S8_S4_PS3_21rocsparse_index_base_b
    .private_segment_fixed_size: 0
    .sgpr_count:     22
    .sgpr_spill_count: 0
    .symbol:         _ZN9rocsparseL19gebsrmvn_4xn_kernelILj128ELj8ELj16EdEEvi20rocsparse_direction_NS_24const_host_device_scalarIT2_EEPKiS6_PKS3_S8_S4_PS3_21rocsparse_index_base_b.kd
    .uniform_work_group_size: 1
    .uses_dynamic_stack: false
    .vgpr_count:     86
    .vgpr_spill_count: 0
    .wavefront_size: 64
  - .agpr_count:     0
    .args:
      - .offset:         0
        .size:           4
        .value_kind:     by_value
      - .offset:         4
        .size:           4
        .value_kind:     by_value
      - .offset:         8
        .size:           8
        .value_kind:     by_value
      - .actual_access:  read_only
        .address_space:  global
        .offset:         16
        .size:           8
        .value_kind:     global_buffer
      - .actual_access:  read_only
        .address_space:  global
        .offset:         24
        .size:           8
        .value_kind:     global_buffer
      - .actual_access:  read_only
        .address_space:  global
        .offset:         32
        .size:           8
        .value_kind:     global_buffer
      - .actual_access:  read_only
        .address_space:  global
        .offset:         40
        .size:           8
        .value_kind:     global_buffer
      - .offset:         48
        .size:           8
        .value_kind:     by_value
      - .address_space:  global
        .offset:         56
        .size:           8
        .value_kind:     global_buffer
      - .offset:         64
        .size:           4
        .value_kind:     by_value
      - .offset:         68
        .size:           1
        .value_kind:     by_value
    .group_segment_fixed_size: 0
    .kernarg_segment_align: 8
    .kernarg_segment_size: 72
    .language:       OpenCL C
    .language_version:
      - 2
      - 0
    .max_flat_workgroup_size: 128
    .name:           _ZN9rocsparseL19gebsrmvn_4xn_kernelILj128ELj8ELj32EdEEvi20rocsparse_direction_NS_24const_host_device_scalarIT2_EEPKiS6_PKS3_S8_S4_PS3_21rocsparse_index_base_b
    .private_segment_fixed_size: 0
    .sgpr_count:     22
    .sgpr_spill_count: 0
    .symbol:         _ZN9rocsparseL19gebsrmvn_4xn_kernelILj128ELj8ELj32EdEEvi20rocsparse_direction_NS_24const_host_device_scalarIT2_EEPKiS6_PKS3_S8_S4_PS3_21rocsparse_index_base_b.kd
    .uniform_work_group_size: 1
    .uses_dynamic_stack: false
    .vgpr_count:     86
    .vgpr_spill_count: 0
    .wavefront_size: 64
  - .agpr_count:     0
    .args:
      - .offset:         0
        .size:           4
        .value_kind:     by_value
      - .offset:         4
        .size:           4
        .value_kind:     by_value
      - .offset:         8
        .size:           8
        .value_kind:     by_value
      - .actual_access:  read_only
        .address_space:  global
        .offset:         16
        .size:           8
        .value_kind:     global_buffer
      - .actual_access:  read_only
        .address_space:  global
        .offset:         24
        .size:           8
        .value_kind:     global_buffer
      - .actual_access:  read_only
        .address_space:  global
        .offset:         32
        .size:           8
        .value_kind:     global_buffer
      - .actual_access:  read_only
        .address_space:  global
        .offset:         40
        .size:           8
        .value_kind:     global_buffer
      - .offset:         48
        .size:           8
        .value_kind:     by_value
      - .address_space:  global
        .offset:         56
        .size:           8
        .value_kind:     global_buffer
      - .offset:         64
        .size:           4
        .value_kind:     by_value
      - .offset:         68
        .size:           1
        .value_kind:     by_value
    .group_segment_fixed_size: 0
    .kernarg_segment_align: 8
    .kernarg_segment_size: 72
    .language:       OpenCL C
    .language_version:
      - 2
      - 0
    .max_flat_workgroup_size: 128
    .name:           _ZN9rocsparseL19gebsrmvn_4xn_kernelILj128ELj8ELj64EdEEvi20rocsparse_direction_NS_24const_host_device_scalarIT2_EEPKiS6_PKS3_S8_S4_PS3_21rocsparse_index_base_b
    .private_segment_fixed_size: 0
    .sgpr_count:     22
    .sgpr_spill_count: 0
    .symbol:         _ZN9rocsparseL19gebsrmvn_4xn_kernelILj128ELj8ELj64EdEEvi20rocsparse_direction_NS_24const_host_device_scalarIT2_EEPKiS6_PKS3_S8_S4_PS3_21rocsparse_index_base_b.kd
    .uniform_work_group_size: 1
    .uses_dynamic_stack: false
    .vgpr_count:     86
    .vgpr_spill_count: 0
    .wavefront_size: 64
  - .agpr_count:     0
    .args:
      - .offset:         0
        .size:           4
        .value_kind:     by_value
      - .offset:         4
        .size:           4
        .value_kind:     by_value
      - .offset:         8
        .size:           8
        .value_kind:     by_value
      - .actual_access:  read_only
        .address_space:  global
        .offset:         16
        .size:           8
        .value_kind:     global_buffer
      - .actual_access:  read_only
        .address_space:  global
        .offset:         24
        .size:           8
        .value_kind:     global_buffer
      - .actual_access:  read_only
        .address_space:  global
        .offset:         32
        .size:           8
        .value_kind:     global_buffer
      - .offset:         40
        .size:           4
        .value_kind:     by_value
      - .offset:         44
        .size:           4
        .value_kind:     by_value
      - .actual_access:  read_only
        .address_space:  global
        .offset:         48
        .size:           8
        .value_kind:     global_buffer
      - .offset:         56
        .size:           8
        .value_kind:     by_value
      - .address_space:  global
        .offset:         64
        .size:           8
        .value_kind:     global_buffer
      - .offset:         72
        .size:           4
        .value_kind:     by_value
      - .offset:         76
        .size:           1
        .value_kind:     by_value
    .group_segment_fixed_size: 0
    .kernarg_segment_align: 8
    .kernarg_segment_size: 80
    .language:       OpenCL C
    .language_version:
      - 2
      - 0
    .max_flat_workgroup_size: 64
    .name:           _ZN9rocsparseL23gebsrmvn_general_kernelILj64ELj16EdEEvi20rocsparse_direction_NS_24const_host_device_scalarIT1_EEPKiS6_PKS3_iiS8_S4_PS3_21rocsparse_index_base_b
    .private_segment_fixed_size: 0
    .sgpr_count:     44
    .sgpr_spill_count: 0
    .symbol:         _ZN9rocsparseL23gebsrmvn_general_kernelILj64ELj16EdEEvi20rocsparse_direction_NS_24const_host_device_scalarIT1_EEPKiS6_PKS3_iiS8_S4_PS3_21rocsparse_index_base_b.kd
    .uniform_work_group_size: 1
    .uses_dynamic_stack: false
    .vgpr_count:     16
    .vgpr_spill_count: 0
    .wavefront_size: 64
  - .agpr_count:     0
    .args:
      - .offset:         0
        .size:           4
        .value_kind:     by_value
      - .offset:         4
        .size:           4
        .value_kind:     by_value
      - .offset:         8
        .size:           8
        .value_kind:     by_value
      - .actual_access:  read_only
        .address_space:  global
        .offset:         16
        .size:           8
        .value_kind:     global_buffer
      - .actual_access:  read_only
        .address_space:  global
        .offset:         24
        .size:           8
        .value_kind:     global_buffer
      - .actual_access:  read_only
        .address_space:  global
        .offset:         32
        .size:           8
        .value_kind:     global_buffer
      - .offset:         40
        .size:           4
        .value_kind:     by_value
      - .offset:         44
        .size:           4
        .value_kind:     by_value
      - .actual_access:  read_only
        .address_space:  global
        .offset:         48
        .size:           8
        .value_kind:     global_buffer
      - .offset:         56
        .size:           8
        .value_kind:     by_value
      - .address_space:  global
        .offset:         64
        .size:           8
        .value_kind:     global_buffer
      - .offset:         72
        .size:           4
        .value_kind:     by_value
      - .offset:         76
        .size:           1
        .value_kind:     by_value
    .group_segment_fixed_size: 0
    .kernarg_segment_align: 8
    .kernarg_segment_size: 80
    .language:       OpenCL C
    .language_version:
      - 2
      - 0
    .max_flat_workgroup_size: 128
    .name:           _ZN9rocsparseL23gebsrmvn_general_kernelILj128ELj32EdEEvi20rocsparse_direction_NS_24const_host_device_scalarIT1_EEPKiS6_PKS3_iiS8_S4_PS3_21rocsparse_index_base_b
    .private_segment_fixed_size: 0
    .sgpr_count:     44
    .sgpr_spill_count: 0
    .symbol:         _ZN9rocsparseL23gebsrmvn_general_kernelILj128ELj32EdEEvi20rocsparse_direction_NS_24const_host_device_scalarIT1_EEPKiS6_PKS3_iiS8_S4_PS3_21rocsparse_index_base_b.kd
    .uniform_work_group_size: 1
    .uses_dynamic_stack: false
    .vgpr_count:     16
    .vgpr_spill_count: 0
    .wavefront_size: 64
  - .agpr_count:     0
    .args:
      - .offset:         0
        .size:           4
        .value_kind:     by_value
      - .offset:         4
        .size:           4
        .value_kind:     by_value
      - .offset:         8
        .size:           8
        .value_kind:     by_value
      - .actual_access:  read_only
        .address_space:  global
        .offset:         16
        .size:           8
        .value_kind:     global_buffer
      - .actual_access:  read_only
        .address_space:  global
        .offset:         24
        .size:           8
        .value_kind:     global_buffer
      - .actual_access:  read_only
        .address_space:  global
        .offset:         32
        .size:           8
        .value_kind:     global_buffer
      - .actual_access:  read_only
        .address_space:  global
        .offset:         40
        .size:           8
        .value_kind:     global_buffer
      - .offset:         48
        .size:           8
        .value_kind:     by_value
      - .address_space:  global
        .offset:         56
        .size:           8
        .value_kind:     global_buffer
      - .offset:         64
        .size:           4
        .value_kind:     by_value
      - .offset:         68
        .size:           1
        .value_kind:     by_value
    .group_segment_fixed_size: 0
    .kernarg_segment_align: 8
    .kernarg_segment_size: 72
    .language:       OpenCL C
    .language_version:
      - 2
      - 0
    .max_flat_workgroup_size: 128
    .name:           _ZN9rocsparseL19gebsrmvn_4xn_kernelILj128ELj1ELj4E21rocsparse_complex_numIfEEEvi20rocsparse_direction_NS_24const_host_device_scalarIT2_EEPKiS8_PKS5_SA_S6_PS5_21rocsparse_index_base_b
    .private_segment_fixed_size: 0
    .sgpr_count:     22
    .sgpr_spill_count: 0
    .symbol:         _ZN9rocsparseL19gebsrmvn_4xn_kernelILj128ELj1ELj4E21rocsparse_complex_numIfEEEvi20rocsparse_direction_NS_24const_host_device_scalarIT2_EEPKiS8_PKS5_SA_S6_PS5_21rocsparse_index_base_b.kd
    .uniform_work_group_size: 1
    .uses_dynamic_stack: false
    .vgpr_count:     36
    .vgpr_spill_count: 0
    .wavefront_size: 64
  - .agpr_count:     0
    .args:
      - .offset:         0
        .size:           4
        .value_kind:     by_value
      - .offset:         4
        .size:           4
        .value_kind:     by_value
      - .offset:         8
        .size:           8
        .value_kind:     by_value
      - .actual_access:  read_only
        .address_space:  global
        .offset:         16
        .size:           8
        .value_kind:     global_buffer
      - .actual_access:  read_only
        .address_space:  global
        .offset:         24
        .size:           8
        .value_kind:     global_buffer
      - .actual_access:  read_only
        .address_space:  global
        .offset:         32
        .size:           8
        .value_kind:     global_buffer
      - .actual_access:  read_only
        .address_space:  global
        .offset:         40
        .size:           8
        .value_kind:     global_buffer
      - .offset:         48
        .size:           8
        .value_kind:     by_value
      - .address_space:  global
        .offset:         56
        .size:           8
        .value_kind:     global_buffer
      - .offset:         64
        .size:           4
        .value_kind:     by_value
      - .offset:         68
        .size:           1
        .value_kind:     by_value
    .group_segment_fixed_size: 0
    .kernarg_segment_align: 8
    .kernarg_segment_size: 72
    .language:       OpenCL C
    .language_version:
      - 2
      - 0
    .max_flat_workgroup_size: 128
    .name:           _ZN9rocsparseL19gebsrmvn_4xn_kernelILj128ELj1ELj8E21rocsparse_complex_numIfEEEvi20rocsparse_direction_NS_24const_host_device_scalarIT2_EEPKiS8_PKS5_SA_S6_PS5_21rocsparse_index_base_b
    .private_segment_fixed_size: 0
    .sgpr_count:     22
    .sgpr_spill_count: 0
    .symbol:         _ZN9rocsparseL19gebsrmvn_4xn_kernelILj128ELj1ELj8E21rocsparse_complex_numIfEEEvi20rocsparse_direction_NS_24const_host_device_scalarIT2_EEPKiS8_PKS5_SA_S6_PS5_21rocsparse_index_base_b.kd
    .uniform_work_group_size: 1
    .uses_dynamic_stack: false
    .vgpr_count:     36
    .vgpr_spill_count: 0
    .wavefront_size: 64
  - .agpr_count:     0
    .args:
      - .offset:         0
        .size:           4
        .value_kind:     by_value
      - .offset:         4
        .size:           4
        .value_kind:     by_value
      - .offset:         8
        .size:           8
        .value_kind:     by_value
      - .actual_access:  read_only
        .address_space:  global
        .offset:         16
        .size:           8
        .value_kind:     global_buffer
      - .actual_access:  read_only
        .address_space:  global
        .offset:         24
        .size:           8
        .value_kind:     global_buffer
      - .actual_access:  read_only
        .address_space:  global
        .offset:         32
        .size:           8
        .value_kind:     global_buffer
      - .actual_access:  read_only
        .address_space:  global
        .offset:         40
        .size:           8
        .value_kind:     global_buffer
      - .offset:         48
        .size:           8
        .value_kind:     by_value
      - .address_space:  global
        .offset:         56
        .size:           8
        .value_kind:     global_buffer
      - .offset:         64
        .size:           4
        .value_kind:     by_value
      - .offset:         68
        .size:           1
        .value_kind:     by_value
    .group_segment_fixed_size: 0
    .kernarg_segment_align: 8
    .kernarg_segment_size: 72
    .language:       OpenCL C
    .language_version:
      - 2
      - 0
    .max_flat_workgroup_size: 128
    .name:           _ZN9rocsparseL19gebsrmvn_4xn_kernelILj128ELj1ELj16E21rocsparse_complex_numIfEEEvi20rocsparse_direction_NS_24const_host_device_scalarIT2_EEPKiS8_PKS5_SA_S6_PS5_21rocsparse_index_base_b
    .private_segment_fixed_size: 0
    .sgpr_count:     22
    .sgpr_spill_count: 0
    .symbol:         _ZN9rocsparseL19gebsrmvn_4xn_kernelILj128ELj1ELj16E21rocsparse_complex_numIfEEEvi20rocsparse_direction_NS_24const_host_device_scalarIT2_EEPKiS8_PKS5_SA_S6_PS5_21rocsparse_index_base_b.kd
    .uniform_work_group_size: 1
    .uses_dynamic_stack: false
    .vgpr_count:     36
    .vgpr_spill_count: 0
    .wavefront_size: 64
  - .agpr_count:     0
    .args:
      - .offset:         0
        .size:           4
        .value_kind:     by_value
      - .offset:         4
        .size:           4
        .value_kind:     by_value
      - .offset:         8
        .size:           8
        .value_kind:     by_value
      - .actual_access:  read_only
        .address_space:  global
        .offset:         16
        .size:           8
        .value_kind:     global_buffer
      - .actual_access:  read_only
        .address_space:  global
        .offset:         24
        .size:           8
        .value_kind:     global_buffer
      - .actual_access:  read_only
        .address_space:  global
        .offset:         32
        .size:           8
        .value_kind:     global_buffer
      - .actual_access:  read_only
        .address_space:  global
        .offset:         40
        .size:           8
        .value_kind:     global_buffer
      - .offset:         48
        .size:           8
        .value_kind:     by_value
      - .address_space:  global
        .offset:         56
        .size:           8
        .value_kind:     global_buffer
      - .offset:         64
        .size:           4
        .value_kind:     by_value
      - .offset:         68
        .size:           1
        .value_kind:     by_value
    .group_segment_fixed_size: 0
    .kernarg_segment_align: 8
    .kernarg_segment_size: 72
    .language:       OpenCL C
    .language_version:
      - 2
      - 0
    .max_flat_workgroup_size: 128
    .name:           _ZN9rocsparseL19gebsrmvn_4xn_kernelILj128ELj1ELj32E21rocsparse_complex_numIfEEEvi20rocsparse_direction_NS_24const_host_device_scalarIT2_EEPKiS8_PKS5_SA_S6_PS5_21rocsparse_index_base_b
    .private_segment_fixed_size: 0
    .sgpr_count:     22
    .sgpr_spill_count: 0
    .symbol:         _ZN9rocsparseL19gebsrmvn_4xn_kernelILj128ELj1ELj32E21rocsparse_complex_numIfEEEvi20rocsparse_direction_NS_24const_host_device_scalarIT2_EEPKiS8_PKS5_SA_S6_PS5_21rocsparse_index_base_b.kd
    .uniform_work_group_size: 1
    .uses_dynamic_stack: false
    .vgpr_count:     36
    .vgpr_spill_count: 0
    .wavefront_size: 64
  - .agpr_count:     0
    .args:
      - .offset:         0
        .size:           4
        .value_kind:     by_value
      - .offset:         4
        .size:           4
        .value_kind:     by_value
      - .offset:         8
        .size:           8
        .value_kind:     by_value
      - .actual_access:  read_only
        .address_space:  global
        .offset:         16
        .size:           8
        .value_kind:     global_buffer
      - .actual_access:  read_only
        .address_space:  global
        .offset:         24
        .size:           8
        .value_kind:     global_buffer
      - .actual_access:  read_only
        .address_space:  global
        .offset:         32
        .size:           8
        .value_kind:     global_buffer
      - .actual_access:  read_only
        .address_space:  global
        .offset:         40
        .size:           8
        .value_kind:     global_buffer
      - .offset:         48
        .size:           8
        .value_kind:     by_value
      - .address_space:  global
        .offset:         56
        .size:           8
        .value_kind:     global_buffer
      - .offset:         64
        .size:           4
        .value_kind:     by_value
      - .offset:         68
        .size:           1
        .value_kind:     by_value
    .group_segment_fixed_size: 0
    .kernarg_segment_align: 8
    .kernarg_segment_size: 72
    .language:       OpenCL C
    .language_version:
      - 2
      - 0
    .max_flat_workgroup_size: 128
    .name:           _ZN9rocsparseL19gebsrmvn_4xn_kernelILj128ELj1ELj64E21rocsparse_complex_numIfEEEvi20rocsparse_direction_NS_24const_host_device_scalarIT2_EEPKiS8_PKS5_SA_S6_PS5_21rocsparse_index_base_b
    .private_segment_fixed_size: 0
    .sgpr_count:     22
    .sgpr_spill_count: 0
    .symbol:         _ZN9rocsparseL19gebsrmvn_4xn_kernelILj128ELj1ELj64E21rocsparse_complex_numIfEEEvi20rocsparse_direction_NS_24const_host_device_scalarIT2_EEPKiS8_PKS5_SA_S6_PS5_21rocsparse_index_base_b.kd
    .uniform_work_group_size: 1
    .uses_dynamic_stack: false
    .vgpr_count:     36
    .vgpr_spill_count: 0
    .wavefront_size: 64
  - .agpr_count:     0
    .args:
      - .offset:         0
        .size:           4
        .value_kind:     by_value
      - .offset:         4
        .size:           4
        .value_kind:     by_value
      - .offset:         8
        .size:           8
        .value_kind:     by_value
      - .actual_access:  read_only
        .address_space:  global
        .offset:         16
        .size:           8
        .value_kind:     global_buffer
      - .actual_access:  read_only
        .address_space:  global
        .offset:         24
        .size:           8
        .value_kind:     global_buffer
      - .actual_access:  read_only
        .address_space:  global
        .offset:         32
        .size:           8
        .value_kind:     global_buffer
      - .actual_access:  read_only
        .address_space:  global
        .offset:         40
        .size:           8
        .value_kind:     global_buffer
      - .offset:         48
        .size:           8
        .value_kind:     by_value
      - .address_space:  global
        .offset:         56
        .size:           8
        .value_kind:     global_buffer
      - .offset:         64
        .size:           4
        .value_kind:     by_value
      - .offset:         68
        .size:           1
        .value_kind:     by_value
    .group_segment_fixed_size: 0
    .kernarg_segment_align: 8
    .kernarg_segment_size: 72
    .language:       OpenCL C
    .language_version:
      - 2
      - 0
    .max_flat_workgroup_size: 128
    .name:           _ZN9rocsparseL19gebsrmvn_4xn_kernelILj128ELj2ELj4E21rocsparse_complex_numIfEEEvi20rocsparse_direction_NS_24const_host_device_scalarIT2_EEPKiS8_PKS5_SA_S6_PS5_21rocsparse_index_base_b
    .private_segment_fixed_size: 0
    .sgpr_count:     22
    .sgpr_spill_count: 0
    .symbol:         _ZN9rocsparseL19gebsrmvn_4xn_kernelILj128ELj2ELj4E21rocsparse_complex_numIfEEEvi20rocsparse_direction_NS_24const_host_device_scalarIT2_EEPKiS8_PKS5_SA_S6_PS5_21rocsparse_index_base_b.kd
    .uniform_work_group_size: 1
    .uses_dynamic_stack: false
    .vgpr_count:     52
    .vgpr_spill_count: 0
    .wavefront_size: 64
  - .agpr_count:     0
    .args:
      - .offset:         0
        .size:           4
        .value_kind:     by_value
      - .offset:         4
        .size:           4
        .value_kind:     by_value
      - .offset:         8
        .size:           8
        .value_kind:     by_value
      - .actual_access:  read_only
        .address_space:  global
        .offset:         16
        .size:           8
        .value_kind:     global_buffer
      - .actual_access:  read_only
        .address_space:  global
        .offset:         24
        .size:           8
        .value_kind:     global_buffer
      - .actual_access:  read_only
        .address_space:  global
        .offset:         32
        .size:           8
        .value_kind:     global_buffer
      - .actual_access:  read_only
        .address_space:  global
        .offset:         40
        .size:           8
        .value_kind:     global_buffer
      - .offset:         48
        .size:           8
        .value_kind:     by_value
      - .address_space:  global
        .offset:         56
        .size:           8
        .value_kind:     global_buffer
      - .offset:         64
        .size:           4
        .value_kind:     by_value
      - .offset:         68
        .size:           1
        .value_kind:     by_value
    .group_segment_fixed_size: 0
    .kernarg_segment_align: 8
    .kernarg_segment_size: 72
    .language:       OpenCL C
    .language_version:
      - 2
      - 0
    .max_flat_workgroup_size: 128
    .name:           _ZN9rocsparseL19gebsrmvn_4xn_kernelILj128ELj2ELj8E21rocsparse_complex_numIfEEEvi20rocsparse_direction_NS_24const_host_device_scalarIT2_EEPKiS8_PKS5_SA_S6_PS5_21rocsparse_index_base_b
    .private_segment_fixed_size: 0
    .sgpr_count:     22
    .sgpr_spill_count: 0
    .symbol:         _ZN9rocsparseL19gebsrmvn_4xn_kernelILj128ELj2ELj8E21rocsparse_complex_numIfEEEvi20rocsparse_direction_NS_24const_host_device_scalarIT2_EEPKiS8_PKS5_SA_S6_PS5_21rocsparse_index_base_b.kd
    .uniform_work_group_size: 1
    .uses_dynamic_stack: false
    .vgpr_count:     52
    .vgpr_spill_count: 0
    .wavefront_size: 64
  - .agpr_count:     0
    .args:
      - .offset:         0
        .size:           4
        .value_kind:     by_value
      - .offset:         4
        .size:           4
        .value_kind:     by_value
      - .offset:         8
        .size:           8
        .value_kind:     by_value
      - .actual_access:  read_only
        .address_space:  global
        .offset:         16
        .size:           8
        .value_kind:     global_buffer
      - .actual_access:  read_only
        .address_space:  global
        .offset:         24
        .size:           8
        .value_kind:     global_buffer
      - .actual_access:  read_only
        .address_space:  global
        .offset:         32
        .size:           8
        .value_kind:     global_buffer
      - .actual_access:  read_only
        .address_space:  global
        .offset:         40
        .size:           8
        .value_kind:     global_buffer
      - .offset:         48
        .size:           8
        .value_kind:     by_value
      - .address_space:  global
        .offset:         56
        .size:           8
        .value_kind:     global_buffer
      - .offset:         64
        .size:           4
        .value_kind:     by_value
      - .offset:         68
        .size:           1
        .value_kind:     by_value
    .group_segment_fixed_size: 0
    .kernarg_segment_align: 8
    .kernarg_segment_size: 72
    .language:       OpenCL C
    .language_version:
      - 2
      - 0
    .max_flat_workgroup_size: 128
    .name:           _ZN9rocsparseL19gebsrmvn_4xn_kernelILj128ELj2ELj16E21rocsparse_complex_numIfEEEvi20rocsparse_direction_NS_24const_host_device_scalarIT2_EEPKiS8_PKS5_SA_S6_PS5_21rocsparse_index_base_b
    .private_segment_fixed_size: 0
    .sgpr_count:     22
    .sgpr_spill_count: 0
    .symbol:         _ZN9rocsparseL19gebsrmvn_4xn_kernelILj128ELj2ELj16E21rocsparse_complex_numIfEEEvi20rocsparse_direction_NS_24const_host_device_scalarIT2_EEPKiS8_PKS5_SA_S6_PS5_21rocsparse_index_base_b.kd
    .uniform_work_group_size: 1
    .uses_dynamic_stack: false
    .vgpr_count:     52
    .vgpr_spill_count: 0
    .wavefront_size: 64
  - .agpr_count:     0
    .args:
      - .offset:         0
        .size:           4
        .value_kind:     by_value
      - .offset:         4
        .size:           4
        .value_kind:     by_value
      - .offset:         8
        .size:           8
        .value_kind:     by_value
      - .actual_access:  read_only
        .address_space:  global
        .offset:         16
        .size:           8
        .value_kind:     global_buffer
      - .actual_access:  read_only
        .address_space:  global
        .offset:         24
        .size:           8
        .value_kind:     global_buffer
      - .actual_access:  read_only
        .address_space:  global
        .offset:         32
        .size:           8
        .value_kind:     global_buffer
      - .actual_access:  read_only
        .address_space:  global
        .offset:         40
        .size:           8
        .value_kind:     global_buffer
      - .offset:         48
        .size:           8
        .value_kind:     by_value
      - .address_space:  global
        .offset:         56
        .size:           8
        .value_kind:     global_buffer
      - .offset:         64
        .size:           4
        .value_kind:     by_value
      - .offset:         68
        .size:           1
        .value_kind:     by_value
    .group_segment_fixed_size: 0
    .kernarg_segment_align: 8
    .kernarg_segment_size: 72
    .language:       OpenCL C
    .language_version:
      - 2
      - 0
    .max_flat_workgroup_size: 128
    .name:           _ZN9rocsparseL19gebsrmvn_4xn_kernelILj128ELj2ELj32E21rocsparse_complex_numIfEEEvi20rocsparse_direction_NS_24const_host_device_scalarIT2_EEPKiS8_PKS5_SA_S6_PS5_21rocsparse_index_base_b
    .private_segment_fixed_size: 0
    .sgpr_count:     22
    .sgpr_spill_count: 0
    .symbol:         _ZN9rocsparseL19gebsrmvn_4xn_kernelILj128ELj2ELj32E21rocsparse_complex_numIfEEEvi20rocsparse_direction_NS_24const_host_device_scalarIT2_EEPKiS8_PKS5_SA_S6_PS5_21rocsparse_index_base_b.kd
    .uniform_work_group_size: 1
    .uses_dynamic_stack: false
    .vgpr_count:     52
    .vgpr_spill_count: 0
    .wavefront_size: 64
  - .agpr_count:     0
    .args:
      - .offset:         0
        .size:           4
        .value_kind:     by_value
      - .offset:         4
        .size:           4
        .value_kind:     by_value
      - .offset:         8
        .size:           8
        .value_kind:     by_value
      - .actual_access:  read_only
        .address_space:  global
        .offset:         16
        .size:           8
        .value_kind:     global_buffer
      - .actual_access:  read_only
        .address_space:  global
        .offset:         24
        .size:           8
        .value_kind:     global_buffer
      - .actual_access:  read_only
        .address_space:  global
        .offset:         32
        .size:           8
        .value_kind:     global_buffer
      - .actual_access:  read_only
        .address_space:  global
        .offset:         40
        .size:           8
        .value_kind:     global_buffer
      - .offset:         48
        .size:           8
        .value_kind:     by_value
      - .address_space:  global
        .offset:         56
        .size:           8
        .value_kind:     global_buffer
      - .offset:         64
        .size:           4
        .value_kind:     by_value
      - .offset:         68
        .size:           1
        .value_kind:     by_value
    .group_segment_fixed_size: 0
    .kernarg_segment_align: 8
    .kernarg_segment_size: 72
    .language:       OpenCL C
    .language_version:
      - 2
      - 0
    .max_flat_workgroup_size: 128
    .name:           _ZN9rocsparseL19gebsrmvn_4xn_kernelILj128ELj2ELj64E21rocsparse_complex_numIfEEEvi20rocsparse_direction_NS_24const_host_device_scalarIT2_EEPKiS8_PKS5_SA_S6_PS5_21rocsparse_index_base_b
    .private_segment_fixed_size: 0
    .sgpr_count:     22
    .sgpr_spill_count: 0
    .symbol:         _ZN9rocsparseL19gebsrmvn_4xn_kernelILj128ELj2ELj64E21rocsparse_complex_numIfEEEvi20rocsparse_direction_NS_24const_host_device_scalarIT2_EEPKiS8_PKS5_SA_S6_PS5_21rocsparse_index_base_b.kd
    .uniform_work_group_size: 1
    .uses_dynamic_stack: false
    .vgpr_count:     52
    .vgpr_spill_count: 0
    .wavefront_size: 64
  - .agpr_count:     0
    .args:
      - .offset:         0
        .size:           4
        .value_kind:     by_value
      - .offset:         4
        .size:           4
        .value_kind:     by_value
      - .offset:         8
        .size:           8
        .value_kind:     by_value
      - .actual_access:  read_only
        .address_space:  global
        .offset:         16
        .size:           8
        .value_kind:     global_buffer
      - .actual_access:  read_only
        .address_space:  global
        .offset:         24
        .size:           8
        .value_kind:     global_buffer
      - .actual_access:  read_only
        .address_space:  global
        .offset:         32
        .size:           8
        .value_kind:     global_buffer
      - .actual_access:  read_only
        .address_space:  global
        .offset:         40
        .size:           8
        .value_kind:     global_buffer
      - .offset:         48
        .size:           8
        .value_kind:     by_value
      - .address_space:  global
        .offset:         56
        .size:           8
        .value_kind:     global_buffer
      - .offset:         64
        .size:           4
        .value_kind:     by_value
      - .offset:         68
        .size:           1
        .value_kind:     by_value
    .group_segment_fixed_size: 0
    .kernarg_segment_align: 8
    .kernarg_segment_size: 72
    .language:       OpenCL C
    .language_version:
      - 2
      - 0
    .max_flat_workgroup_size: 128
    .name:           _ZN9rocsparseL19gebsrmvn_4xn_kernelILj128ELj3ELj4E21rocsparse_complex_numIfEEEvi20rocsparse_direction_NS_24const_host_device_scalarIT2_EEPKiS8_PKS5_SA_S6_PS5_21rocsparse_index_base_b
    .private_segment_fixed_size: 0
    .sgpr_count:     22
    .sgpr_spill_count: 0
    .symbol:         _ZN9rocsparseL19gebsrmvn_4xn_kernelILj128ELj3ELj4E21rocsparse_complex_numIfEEEvi20rocsparse_direction_NS_24const_host_device_scalarIT2_EEPKiS8_PKS5_SA_S6_PS5_21rocsparse_index_base_b.kd
    .uniform_work_group_size: 1
    .uses_dynamic_stack: false
    .vgpr_count:     64
    .vgpr_spill_count: 0
    .wavefront_size: 64
  - .agpr_count:     0
    .args:
      - .offset:         0
        .size:           4
        .value_kind:     by_value
      - .offset:         4
        .size:           4
        .value_kind:     by_value
      - .offset:         8
        .size:           8
        .value_kind:     by_value
      - .actual_access:  read_only
        .address_space:  global
        .offset:         16
        .size:           8
        .value_kind:     global_buffer
      - .actual_access:  read_only
        .address_space:  global
        .offset:         24
        .size:           8
        .value_kind:     global_buffer
      - .actual_access:  read_only
        .address_space:  global
        .offset:         32
        .size:           8
        .value_kind:     global_buffer
      - .actual_access:  read_only
        .address_space:  global
        .offset:         40
        .size:           8
        .value_kind:     global_buffer
      - .offset:         48
        .size:           8
        .value_kind:     by_value
      - .address_space:  global
        .offset:         56
        .size:           8
        .value_kind:     global_buffer
      - .offset:         64
        .size:           4
        .value_kind:     by_value
      - .offset:         68
        .size:           1
        .value_kind:     by_value
    .group_segment_fixed_size: 0
    .kernarg_segment_align: 8
    .kernarg_segment_size: 72
    .language:       OpenCL C
    .language_version:
      - 2
      - 0
    .max_flat_workgroup_size: 128
    .name:           _ZN9rocsparseL19gebsrmvn_4xn_kernelILj128ELj3ELj8E21rocsparse_complex_numIfEEEvi20rocsparse_direction_NS_24const_host_device_scalarIT2_EEPKiS8_PKS5_SA_S6_PS5_21rocsparse_index_base_b
    .private_segment_fixed_size: 0
    .sgpr_count:     22
    .sgpr_spill_count: 0
    .symbol:         _ZN9rocsparseL19gebsrmvn_4xn_kernelILj128ELj3ELj8E21rocsparse_complex_numIfEEEvi20rocsparse_direction_NS_24const_host_device_scalarIT2_EEPKiS8_PKS5_SA_S6_PS5_21rocsparse_index_base_b.kd
    .uniform_work_group_size: 1
    .uses_dynamic_stack: false
    .vgpr_count:     64
    .vgpr_spill_count: 0
    .wavefront_size: 64
  - .agpr_count:     0
    .args:
      - .offset:         0
        .size:           4
        .value_kind:     by_value
      - .offset:         4
        .size:           4
        .value_kind:     by_value
      - .offset:         8
        .size:           8
        .value_kind:     by_value
      - .actual_access:  read_only
        .address_space:  global
        .offset:         16
        .size:           8
        .value_kind:     global_buffer
      - .actual_access:  read_only
        .address_space:  global
        .offset:         24
        .size:           8
        .value_kind:     global_buffer
      - .actual_access:  read_only
        .address_space:  global
        .offset:         32
        .size:           8
        .value_kind:     global_buffer
      - .actual_access:  read_only
        .address_space:  global
        .offset:         40
        .size:           8
        .value_kind:     global_buffer
      - .offset:         48
        .size:           8
        .value_kind:     by_value
      - .address_space:  global
        .offset:         56
        .size:           8
        .value_kind:     global_buffer
      - .offset:         64
        .size:           4
        .value_kind:     by_value
      - .offset:         68
        .size:           1
        .value_kind:     by_value
    .group_segment_fixed_size: 0
    .kernarg_segment_align: 8
    .kernarg_segment_size: 72
    .language:       OpenCL C
    .language_version:
      - 2
      - 0
    .max_flat_workgroup_size: 128
    .name:           _ZN9rocsparseL19gebsrmvn_4xn_kernelILj128ELj3ELj16E21rocsparse_complex_numIfEEEvi20rocsparse_direction_NS_24const_host_device_scalarIT2_EEPKiS8_PKS5_SA_S6_PS5_21rocsparse_index_base_b
    .private_segment_fixed_size: 0
    .sgpr_count:     22
    .sgpr_spill_count: 0
    .symbol:         _ZN9rocsparseL19gebsrmvn_4xn_kernelILj128ELj3ELj16E21rocsparse_complex_numIfEEEvi20rocsparse_direction_NS_24const_host_device_scalarIT2_EEPKiS8_PKS5_SA_S6_PS5_21rocsparse_index_base_b.kd
    .uniform_work_group_size: 1
    .uses_dynamic_stack: false
    .vgpr_count:     64
    .vgpr_spill_count: 0
    .wavefront_size: 64
  - .agpr_count:     0
    .args:
      - .offset:         0
        .size:           4
        .value_kind:     by_value
      - .offset:         4
        .size:           4
        .value_kind:     by_value
      - .offset:         8
        .size:           8
        .value_kind:     by_value
      - .actual_access:  read_only
        .address_space:  global
        .offset:         16
        .size:           8
        .value_kind:     global_buffer
      - .actual_access:  read_only
        .address_space:  global
        .offset:         24
        .size:           8
        .value_kind:     global_buffer
      - .actual_access:  read_only
        .address_space:  global
        .offset:         32
        .size:           8
        .value_kind:     global_buffer
      - .actual_access:  read_only
        .address_space:  global
        .offset:         40
        .size:           8
        .value_kind:     global_buffer
      - .offset:         48
        .size:           8
        .value_kind:     by_value
      - .address_space:  global
        .offset:         56
        .size:           8
        .value_kind:     global_buffer
      - .offset:         64
        .size:           4
        .value_kind:     by_value
      - .offset:         68
        .size:           1
        .value_kind:     by_value
    .group_segment_fixed_size: 0
    .kernarg_segment_align: 8
    .kernarg_segment_size: 72
    .language:       OpenCL C
    .language_version:
      - 2
      - 0
    .max_flat_workgroup_size: 128
    .name:           _ZN9rocsparseL19gebsrmvn_4xn_kernelILj128ELj3ELj32E21rocsparse_complex_numIfEEEvi20rocsparse_direction_NS_24const_host_device_scalarIT2_EEPKiS8_PKS5_SA_S6_PS5_21rocsparse_index_base_b
    .private_segment_fixed_size: 0
    .sgpr_count:     22
    .sgpr_spill_count: 0
    .symbol:         _ZN9rocsparseL19gebsrmvn_4xn_kernelILj128ELj3ELj32E21rocsparse_complex_numIfEEEvi20rocsparse_direction_NS_24const_host_device_scalarIT2_EEPKiS8_PKS5_SA_S6_PS5_21rocsparse_index_base_b.kd
    .uniform_work_group_size: 1
    .uses_dynamic_stack: false
    .vgpr_count:     64
    .vgpr_spill_count: 0
    .wavefront_size: 64
  - .agpr_count:     0
    .args:
      - .offset:         0
        .size:           4
        .value_kind:     by_value
      - .offset:         4
        .size:           4
        .value_kind:     by_value
      - .offset:         8
        .size:           8
        .value_kind:     by_value
      - .actual_access:  read_only
        .address_space:  global
        .offset:         16
        .size:           8
        .value_kind:     global_buffer
      - .actual_access:  read_only
        .address_space:  global
        .offset:         24
        .size:           8
        .value_kind:     global_buffer
      - .actual_access:  read_only
        .address_space:  global
        .offset:         32
        .size:           8
        .value_kind:     global_buffer
      - .actual_access:  read_only
        .address_space:  global
        .offset:         40
        .size:           8
        .value_kind:     global_buffer
      - .offset:         48
        .size:           8
        .value_kind:     by_value
      - .address_space:  global
        .offset:         56
        .size:           8
        .value_kind:     global_buffer
      - .offset:         64
        .size:           4
        .value_kind:     by_value
      - .offset:         68
        .size:           1
        .value_kind:     by_value
    .group_segment_fixed_size: 0
    .kernarg_segment_align: 8
    .kernarg_segment_size: 72
    .language:       OpenCL C
    .language_version:
      - 2
      - 0
    .max_flat_workgroup_size: 128
    .name:           _ZN9rocsparseL19gebsrmvn_4xn_kernelILj128ELj3ELj64E21rocsparse_complex_numIfEEEvi20rocsparse_direction_NS_24const_host_device_scalarIT2_EEPKiS8_PKS5_SA_S6_PS5_21rocsparse_index_base_b
    .private_segment_fixed_size: 0
    .sgpr_count:     22
    .sgpr_spill_count: 0
    .symbol:         _ZN9rocsparseL19gebsrmvn_4xn_kernelILj128ELj3ELj64E21rocsparse_complex_numIfEEEvi20rocsparse_direction_NS_24const_host_device_scalarIT2_EEPKiS8_PKS5_SA_S6_PS5_21rocsparse_index_base_b.kd
    .uniform_work_group_size: 1
    .uses_dynamic_stack: false
    .vgpr_count:     64
    .vgpr_spill_count: 0
    .wavefront_size: 64
  - .agpr_count:     0
    .args:
      - .offset:         0
        .size:           4
        .value_kind:     by_value
      - .offset:         4
        .size:           4
        .value_kind:     by_value
      - .offset:         8
        .size:           8
        .value_kind:     by_value
      - .actual_access:  read_only
        .address_space:  global
        .offset:         16
        .size:           8
        .value_kind:     global_buffer
      - .actual_access:  read_only
        .address_space:  global
        .offset:         24
        .size:           8
        .value_kind:     global_buffer
      - .actual_access:  read_only
        .address_space:  global
        .offset:         32
        .size:           8
        .value_kind:     global_buffer
      - .actual_access:  read_only
        .address_space:  global
        .offset:         40
        .size:           8
        .value_kind:     global_buffer
      - .offset:         48
        .size:           8
        .value_kind:     by_value
      - .address_space:  global
        .offset:         56
        .size:           8
        .value_kind:     global_buffer
      - .offset:         64
        .size:           4
        .value_kind:     by_value
      - .offset:         68
        .size:           1
        .value_kind:     by_value
    .group_segment_fixed_size: 0
    .kernarg_segment_align: 8
    .kernarg_segment_size: 72
    .language:       OpenCL C
    .language_version:
      - 2
      - 0
    .max_flat_workgroup_size: 128
    .name:           _ZN9rocsparseL19gebsrmvn_4xn_kernelILj128ELj5ELj4E21rocsparse_complex_numIfEEEvi20rocsparse_direction_NS_24const_host_device_scalarIT2_EEPKiS8_PKS5_SA_S6_PS5_21rocsparse_index_base_b
    .private_segment_fixed_size: 0
    .sgpr_count:     22
    .sgpr_spill_count: 0
    .symbol:         _ZN9rocsparseL19gebsrmvn_4xn_kernelILj128ELj5ELj4E21rocsparse_complex_numIfEEEvi20rocsparse_direction_NS_24const_host_device_scalarIT2_EEPKiS8_PKS5_SA_S6_PS5_21rocsparse_index_base_b.kd
    .uniform_work_group_size: 1
    .uses_dynamic_stack: false
    .vgpr_count:     76
    .vgpr_spill_count: 0
    .wavefront_size: 64
  - .agpr_count:     0
    .args:
      - .offset:         0
        .size:           4
        .value_kind:     by_value
      - .offset:         4
        .size:           4
        .value_kind:     by_value
      - .offset:         8
        .size:           8
        .value_kind:     by_value
      - .actual_access:  read_only
        .address_space:  global
        .offset:         16
        .size:           8
        .value_kind:     global_buffer
      - .actual_access:  read_only
        .address_space:  global
        .offset:         24
        .size:           8
        .value_kind:     global_buffer
      - .actual_access:  read_only
        .address_space:  global
        .offset:         32
        .size:           8
        .value_kind:     global_buffer
      - .actual_access:  read_only
        .address_space:  global
        .offset:         40
        .size:           8
        .value_kind:     global_buffer
      - .offset:         48
        .size:           8
        .value_kind:     by_value
      - .address_space:  global
        .offset:         56
        .size:           8
        .value_kind:     global_buffer
      - .offset:         64
        .size:           4
        .value_kind:     by_value
      - .offset:         68
        .size:           1
        .value_kind:     by_value
    .group_segment_fixed_size: 0
    .kernarg_segment_align: 8
    .kernarg_segment_size: 72
    .language:       OpenCL C
    .language_version:
      - 2
      - 0
    .max_flat_workgroup_size: 128
    .name:           _ZN9rocsparseL19gebsrmvn_4xn_kernelILj128ELj5ELj8E21rocsparse_complex_numIfEEEvi20rocsparse_direction_NS_24const_host_device_scalarIT2_EEPKiS8_PKS5_SA_S6_PS5_21rocsparse_index_base_b
    .private_segment_fixed_size: 0
    .sgpr_count:     22
    .sgpr_spill_count: 0
    .symbol:         _ZN9rocsparseL19gebsrmvn_4xn_kernelILj128ELj5ELj8E21rocsparse_complex_numIfEEEvi20rocsparse_direction_NS_24const_host_device_scalarIT2_EEPKiS8_PKS5_SA_S6_PS5_21rocsparse_index_base_b.kd
    .uniform_work_group_size: 1
    .uses_dynamic_stack: false
    .vgpr_count:     76
    .vgpr_spill_count: 0
    .wavefront_size: 64
  - .agpr_count:     0
    .args:
      - .offset:         0
        .size:           4
        .value_kind:     by_value
      - .offset:         4
        .size:           4
        .value_kind:     by_value
      - .offset:         8
        .size:           8
        .value_kind:     by_value
      - .actual_access:  read_only
        .address_space:  global
        .offset:         16
        .size:           8
        .value_kind:     global_buffer
      - .actual_access:  read_only
        .address_space:  global
        .offset:         24
        .size:           8
        .value_kind:     global_buffer
      - .actual_access:  read_only
        .address_space:  global
        .offset:         32
        .size:           8
        .value_kind:     global_buffer
      - .actual_access:  read_only
        .address_space:  global
        .offset:         40
        .size:           8
        .value_kind:     global_buffer
      - .offset:         48
        .size:           8
        .value_kind:     by_value
      - .address_space:  global
        .offset:         56
        .size:           8
        .value_kind:     global_buffer
      - .offset:         64
        .size:           4
        .value_kind:     by_value
      - .offset:         68
        .size:           1
        .value_kind:     by_value
    .group_segment_fixed_size: 0
    .kernarg_segment_align: 8
    .kernarg_segment_size: 72
    .language:       OpenCL C
    .language_version:
      - 2
      - 0
    .max_flat_workgroup_size: 128
    .name:           _ZN9rocsparseL19gebsrmvn_4xn_kernelILj128ELj5ELj16E21rocsparse_complex_numIfEEEvi20rocsparse_direction_NS_24const_host_device_scalarIT2_EEPKiS8_PKS5_SA_S6_PS5_21rocsparse_index_base_b
    .private_segment_fixed_size: 0
    .sgpr_count:     22
    .sgpr_spill_count: 0
    .symbol:         _ZN9rocsparseL19gebsrmvn_4xn_kernelILj128ELj5ELj16E21rocsparse_complex_numIfEEEvi20rocsparse_direction_NS_24const_host_device_scalarIT2_EEPKiS8_PKS5_SA_S6_PS5_21rocsparse_index_base_b.kd
    .uniform_work_group_size: 1
    .uses_dynamic_stack: false
    .vgpr_count:     76
    .vgpr_spill_count: 0
    .wavefront_size: 64
  - .agpr_count:     0
    .args:
      - .offset:         0
        .size:           4
        .value_kind:     by_value
      - .offset:         4
        .size:           4
        .value_kind:     by_value
      - .offset:         8
        .size:           8
        .value_kind:     by_value
      - .actual_access:  read_only
        .address_space:  global
        .offset:         16
        .size:           8
        .value_kind:     global_buffer
      - .actual_access:  read_only
        .address_space:  global
        .offset:         24
        .size:           8
        .value_kind:     global_buffer
      - .actual_access:  read_only
        .address_space:  global
        .offset:         32
        .size:           8
        .value_kind:     global_buffer
      - .actual_access:  read_only
        .address_space:  global
        .offset:         40
        .size:           8
        .value_kind:     global_buffer
      - .offset:         48
        .size:           8
        .value_kind:     by_value
      - .address_space:  global
        .offset:         56
        .size:           8
        .value_kind:     global_buffer
      - .offset:         64
        .size:           4
        .value_kind:     by_value
      - .offset:         68
        .size:           1
        .value_kind:     by_value
    .group_segment_fixed_size: 0
    .kernarg_segment_align: 8
    .kernarg_segment_size: 72
    .language:       OpenCL C
    .language_version:
      - 2
      - 0
    .max_flat_workgroup_size: 128
    .name:           _ZN9rocsparseL19gebsrmvn_4xn_kernelILj128ELj5ELj32E21rocsparse_complex_numIfEEEvi20rocsparse_direction_NS_24const_host_device_scalarIT2_EEPKiS8_PKS5_SA_S6_PS5_21rocsparse_index_base_b
    .private_segment_fixed_size: 0
    .sgpr_count:     22
    .sgpr_spill_count: 0
    .symbol:         _ZN9rocsparseL19gebsrmvn_4xn_kernelILj128ELj5ELj32E21rocsparse_complex_numIfEEEvi20rocsparse_direction_NS_24const_host_device_scalarIT2_EEPKiS8_PKS5_SA_S6_PS5_21rocsparse_index_base_b.kd
    .uniform_work_group_size: 1
    .uses_dynamic_stack: false
    .vgpr_count:     76
    .vgpr_spill_count: 0
    .wavefront_size: 64
  - .agpr_count:     0
    .args:
      - .offset:         0
        .size:           4
        .value_kind:     by_value
      - .offset:         4
        .size:           4
        .value_kind:     by_value
      - .offset:         8
        .size:           8
        .value_kind:     by_value
      - .actual_access:  read_only
        .address_space:  global
        .offset:         16
        .size:           8
        .value_kind:     global_buffer
      - .actual_access:  read_only
        .address_space:  global
        .offset:         24
        .size:           8
        .value_kind:     global_buffer
      - .actual_access:  read_only
        .address_space:  global
        .offset:         32
        .size:           8
        .value_kind:     global_buffer
      - .actual_access:  read_only
        .address_space:  global
        .offset:         40
        .size:           8
        .value_kind:     global_buffer
      - .offset:         48
        .size:           8
        .value_kind:     by_value
      - .address_space:  global
        .offset:         56
        .size:           8
        .value_kind:     global_buffer
      - .offset:         64
        .size:           4
        .value_kind:     by_value
      - .offset:         68
        .size:           1
        .value_kind:     by_value
    .group_segment_fixed_size: 0
    .kernarg_segment_align: 8
    .kernarg_segment_size: 72
    .language:       OpenCL C
    .language_version:
      - 2
      - 0
    .max_flat_workgroup_size: 128
    .name:           _ZN9rocsparseL19gebsrmvn_4xn_kernelILj128ELj5ELj64E21rocsparse_complex_numIfEEEvi20rocsparse_direction_NS_24const_host_device_scalarIT2_EEPKiS8_PKS5_SA_S6_PS5_21rocsparse_index_base_b
    .private_segment_fixed_size: 0
    .sgpr_count:     22
    .sgpr_spill_count: 0
    .symbol:         _ZN9rocsparseL19gebsrmvn_4xn_kernelILj128ELj5ELj64E21rocsparse_complex_numIfEEEvi20rocsparse_direction_NS_24const_host_device_scalarIT2_EEPKiS8_PKS5_SA_S6_PS5_21rocsparse_index_base_b.kd
    .uniform_work_group_size: 1
    .uses_dynamic_stack: false
    .vgpr_count:     76
    .vgpr_spill_count: 0
    .wavefront_size: 64
  - .agpr_count:     0
    .args:
      - .offset:         0
        .size:           4
        .value_kind:     by_value
      - .offset:         4
        .size:           4
        .value_kind:     by_value
      - .offset:         8
        .size:           8
        .value_kind:     by_value
      - .actual_access:  read_only
        .address_space:  global
        .offset:         16
        .size:           8
        .value_kind:     global_buffer
      - .actual_access:  read_only
        .address_space:  global
        .offset:         24
        .size:           8
        .value_kind:     global_buffer
      - .actual_access:  read_only
        .address_space:  global
        .offset:         32
        .size:           8
        .value_kind:     global_buffer
      - .actual_access:  read_only
        .address_space:  global
        .offset:         40
        .size:           8
        .value_kind:     global_buffer
      - .offset:         48
        .size:           8
        .value_kind:     by_value
      - .address_space:  global
        .offset:         56
        .size:           8
        .value_kind:     global_buffer
      - .offset:         64
        .size:           4
        .value_kind:     by_value
      - .offset:         68
        .size:           1
        .value_kind:     by_value
    .group_segment_fixed_size: 0
    .kernarg_segment_align: 8
    .kernarg_segment_size: 72
    .language:       OpenCL C
    .language_version:
      - 2
      - 0
    .max_flat_workgroup_size: 128
    .name:           _ZN9rocsparseL19gebsrmvn_4xn_kernelILj128ELj6ELj4E21rocsparse_complex_numIfEEEvi20rocsparse_direction_NS_24const_host_device_scalarIT2_EEPKiS8_PKS5_SA_S6_PS5_21rocsparse_index_base_b
    .private_segment_fixed_size: 0
    .sgpr_count:     22
    .sgpr_spill_count: 0
    .symbol:         _ZN9rocsparseL19gebsrmvn_4xn_kernelILj128ELj6ELj4E21rocsparse_complex_numIfEEEvi20rocsparse_direction_NS_24const_host_device_scalarIT2_EEPKiS8_PKS5_SA_S6_PS5_21rocsparse_index_base_b.kd
    .uniform_work_group_size: 1
    .uses_dynamic_stack: false
    .vgpr_count:     88
    .vgpr_spill_count: 0
    .wavefront_size: 64
  - .agpr_count:     0
    .args:
      - .offset:         0
        .size:           4
        .value_kind:     by_value
      - .offset:         4
        .size:           4
        .value_kind:     by_value
      - .offset:         8
        .size:           8
        .value_kind:     by_value
      - .actual_access:  read_only
        .address_space:  global
        .offset:         16
        .size:           8
        .value_kind:     global_buffer
      - .actual_access:  read_only
        .address_space:  global
        .offset:         24
        .size:           8
        .value_kind:     global_buffer
      - .actual_access:  read_only
        .address_space:  global
        .offset:         32
        .size:           8
        .value_kind:     global_buffer
      - .actual_access:  read_only
        .address_space:  global
        .offset:         40
        .size:           8
        .value_kind:     global_buffer
      - .offset:         48
        .size:           8
        .value_kind:     by_value
      - .address_space:  global
        .offset:         56
        .size:           8
        .value_kind:     global_buffer
      - .offset:         64
        .size:           4
        .value_kind:     by_value
      - .offset:         68
        .size:           1
        .value_kind:     by_value
    .group_segment_fixed_size: 0
    .kernarg_segment_align: 8
    .kernarg_segment_size: 72
    .language:       OpenCL C
    .language_version:
      - 2
      - 0
    .max_flat_workgroup_size: 128
    .name:           _ZN9rocsparseL19gebsrmvn_4xn_kernelILj128ELj6ELj8E21rocsparse_complex_numIfEEEvi20rocsparse_direction_NS_24const_host_device_scalarIT2_EEPKiS8_PKS5_SA_S6_PS5_21rocsparse_index_base_b
    .private_segment_fixed_size: 0
    .sgpr_count:     22
    .sgpr_spill_count: 0
    .symbol:         _ZN9rocsparseL19gebsrmvn_4xn_kernelILj128ELj6ELj8E21rocsparse_complex_numIfEEEvi20rocsparse_direction_NS_24const_host_device_scalarIT2_EEPKiS8_PKS5_SA_S6_PS5_21rocsparse_index_base_b.kd
    .uniform_work_group_size: 1
    .uses_dynamic_stack: false
    .vgpr_count:     88
    .vgpr_spill_count: 0
    .wavefront_size: 64
  - .agpr_count:     0
    .args:
      - .offset:         0
        .size:           4
        .value_kind:     by_value
      - .offset:         4
        .size:           4
        .value_kind:     by_value
      - .offset:         8
        .size:           8
        .value_kind:     by_value
      - .actual_access:  read_only
        .address_space:  global
        .offset:         16
        .size:           8
        .value_kind:     global_buffer
      - .actual_access:  read_only
        .address_space:  global
        .offset:         24
        .size:           8
        .value_kind:     global_buffer
      - .actual_access:  read_only
        .address_space:  global
        .offset:         32
        .size:           8
        .value_kind:     global_buffer
      - .actual_access:  read_only
        .address_space:  global
        .offset:         40
        .size:           8
        .value_kind:     global_buffer
      - .offset:         48
        .size:           8
        .value_kind:     by_value
      - .address_space:  global
        .offset:         56
        .size:           8
        .value_kind:     global_buffer
      - .offset:         64
        .size:           4
        .value_kind:     by_value
      - .offset:         68
        .size:           1
        .value_kind:     by_value
    .group_segment_fixed_size: 0
    .kernarg_segment_align: 8
    .kernarg_segment_size: 72
    .language:       OpenCL C
    .language_version:
      - 2
      - 0
    .max_flat_workgroup_size: 128
    .name:           _ZN9rocsparseL19gebsrmvn_4xn_kernelILj128ELj6ELj16E21rocsparse_complex_numIfEEEvi20rocsparse_direction_NS_24const_host_device_scalarIT2_EEPKiS8_PKS5_SA_S6_PS5_21rocsparse_index_base_b
    .private_segment_fixed_size: 0
    .sgpr_count:     22
    .sgpr_spill_count: 0
    .symbol:         _ZN9rocsparseL19gebsrmvn_4xn_kernelILj128ELj6ELj16E21rocsparse_complex_numIfEEEvi20rocsparse_direction_NS_24const_host_device_scalarIT2_EEPKiS8_PKS5_SA_S6_PS5_21rocsparse_index_base_b.kd
    .uniform_work_group_size: 1
    .uses_dynamic_stack: false
    .vgpr_count:     88
    .vgpr_spill_count: 0
    .wavefront_size: 64
  - .agpr_count:     0
    .args:
      - .offset:         0
        .size:           4
        .value_kind:     by_value
      - .offset:         4
        .size:           4
        .value_kind:     by_value
      - .offset:         8
        .size:           8
        .value_kind:     by_value
      - .actual_access:  read_only
        .address_space:  global
        .offset:         16
        .size:           8
        .value_kind:     global_buffer
      - .actual_access:  read_only
        .address_space:  global
        .offset:         24
        .size:           8
        .value_kind:     global_buffer
      - .actual_access:  read_only
        .address_space:  global
        .offset:         32
        .size:           8
        .value_kind:     global_buffer
      - .actual_access:  read_only
        .address_space:  global
        .offset:         40
        .size:           8
        .value_kind:     global_buffer
      - .offset:         48
        .size:           8
        .value_kind:     by_value
      - .address_space:  global
        .offset:         56
        .size:           8
        .value_kind:     global_buffer
      - .offset:         64
        .size:           4
        .value_kind:     by_value
      - .offset:         68
        .size:           1
        .value_kind:     by_value
    .group_segment_fixed_size: 0
    .kernarg_segment_align: 8
    .kernarg_segment_size: 72
    .language:       OpenCL C
    .language_version:
      - 2
      - 0
    .max_flat_workgroup_size: 128
    .name:           _ZN9rocsparseL19gebsrmvn_4xn_kernelILj128ELj6ELj32E21rocsparse_complex_numIfEEEvi20rocsparse_direction_NS_24const_host_device_scalarIT2_EEPKiS8_PKS5_SA_S6_PS5_21rocsparse_index_base_b
    .private_segment_fixed_size: 0
    .sgpr_count:     22
    .sgpr_spill_count: 0
    .symbol:         _ZN9rocsparseL19gebsrmvn_4xn_kernelILj128ELj6ELj32E21rocsparse_complex_numIfEEEvi20rocsparse_direction_NS_24const_host_device_scalarIT2_EEPKiS8_PKS5_SA_S6_PS5_21rocsparse_index_base_b.kd
    .uniform_work_group_size: 1
    .uses_dynamic_stack: false
    .vgpr_count:     88
    .vgpr_spill_count: 0
    .wavefront_size: 64
  - .agpr_count:     0
    .args:
      - .offset:         0
        .size:           4
        .value_kind:     by_value
      - .offset:         4
        .size:           4
        .value_kind:     by_value
      - .offset:         8
        .size:           8
        .value_kind:     by_value
      - .actual_access:  read_only
        .address_space:  global
        .offset:         16
        .size:           8
        .value_kind:     global_buffer
      - .actual_access:  read_only
        .address_space:  global
        .offset:         24
        .size:           8
        .value_kind:     global_buffer
      - .actual_access:  read_only
        .address_space:  global
        .offset:         32
        .size:           8
        .value_kind:     global_buffer
      - .actual_access:  read_only
        .address_space:  global
        .offset:         40
        .size:           8
        .value_kind:     global_buffer
      - .offset:         48
        .size:           8
        .value_kind:     by_value
      - .address_space:  global
        .offset:         56
        .size:           8
        .value_kind:     global_buffer
      - .offset:         64
        .size:           4
        .value_kind:     by_value
      - .offset:         68
        .size:           1
        .value_kind:     by_value
    .group_segment_fixed_size: 0
    .kernarg_segment_align: 8
    .kernarg_segment_size: 72
    .language:       OpenCL C
    .language_version:
      - 2
      - 0
    .max_flat_workgroup_size: 128
    .name:           _ZN9rocsparseL19gebsrmvn_4xn_kernelILj128ELj6ELj64E21rocsparse_complex_numIfEEEvi20rocsparse_direction_NS_24const_host_device_scalarIT2_EEPKiS8_PKS5_SA_S6_PS5_21rocsparse_index_base_b
    .private_segment_fixed_size: 0
    .sgpr_count:     22
    .sgpr_spill_count: 0
    .symbol:         _ZN9rocsparseL19gebsrmvn_4xn_kernelILj128ELj6ELj64E21rocsparse_complex_numIfEEEvi20rocsparse_direction_NS_24const_host_device_scalarIT2_EEPKiS8_PKS5_SA_S6_PS5_21rocsparse_index_base_b.kd
    .uniform_work_group_size: 1
    .uses_dynamic_stack: false
    .vgpr_count:     88
    .vgpr_spill_count: 0
    .wavefront_size: 64
  - .agpr_count:     0
    .args:
      - .offset:         0
        .size:           4
        .value_kind:     by_value
      - .offset:         4
        .size:           4
        .value_kind:     by_value
      - .offset:         8
        .size:           8
        .value_kind:     by_value
      - .actual_access:  read_only
        .address_space:  global
        .offset:         16
        .size:           8
        .value_kind:     global_buffer
      - .actual_access:  read_only
        .address_space:  global
        .offset:         24
        .size:           8
        .value_kind:     global_buffer
      - .actual_access:  read_only
        .address_space:  global
        .offset:         32
        .size:           8
        .value_kind:     global_buffer
      - .actual_access:  read_only
        .address_space:  global
        .offset:         40
        .size:           8
        .value_kind:     global_buffer
      - .offset:         48
        .size:           8
        .value_kind:     by_value
      - .address_space:  global
        .offset:         56
        .size:           8
        .value_kind:     global_buffer
      - .offset:         64
        .size:           4
        .value_kind:     by_value
      - .offset:         68
        .size:           1
        .value_kind:     by_value
    .group_segment_fixed_size: 0
    .kernarg_segment_align: 8
    .kernarg_segment_size: 72
    .language:       OpenCL C
    .language_version:
      - 2
      - 0
    .max_flat_workgroup_size: 128
    .name:           _ZN9rocsparseL19gebsrmvn_4xn_kernelILj128ELj7ELj4E21rocsparse_complex_numIfEEEvi20rocsparse_direction_NS_24const_host_device_scalarIT2_EEPKiS8_PKS5_SA_S6_PS5_21rocsparse_index_base_b
    .private_segment_fixed_size: 0
    .sgpr_count:     22
    .sgpr_spill_count: 0
    .symbol:         _ZN9rocsparseL19gebsrmvn_4xn_kernelILj128ELj7ELj4E21rocsparse_complex_numIfEEEvi20rocsparse_direction_NS_24const_host_device_scalarIT2_EEPKiS8_PKS5_SA_S6_PS5_21rocsparse_index_base_b.kd
    .uniform_work_group_size: 1
    .uses_dynamic_stack: false
    .vgpr_count:     104
    .vgpr_spill_count: 0
    .wavefront_size: 64
  - .agpr_count:     0
    .args:
      - .offset:         0
        .size:           4
        .value_kind:     by_value
      - .offset:         4
        .size:           4
        .value_kind:     by_value
      - .offset:         8
        .size:           8
        .value_kind:     by_value
      - .actual_access:  read_only
        .address_space:  global
        .offset:         16
        .size:           8
        .value_kind:     global_buffer
      - .actual_access:  read_only
        .address_space:  global
        .offset:         24
        .size:           8
        .value_kind:     global_buffer
      - .actual_access:  read_only
        .address_space:  global
        .offset:         32
        .size:           8
        .value_kind:     global_buffer
      - .actual_access:  read_only
        .address_space:  global
        .offset:         40
        .size:           8
        .value_kind:     global_buffer
      - .offset:         48
        .size:           8
        .value_kind:     by_value
      - .address_space:  global
        .offset:         56
        .size:           8
        .value_kind:     global_buffer
      - .offset:         64
        .size:           4
        .value_kind:     by_value
      - .offset:         68
        .size:           1
        .value_kind:     by_value
    .group_segment_fixed_size: 0
    .kernarg_segment_align: 8
    .kernarg_segment_size: 72
    .language:       OpenCL C
    .language_version:
      - 2
      - 0
    .max_flat_workgroup_size: 128
    .name:           _ZN9rocsparseL19gebsrmvn_4xn_kernelILj128ELj7ELj8E21rocsparse_complex_numIfEEEvi20rocsparse_direction_NS_24const_host_device_scalarIT2_EEPKiS8_PKS5_SA_S6_PS5_21rocsparse_index_base_b
    .private_segment_fixed_size: 0
    .sgpr_count:     22
    .sgpr_spill_count: 0
    .symbol:         _ZN9rocsparseL19gebsrmvn_4xn_kernelILj128ELj7ELj8E21rocsparse_complex_numIfEEEvi20rocsparse_direction_NS_24const_host_device_scalarIT2_EEPKiS8_PKS5_SA_S6_PS5_21rocsparse_index_base_b.kd
    .uniform_work_group_size: 1
    .uses_dynamic_stack: false
    .vgpr_count:     104
    .vgpr_spill_count: 0
    .wavefront_size: 64
  - .agpr_count:     0
    .args:
      - .offset:         0
        .size:           4
        .value_kind:     by_value
      - .offset:         4
        .size:           4
        .value_kind:     by_value
      - .offset:         8
        .size:           8
        .value_kind:     by_value
      - .actual_access:  read_only
        .address_space:  global
        .offset:         16
        .size:           8
        .value_kind:     global_buffer
      - .actual_access:  read_only
        .address_space:  global
        .offset:         24
        .size:           8
        .value_kind:     global_buffer
      - .actual_access:  read_only
        .address_space:  global
        .offset:         32
        .size:           8
        .value_kind:     global_buffer
      - .actual_access:  read_only
        .address_space:  global
        .offset:         40
        .size:           8
        .value_kind:     global_buffer
      - .offset:         48
        .size:           8
        .value_kind:     by_value
      - .address_space:  global
        .offset:         56
        .size:           8
        .value_kind:     global_buffer
      - .offset:         64
        .size:           4
        .value_kind:     by_value
      - .offset:         68
        .size:           1
        .value_kind:     by_value
    .group_segment_fixed_size: 0
    .kernarg_segment_align: 8
    .kernarg_segment_size: 72
    .language:       OpenCL C
    .language_version:
      - 2
      - 0
    .max_flat_workgroup_size: 128
    .name:           _ZN9rocsparseL19gebsrmvn_4xn_kernelILj128ELj7ELj16E21rocsparse_complex_numIfEEEvi20rocsparse_direction_NS_24const_host_device_scalarIT2_EEPKiS8_PKS5_SA_S6_PS5_21rocsparse_index_base_b
    .private_segment_fixed_size: 0
    .sgpr_count:     22
    .sgpr_spill_count: 0
    .symbol:         _ZN9rocsparseL19gebsrmvn_4xn_kernelILj128ELj7ELj16E21rocsparse_complex_numIfEEEvi20rocsparse_direction_NS_24const_host_device_scalarIT2_EEPKiS8_PKS5_SA_S6_PS5_21rocsparse_index_base_b.kd
    .uniform_work_group_size: 1
    .uses_dynamic_stack: false
    .vgpr_count:     104
    .vgpr_spill_count: 0
    .wavefront_size: 64
  - .agpr_count:     0
    .args:
      - .offset:         0
        .size:           4
        .value_kind:     by_value
      - .offset:         4
        .size:           4
        .value_kind:     by_value
      - .offset:         8
        .size:           8
        .value_kind:     by_value
      - .actual_access:  read_only
        .address_space:  global
        .offset:         16
        .size:           8
        .value_kind:     global_buffer
      - .actual_access:  read_only
        .address_space:  global
        .offset:         24
        .size:           8
        .value_kind:     global_buffer
      - .actual_access:  read_only
        .address_space:  global
        .offset:         32
        .size:           8
        .value_kind:     global_buffer
      - .actual_access:  read_only
        .address_space:  global
        .offset:         40
        .size:           8
        .value_kind:     global_buffer
      - .offset:         48
        .size:           8
        .value_kind:     by_value
      - .address_space:  global
        .offset:         56
        .size:           8
        .value_kind:     global_buffer
      - .offset:         64
        .size:           4
        .value_kind:     by_value
      - .offset:         68
        .size:           1
        .value_kind:     by_value
    .group_segment_fixed_size: 0
    .kernarg_segment_align: 8
    .kernarg_segment_size: 72
    .language:       OpenCL C
    .language_version:
      - 2
      - 0
    .max_flat_workgroup_size: 128
    .name:           _ZN9rocsparseL19gebsrmvn_4xn_kernelILj128ELj7ELj32E21rocsparse_complex_numIfEEEvi20rocsparse_direction_NS_24const_host_device_scalarIT2_EEPKiS8_PKS5_SA_S6_PS5_21rocsparse_index_base_b
    .private_segment_fixed_size: 0
    .sgpr_count:     22
    .sgpr_spill_count: 0
    .symbol:         _ZN9rocsparseL19gebsrmvn_4xn_kernelILj128ELj7ELj32E21rocsparse_complex_numIfEEEvi20rocsparse_direction_NS_24const_host_device_scalarIT2_EEPKiS8_PKS5_SA_S6_PS5_21rocsparse_index_base_b.kd
    .uniform_work_group_size: 1
    .uses_dynamic_stack: false
    .vgpr_count:     104
    .vgpr_spill_count: 0
    .wavefront_size: 64
  - .agpr_count:     0
    .args:
      - .offset:         0
        .size:           4
        .value_kind:     by_value
      - .offset:         4
        .size:           4
        .value_kind:     by_value
      - .offset:         8
        .size:           8
        .value_kind:     by_value
      - .actual_access:  read_only
        .address_space:  global
        .offset:         16
        .size:           8
        .value_kind:     global_buffer
      - .actual_access:  read_only
        .address_space:  global
        .offset:         24
        .size:           8
        .value_kind:     global_buffer
      - .actual_access:  read_only
        .address_space:  global
        .offset:         32
        .size:           8
        .value_kind:     global_buffer
      - .actual_access:  read_only
        .address_space:  global
        .offset:         40
        .size:           8
        .value_kind:     global_buffer
      - .offset:         48
        .size:           8
        .value_kind:     by_value
      - .address_space:  global
        .offset:         56
        .size:           8
        .value_kind:     global_buffer
      - .offset:         64
        .size:           4
        .value_kind:     by_value
      - .offset:         68
        .size:           1
        .value_kind:     by_value
    .group_segment_fixed_size: 0
    .kernarg_segment_align: 8
    .kernarg_segment_size: 72
    .language:       OpenCL C
    .language_version:
      - 2
      - 0
    .max_flat_workgroup_size: 128
    .name:           _ZN9rocsparseL19gebsrmvn_4xn_kernelILj128ELj7ELj64E21rocsparse_complex_numIfEEEvi20rocsparse_direction_NS_24const_host_device_scalarIT2_EEPKiS8_PKS5_SA_S6_PS5_21rocsparse_index_base_b
    .private_segment_fixed_size: 0
    .sgpr_count:     22
    .sgpr_spill_count: 0
    .symbol:         _ZN9rocsparseL19gebsrmvn_4xn_kernelILj128ELj7ELj64E21rocsparse_complex_numIfEEEvi20rocsparse_direction_NS_24const_host_device_scalarIT2_EEPKiS8_PKS5_SA_S6_PS5_21rocsparse_index_base_b.kd
    .uniform_work_group_size: 1
    .uses_dynamic_stack: false
    .vgpr_count:     104
    .vgpr_spill_count: 0
    .wavefront_size: 64
  - .agpr_count:     0
    .args:
      - .offset:         0
        .size:           4
        .value_kind:     by_value
      - .offset:         4
        .size:           4
        .value_kind:     by_value
      - .offset:         8
        .size:           8
        .value_kind:     by_value
      - .actual_access:  read_only
        .address_space:  global
        .offset:         16
        .size:           8
        .value_kind:     global_buffer
      - .actual_access:  read_only
        .address_space:  global
        .offset:         24
        .size:           8
        .value_kind:     global_buffer
      - .actual_access:  read_only
        .address_space:  global
        .offset:         32
        .size:           8
        .value_kind:     global_buffer
      - .actual_access:  read_only
        .address_space:  global
        .offset:         40
        .size:           8
        .value_kind:     global_buffer
      - .offset:         48
        .size:           8
        .value_kind:     by_value
      - .address_space:  global
        .offset:         56
        .size:           8
        .value_kind:     global_buffer
      - .offset:         64
        .size:           4
        .value_kind:     by_value
      - .offset:         68
        .size:           1
        .value_kind:     by_value
    .group_segment_fixed_size: 0
    .kernarg_segment_align: 8
    .kernarg_segment_size: 72
    .language:       OpenCL C
    .language_version:
      - 2
      - 0
    .max_flat_workgroup_size: 128
    .name:           _ZN9rocsparseL19gebsrmvn_4xn_kernelILj128ELj8ELj4E21rocsparse_complex_numIfEEEvi20rocsparse_direction_NS_24const_host_device_scalarIT2_EEPKiS8_PKS5_SA_S6_PS5_21rocsparse_index_base_b
    .private_segment_fixed_size: 0
    .sgpr_count:     22
    .sgpr_spill_count: 0
    .symbol:         _ZN9rocsparseL19gebsrmvn_4xn_kernelILj128ELj8ELj4E21rocsparse_complex_numIfEEEvi20rocsparse_direction_NS_24const_host_device_scalarIT2_EEPKiS8_PKS5_SA_S6_PS5_21rocsparse_index_base_b.kd
    .uniform_work_group_size: 1
    .uses_dynamic_stack: false
    .vgpr_count:     90
    .vgpr_spill_count: 0
    .wavefront_size: 64
  - .agpr_count:     0
    .args:
      - .offset:         0
        .size:           4
        .value_kind:     by_value
      - .offset:         4
        .size:           4
        .value_kind:     by_value
      - .offset:         8
        .size:           8
        .value_kind:     by_value
      - .actual_access:  read_only
        .address_space:  global
        .offset:         16
        .size:           8
        .value_kind:     global_buffer
      - .actual_access:  read_only
        .address_space:  global
        .offset:         24
        .size:           8
        .value_kind:     global_buffer
      - .actual_access:  read_only
        .address_space:  global
        .offset:         32
        .size:           8
        .value_kind:     global_buffer
      - .actual_access:  read_only
        .address_space:  global
        .offset:         40
        .size:           8
        .value_kind:     global_buffer
      - .offset:         48
        .size:           8
        .value_kind:     by_value
      - .address_space:  global
        .offset:         56
        .size:           8
        .value_kind:     global_buffer
      - .offset:         64
        .size:           4
        .value_kind:     by_value
      - .offset:         68
        .size:           1
        .value_kind:     by_value
    .group_segment_fixed_size: 0
    .kernarg_segment_align: 8
    .kernarg_segment_size: 72
    .language:       OpenCL C
    .language_version:
      - 2
      - 0
    .max_flat_workgroup_size: 128
    .name:           _ZN9rocsparseL19gebsrmvn_4xn_kernelILj128ELj8ELj8E21rocsparse_complex_numIfEEEvi20rocsparse_direction_NS_24const_host_device_scalarIT2_EEPKiS8_PKS5_SA_S6_PS5_21rocsparse_index_base_b
    .private_segment_fixed_size: 0
    .sgpr_count:     22
    .sgpr_spill_count: 0
    .symbol:         _ZN9rocsparseL19gebsrmvn_4xn_kernelILj128ELj8ELj8E21rocsparse_complex_numIfEEEvi20rocsparse_direction_NS_24const_host_device_scalarIT2_EEPKiS8_PKS5_SA_S6_PS5_21rocsparse_index_base_b.kd
    .uniform_work_group_size: 1
    .uses_dynamic_stack: false
    .vgpr_count:     90
    .vgpr_spill_count: 0
    .wavefront_size: 64
  - .agpr_count:     0
    .args:
      - .offset:         0
        .size:           4
        .value_kind:     by_value
      - .offset:         4
        .size:           4
        .value_kind:     by_value
      - .offset:         8
        .size:           8
        .value_kind:     by_value
      - .actual_access:  read_only
        .address_space:  global
        .offset:         16
        .size:           8
        .value_kind:     global_buffer
      - .actual_access:  read_only
        .address_space:  global
        .offset:         24
        .size:           8
        .value_kind:     global_buffer
      - .actual_access:  read_only
        .address_space:  global
        .offset:         32
        .size:           8
        .value_kind:     global_buffer
      - .actual_access:  read_only
        .address_space:  global
        .offset:         40
        .size:           8
        .value_kind:     global_buffer
      - .offset:         48
        .size:           8
        .value_kind:     by_value
      - .address_space:  global
        .offset:         56
        .size:           8
        .value_kind:     global_buffer
      - .offset:         64
        .size:           4
        .value_kind:     by_value
      - .offset:         68
        .size:           1
        .value_kind:     by_value
    .group_segment_fixed_size: 0
    .kernarg_segment_align: 8
    .kernarg_segment_size: 72
    .language:       OpenCL C
    .language_version:
      - 2
      - 0
    .max_flat_workgroup_size: 128
    .name:           _ZN9rocsparseL19gebsrmvn_4xn_kernelILj128ELj8ELj16E21rocsparse_complex_numIfEEEvi20rocsparse_direction_NS_24const_host_device_scalarIT2_EEPKiS8_PKS5_SA_S6_PS5_21rocsparse_index_base_b
    .private_segment_fixed_size: 0
    .sgpr_count:     22
    .sgpr_spill_count: 0
    .symbol:         _ZN9rocsparseL19gebsrmvn_4xn_kernelILj128ELj8ELj16E21rocsparse_complex_numIfEEEvi20rocsparse_direction_NS_24const_host_device_scalarIT2_EEPKiS8_PKS5_SA_S6_PS5_21rocsparse_index_base_b.kd
    .uniform_work_group_size: 1
    .uses_dynamic_stack: false
    .vgpr_count:     90
    .vgpr_spill_count: 0
    .wavefront_size: 64
  - .agpr_count:     0
    .args:
      - .offset:         0
        .size:           4
        .value_kind:     by_value
      - .offset:         4
        .size:           4
        .value_kind:     by_value
      - .offset:         8
        .size:           8
        .value_kind:     by_value
      - .actual_access:  read_only
        .address_space:  global
        .offset:         16
        .size:           8
        .value_kind:     global_buffer
      - .actual_access:  read_only
        .address_space:  global
        .offset:         24
        .size:           8
        .value_kind:     global_buffer
      - .actual_access:  read_only
        .address_space:  global
        .offset:         32
        .size:           8
        .value_kind:     global_buffer
      - .actual_access:  read_only
        .address_space:  global
        .offset:         40
        .size:           8
        .value_kind:     global_buffer
      - .offset:         48
        .size:           8
        .value_kind:     by_value
      - .address_space:  global
        .offset:         56
        .size:           8
        .value_kind:     global_buffer
      - .offset:         64
        .size:           4
        .value_kind:     by_value
      - .offset:         68
        .size:           1
        .value_kind:     by_value
    .group_segment_fixed_size: 0
    .kernarg_segment_align: 8
    .kernarg_segment_size: 72
    .language:       OpenCL C
    .language_version:
      - 2
      - 0
    .max_flat_workgroup_size: 128
    .name:           _ZN9rocsparseL19gebsrmvn_4xn_kernelILj128ELj8ELj32E21rocsparse_complex_numIfEEEvi20rocsparse_direction_NS_24const_host_device_scalarIT2_EEPKiS8_PKS5_SA_S6_PS5_21rocsparse_index_base_b
    .private_segment_fixed_size: 0
    .sgpr_count:     22
    .sgpr_spill_count: 0
    .symbol:         _ZN9rocsparseL19gebsrmvn_4xn_kernelILj128ELj8ELj32E21rocsparse_complex_numIfEEEvi20rocsparse_direction_NS_24const_host_device_scalarIT2_EEPKiS8_PKS5_SA_S6_PS5_21rocsparse_index_base_b.kd
    .uniform_work_group_size: 1
    .uses_dynamic_stack: false
    .vgpr_count:     90
    .vgpr_spill_count: 0
    .wavefront_size: 64
  - .agpr_count:     0
    .args:
      - .offset:         0
        .size:           4
        .value_kind:     by_value
      - .offset:         4
        .size:           4
        .value_kind:     by_value
      - .offset:         8
        .size:           8
        .value_kind:     by_value
      - .actual_access:  read_only
        .address_space:  global
        .offset:         16
        .size:           8
        .value_kind:     global_buffer
      - .actual_access:  read_only
        .address_space:  global
        .offset:         24
        .size:           8
        .value_kind:     global_buffer
      - .actual_access:  read_only
        .address_space:  global
        .offset:         32
        .size:           8
        .value_kind:     global_buffer
      - .actual_access:  read_only
        .address_space:  global
        .offset:         40
        .size:           8
        .value_kind:     global_buffer
      - .offset:         48
        .size:           8
        .value_kind:     by_value
      - .address_space:  global
        .offset:         56
        .size:           8
        .value_kind:     global_buffer
      - .offset:         64
        .size:           4
        .value_kind:     by_value
      - .offset:         68
        .size:           1
        .value_kind:     by_value
    .group_segment_fixed_size: 0
    .kernarg_segment_align: 8
    .kernarg_segment_size: 72
    .language:       OpenCL C
    .language_version:
      - 2
      - 0
    .max_flat_workgroup_size: 128
    .name:           _ZN9rocsparseL19gebsrmvn_4xn_kernelILj128ELj8ELj64E21rocsparse_complex_numIfEEEvi20rocsparse_direction_NS_24const_host_device_scalarIT2_EEPKiS8_PKS5_SA_S6_PS5_21rocsparse_index_base_b
    .private_segment_fixed_size: 0
    .sgpr_count:     22
    .sgpr_spill_count: 0
    .symbol:         _ZN9rocsparseL19gebsrmvn_4xn_kernelILj128ELj8ELj64E21rocsparse_complex_numIfEEEvi20rocsparse_direction_NS_24const_host_device_scalarIT2_EEPKiS8_PKS5_SA_S6_PS5_21rocsparse_index_base_b.kd
    .uniform_work_group_size: 1
    .uses_dynamic_stack: false
    .vgpr_count:     90
    .vgpr_spill_count: 0
    .wavefront_size: 64
  - .agpr_count:     0
    .args:
      - .offset:         0
        .size:           4
        .value_kind:     by_value
      - .offset:         4
        .size:           4
        .value_kind:     by_value
      - .offset:         8
        .size:           8
        .value_kind:     by_value
      - .actual_access:  read_only
        .address_space:  global
        .offset:         16
        .size:           8
        .value_kind:     global_buffer
      - .actual_access:  read_only
        .address_space:  global
        .offset:         24
        .size:           8
        .value_kind:     global_buffer
      - .actual_access:  read_only
        .address_space:  global
        .offset:         32
        .size:           8
        .value_kind:     global_buffer
      - .offset:         40
        .size:           4
        .value_kind:     by_value
      - .offset:         44
        .size:           4
        .value_kind:     by_value
      - .actual_access:  read_only
        .address_space:  global
        .offset:         48
        .size:           8
        .value_kind:     global_buffer
      - .offset:         56
        .size:           8
        .value_kind:     by_value
      - .address_space:  global
        .offset:         64
        .size:           8
        .value_kind:     global_buffer
      - .offset:         72
        .size:           4
        .value_kind:     by_value
      - .offset:         76
        .size:           1
        .value_kind:     by_value
    .group_segment_fixed_size: 0
    .kernarg_segment_align: 8
    .kernarg_segment_size: 80
    .language:       OpenCL C
    .language_version:
      - 2
      - 0
    .max_flat_workgroup_size: 64
    .name:           _ZN9rocsparseL23gebsrmvn_general_kernelILj64ELj16E21rocsparse_complex_numIfEEEvi20rocsparse_direction_NS_24const_host_device_scalarIT1_EEPKiS8_PKS5_iiSA_S6_PS5_21rocsparse_index_base_b
    .private_segment_fixed_size: 0
    .sgpr_count:     44
    .sgpr_spill_count: 0
    .symbol:         _ZN9rocsparseL23gebsrmvn_general_kernelILj64ELj16E21rocsparse_complex_numIfEEEvi20rocsparse_direction_NS_24const_host_device_scalarIT1_EEPKiS8_PKS5_iiSA_S6_PS5_21rocsparse_index_base_b.kd
    .uniform_work_group_size: 1
    .uses_dynamic_stack: false
    .vgpr_count:     24
    .vgpr_spill_count: 0
    .wavefront_size: 64
  - .agpr_count:     0
    .args:
      - .offset:         0
        .size:           4
        .value_kind:     by_value
      - .offset:         4
        .size:           4
        .value_kind:     by_value
      - .offset:         8
        .size:           8
        .value_kind:     by_value
      - .actual_access:  read_only
        .address_space:  global
        .offset:         16
        .size:           8
        .value_kind:     global_buffer
      - .actual_access:  read_only
        .address_space:  global
        .offset:         24
        .size:           8
        .value_kind:     global_buffer
      - .actual_access:  read_only
        .address_space:  global
        .offset:         32
        .size:           8
        .value_kind:     global_buffer
      - .offset:         40
        .size:           4
        .value_kind:     by_value
      - .offset:         44
        .size:           4
        .value_kind:     by_value
      - .actual_access:  read_only
        .address_space:  global
        .offset:         48
        .size:           8
        .value_kind:     global_buffer
      - .offset:         56
        .size:           8
        .value_kind:     by_value
      - .address_space:  global
        .offset:         64
        .size:           8
        .value_kind:     global_buffer
      - .offset:         72
        .size:           4
        .value_kind:     by_value
      - .offset:         76
        .size:           1
        .value_kind:     by_value
    .group_segment_fixed_size: 0
    .kernarg_segment_align: 8
    .kernarg_segment_size: 80
    .language:       OpenCL C
    .language_version:
      - 2
      - 0
    .max_flat_workgroup_size: 128
    .name:           _ZN9rocsparseL23gebsrmvn_general_kernelILj128ELj32E21rocsparse_complex_numIfEEEvi20rocsparse_direction_NS_24const_host_device_scalarIT1_EEPKiS8_PKS5_iiSA_S6_PS5_21rocsparse_index_base_b
    .private_segment_fixed_size: 0
    .sgpr_count:     44
    .sgpr_spill_count: 0
    .symbol:         _ZN9rocsparseL23gebsrmvn_general_kernelILj128ELj32E21rocsparse_complex_numIfEEEvi20rocsparse_direction_NS_24const_host_device_scalarIT1_EEPKiS8_PKS5_iiSA_S6_PS5_21rocsparse_index_base_b.kd
    .uniform_work_group_size: 1
    .uses_dynamic_stack: false
    .vgpr_count:     24
    .vgpr_spill_count: 0
    .wavefront_size: 64
  - .agpr_count:     0
    .args:
      - .offset:         0
        .size:           4
        .value_kind:     by_value
      - .offset:         4
        .size:           4
        .value_kind:     by_value
      - .offset:         8
        .size:           16
        .value_kind:     by_value
      - .actual_access:  read_only
        .address_space:  global
        .offset:         24
        .size:           8
        .value_kind:     global_buffer
      - .actual_access:  read_only
        .address_space:  global
        .offset:         32
        .size:           8
        .value_kind:     global_buffer
      - .actual_access:  read_only
        .address_space:  global
        .offset:         40
        .size:           8
        .value_kind:     global_buffer
      - .actual_access:  read_only
        .address_space:  global
        .offset:         48
        .size:           8
        .value_kind:     global_buffer
      - .offset:         56
        .size:           16
        .value_kind:     by_value
      - .address_space:  global
        .offset:         72
        .size:           8
        .value_kind:     global_buffer
      - .offset:         80
        .size:           4
        .value_kind:     by_value
      - .offset:         84
        .size:           1
        .value_kind:     by_value
    .group_segment_fixed_size: 0
    .kernarg_segment_align: 8
    .kernarg_segment_size: 88
    .language:       OpenCL C
    .language_version:
      - 2
      - 0
    .max_flat_workgroup_size: 128
    .name:           _ZN9rocsparseL19gebsrmvn_4xn_kernelILj128ELj1ELj4E21rocsparse_complex_numIdEEEvi20rocsparse_direction_NS_24const_host_device_scalarIT2_EEPKiS8_PKS5_SA_S6_PS5_21rocsparse_index_base_b
    .private_segment_fixed_size: 0
    .sgpr_count:     22
    .sgpr_spill_count: 0
    .symbol:         _ZN9rocsparseL19gebsrmvn_4xn_kernelILj128ELj1ELj4E21rocsparse_complex_numIdEEEvi20rocsparse_direction_NS_24const_host_device_scalarIT2_EEPKiS8_PKS5_SA_S6_PS5_21rocsparse_index_base_b.kd
    .uniform_work_group_size: 1
    .uses_dynamic_stack: false
    .vgpr_count:     54
    .vgpr_spill_count: 0
    .wavefront_size: 64
  - .agpr_count:     0
    .args:
      - .offset:         0
        .size:           4
        .value_kind:     by_value
      - .offset:         4
        .size:           4
        .value_kind:     by_value
      - .offset:         8
        .size:           16
        .value_kind:     by_value
      - .actual_access:  read_only
        .address_space:  global
        .offset:         24
        .size:           8
        .value_kind:     global_buffer
      - .actual_access:  read_only
        .address_space:  global
        .offset:         32
        .size:           8
        .value_kind:     global_buffer
      - .actual_access:  read_only
        .address_space:  global
        .offset:         40
        .size:           8
        .value_kind:     global_buffer
      - .actual_access:  read_only
        .address_space:  global
        .offset:         48
        .size:           8
        .value_kind:     global_buffer
      - .offset:         56
        .size:           16
        .value_kind:     by_value
      - .address_space:  global
        .offset:         72
        .size:           8
        .value_kind:     global_buffer
      - .offset:         80
        .size:           4
        .value_kind:     by_value
      - .offset:         84
        .size:           1
        .value_kind:     by_value
    .group_segment_fixed_size: 0
    .kernarg_segment_align: 8
    .kernarg_segment_size: 88
    .language:       OpenCL C
    .language_version:
      - 2
      - 0
    .max_flat_workgroup_size: 128
    .name:           _ZN9rocsparseL19gebsrmvn_4xn_kernelILj128ELj1ELj8E21rocsparse_complex_numIdEEEvi20rocsparse_direction_NS_24const_host_device_scalarIT2_EEPKiS8_PKS5_SA_S6_PS5_21rocsparse_index_base_b
    .private_segment_fixed_size: 0
    .sgpr_count:     22
    .sgpr_spill_count: 0
    .symbol:         _ZN9rocsparseL19gebsrmvn_4xn_kernelILj128ELj1ELj8E21rocsparse_complex_numIdEEEvi20rocsparse_direction_NS_24const_host_device_scalarIT2_EEPKiS8_PKS5_SA_S6_PS5_21rocsparse_index_base_b.kd
    .uniform_work_group_size: 1
    .uses_dynamic_stack: false
    .vgpr_count:     54
    .vgpr_spill_count: 0
    .wavefront_size: 64
  - .agpr_count:     0
    .args:
      - .offset:         0
        .size:           4
        .value_kind:     by_value
      - .offset:         4
        .size:           4
        .value_kind:     by_value
      - .offset:         8
        .size:           16
        .value_kind:     by_value
      - .actual_access:  read_only
        .address_space:  global
        .offset:         24
        .size:           8
        .value_kind:     global_buffer
      - .actual_access:  read_only
        .address_space:  global
        .offset:         32
        .size:           8
        .value_kind:     global_buffer
      - .actual_access:  read_only
        .address_space:  global
        .offset:         40
        .size:           8
        .value_kind:     global_buffer
      - .actual_access:  read_only
        .address_space:  global
        .offset:         48
        .size:           8
        .value_kind:     global_buffer
      - .offset:         56
        .size:           16
        .value_kind:     by_value
      - .address_space:  global
        .offset:         72
        .size:           8
        .value_kind:     global_buffer
      - .offset:         80
        .size:           4
        .value_kind:     by_value
      - .offset:         84
        .size:           1
        .value_kind:     by_value
    .group_segment_fixed_size: 0
    .kernarg_segment_align: 8
    .kernarg_segment_size: 88
    .language:       OpenCL C
    .language_version:
      - 2
      - 0
    .max_flat_workgroup_size: 128
    .name:           _ZN9rocsparseL19gebsrmvn_4xn_kernelILj128ELj1ELj16E21rocsparse_complex_numIdEEEvi20rocsparse_direction_NS_24const_host_device_scalarIT2_EEPKiS8_PKS5_SA_S6_PS5_21rocsparse_index_base_b
    .private_segment_fixed_size: 0
    .sgpr_count:     22
    .sgpr_spill_count: 0
    .symbol:         _ZN9rocsparseL19gebsrmvn_4xn_kernelILj128ELj1ELj16E21rocsparse_complex_numIdEEEvi20rocsparse_direction_NS_24const_host_device_scalarIT2_EEPKiS8_PKS5_SA_S6_PS5_21rocsparse_index_base_b.kd
    .uniform_work_group_size: 1
    .uses_dynamic_stack: false
    .vgpr_count:     54
    .vgpr_spill_count: 0
    .wavefront_size: 64
  - .agpr_count:     0
    .args:
      - .offset:         0
        .size:           4
        .value_kind:     by_value
      - .offset:         4
        .size:           4
        .value_kind:     by_value
      - .offset:         8
        .size:           16
        .value_kind:     by_value
      - .actual_access:  read_only
        .address_space:  global
        .offset:         24
        .size:           8
        .value_kind:     global_buffer
      - .actual_access:  read_only
        .address_space:  global
        .offset:         32
        .size:           8
        .value_kind:     global_buffer
      - .actual_access:  read_only
        .address_space:  global
        .offset:         40
        .size:           8
        .value_kind:     global_buffer
      - .actual_access:  read_only
        .address_space:  global
        .offset:         48
        .size:           8
        .value_kind:     global_buffer
      - .offset:         56
        .size:           16
        .value_kind:     by_value
      - .address_space:  global
        .offset:         72
        .size:           8
        .value_kind:     global_buffer
      - .offset:         80
        .size:           4
        .value_kind:     by_value
      - .offset:         84
        .size:           1
        .value_kind:     by_value
    .group_segment_fixed_size: 0
    .kernarg_segment_align: 8
    .kernarg_segment_size: 88
    .language:       OpenCL C
    .language_version:
      - 2
      - 0
    .max_flat_workgroup_size: 128
    .name:           _ZN9rocsparseL19gebsrmvn_4xn_kernelILj128ELj1ELj32E21rocsparse_complex_numIdEEEvi20rocsparse_direction_NS_24const_host_device_scalarIT2_EEPKiS8_PKS5_SA_S6_PS5_21rocsparse_index_base_b
    .private_segment_fixed_size: 0
    .sgpr_count:     22
    .sgpr_spill_count: 0
    .symbol:         _ZN9rocsparseL19gebsrmvn_4xn_kernelILj128ELj1ELj32E21rocsparse_complex_numIdEEEvi20rocsparse_direction_NS_24const_host_device_scalarIT2_EEPKiS8_PKS5_SA_S6_PS5_21rocsparse_index_base_b.kd
    .uniform_work_group_size: 1
    .uses_dynamic_stack: false
    .vgpr_count:     54
    .vgpr_spill_count: 0
    .wavefront_size: 64
  - .agpr_count:     0
    .args:
      - .offset:         0
        .size:           4
        .value_kind:     by_value
      - .offset:         4
        .size:           4
        .value_kind:     by_value
      - .offset:         8
        .size:           16
        .value_kind:     by_value
      - .actual_access:  read_only
        .address_space:  global
        .offset:         24
        .size:           8
        .value_kind:     global_buffer
      - .actual_access:  read_only
        .address_space:  global
        .offset:         32
        .size:           8
        .value_kind:     global_buffer
      - .actual_access:  read_only
        .address_space:  global
        .offset:         40
        .size:           8
        .value_kind:     global_buffer
      - .actual_access:  read_only
        .address_space:  global
        .offset:         48
        .size:           8
        .value_kind:     global_buffer
      - .offset:         56
        .size:           16
        .value_kind:     by_value
      - .address_space:  global
        .offset:         72
        .size:           8
        .value_kind:     global_buffer
      - .offset:         80
        .size:           4
        .value_kind:     by_value
      - .offset:         84
        .size:           1
        .value_kind:     by_value
    .group_segment_fixed_size: 0
    .kernarg_segment_align: 8
    .kernarg_segment_size: 88
    .language:       OpenCL C
    .language_version:
      - 2
      - 0
    .max_flat_workgroup_size: 128
    .name:           _ZN9rocsparseL19gebsrmvn_4xn_kernelILj128ELj1ELj64E21rocsparse_complex_numIdEEEvi20rocsparse_direction_NS_24const_host_device_scalarIT2_EEPKiS8_PKS5_SA_S6_PS5_21rocsparse_index_base_b
    .private_segment_fixed_size: 0
    .sgpr_count:     22
    .sgpr_spill_count: 0
    .symbol:         _ZN9rocsparseL19gebsrmvn_4xn_kernelILj128ELj1ELj64E21rocsparse_complex_numIdEEEvi20rocsparse_direction_NS_24const_host_device_scalarIT2_EEPKiS8_PKS5_SA_S6_PS5_21rocsparse_index_base_b.kd
    .uniform_work_group_size: 1
    .uses_dynamic_stack: false
    .vgpr_count:     54
    .vgpr_spill_count: 0
    .wavefront_size: 64
  - .agpr_count:     0
    .args:
      - .offset:         0
        .size:           4
        .value_kind:     by_value
      - .offset:         4
        .size:           4
        .value_kind:     by_value
      - .offset:         8
        .size:           16
        .value_kind:     by_value
      - .actual_access:  read_only
        .address_space:  global
        .offset:         24
        .size:           8
        .value_kind:     global_buffer
      - .actual_access:  read_only
        .address_space:  global
        .offset:         32
        .size:           8
        .value_kind:     global_buffer
      - .actual_access:  read_only
        .address_space:  global
        .offset:         40
        .size:           8
        .value_kind:     global_buffer
      - .actual_access:  read_only
        .address_space:  global
        .offset:         48
        .size:           8
        .value_kind:     global_buffer
      - .offset:         56
        .size:           16
        .value_kind:     by_value
      - .address_space:  global
        .offset:         72
        .size:           8
        .value_kind:     global_buffer
      - .offset:         80
        .size:           4
        .value_kind:     by_value
      - .offset:         84
        .size:           1
        .value_kind:     by_value
    .group_segment_fixed_size: 0
    .kernarg_segment_align: 8
    .kernarg_segment_size: 88
    .language:       OpenCL C
    .language_version:
      - 2
      - 0
    .max_flat_workgroup_size: 128
    .name:           _ZN9rocsparseL19gebsrmvn_4xn_kernelILj128ELj2ELj4E21rocsparse_complex_numIdEEEvi20rocsparse_direction_NS_24const_host_device_scalarIT2_EEPKiS8_PKS5_SA_S6_PS5_21rocsparse_index_base_b
    .private_segment_fixed_size: 0
    .sgpr_count:     22
    .sgpr_spill_count: 0
    .symbol:         _ZN9rocsparseL19gebsrmvn_4xn_kernelILj128ELj2ELj4E21rocsparse_complex_numIdEEEvi20rocsparse_direction_NS_24const_host_device_scalarIT2_EEPKiS8_PKS5_SA_S6_PS5_21rocsparse_index_base_b.kd
    .uniform_work_group_size: 1
    .uses_dynamic_stack: false
    .vgpr_count:     76
    .vgpr_spill_count: 0
    .wavefront_size: 64
  - .agpr_count:     0
    .args:
      - .offset:         0
        .size:           4
        .value_kind:     by_value
      - .offset:         4
        .size:           4
        .value_kind:     by_value
      - .offset:         8
        .size:           16
        .value_kind:     by_value
      - .actual_access:  read_only
        .address_space:  global
        .offset:         24
        .size:           8
        .value_kind:     global_buffer
      - .actual_access:  read_only
        .address_space:  global
        .offset:         32
        .size:           8
        .value_kind:     global_buffer
      - .actual_access:  read_only
        .address_space:  global
        .offset:         40
        .size:           8
        .value_kind:     global_buffer
      - .actual_access:  read_only
        .address_space:  global
        .offset:         48
        .size:           8
        .value_kind:     global_buffer
      - .offset:         56
        .size:           16
        .value_kind:     by_value
      - .address_space:  global
        .offset:         72
        .size:           8
        .value_kind:     global_buffer
      - .offset:         80
        .size:           4
        .value_kind:     by_value
      - .offset:         84
        .size:           1
        .value_kind:     by_value
    .group_segment_fixed_size: 0
    .kernarg_segment_align: 8
    .kernarg_segment_size: 88
    .language:       OpenCL C
    .language_version:
      - 2
      - 0
    .max_flat_workgroup_size: 128
    .name:           _ZN9rocsparseL19gebsrmvn_4xn_kernelILj128ELj2ELj8E21rocsparse_complex_numIdEEEvi20rocsparse_direction_NS_24const_host_device_scalarIT2_EEPKiS8_PKS5_SA_S6_PS5_21rocsparse_index_base_b
    .private_segment_fixed_size: 0
    .sgpr_count:     22
    .sgpr_spill_count: 0
    .symbol:         _ZN9rocsparseL19gebsrmvn_4xn_kernelILj128ELj2ELj8E21rocsparse_complex_numIdEEEvi20rocsparse_direction_NS_24const_host_device_scalarIT2_EEPKiS8_PKS5_SA_S6_PS5_21rocsparse_index_base_b.kd
    .uniform_work_group_size: 1
    .uses_dynamic_stack: false
    .vgpr_count:     76
    .vgpr_spill_count: 0
    .wavefront_size: 64
  - .agpr_count:     0
    .args:
      - .offset:         0
        .size:           4
        .value_kind:     by_value
      - .offset:         4
        .size:           4
        .value_kind:     by_value
      - .offset:         8
        .size:           16
        .value_kind:     by_value
      - .actual_access:  read_only
        .address_space:  global
        .offset:         24
        .size:           8
        .value_kind:     global_buffer
      - .actual_access:  read_only
        .address_space:  global
        .offset:         32
        .size:           8
        .value_kind:     global_buffer
      - .actual_access:  read_only
        .address_space:  global
        .offset:         40
        .size:           8
        .value_kind:     global_buffer
      - .actual_access:  read_only
        .address_space:  global
        .offset:         48
        .size:           8
        .value_kind:     global_buffer
      - .offset:         56
        .size:           16
        .value_kind:     by_value
      - .address_space:  global
        .offset:         72
        .size:           8
        .value_kind:     global_buffer
      - .offset:         80
        .size:           4
        .value_kind:     by_value
      - .offset:         84
        .size:           1
        .value_kind:     by_value
    .group_segment_fixed_size: 0
    .kernarg_segment_align: 8
    .kernarg_segment_size: 88
    .language:       OpenCL C
    .language_version:
      - 2
      - 0
    .max_flat_workgroup_size: 128
    .name:           _ZN9rocsparseL19gebsrmvn_4xn_kernelILj128ELj2ELj16E21rocsparse_complex_numIdEEEvi20rocsparse_direction_NS_24const_host_device_scalarIT2_EEPKiS8_PKS5_SA_S6_PS5_21rocsparse_index_base_b
    .private_segment_fixed_size: 0
    .sgpr_count:     22
    .sgpr_spill_count: 0
    .symbol:         _ZN9rocsparseL19gebsrmvn_4xn_kernelILj128ELj2ELj16E21rocsparse_complex_numIdEEEvi20rocsparse_direction_NS_24const_host_device_scalarIT2_EEPKiS8_PKS5_SA_S6_PS5_21rocsparse_index_base_b.kd
    .uniform_work_group_size: 1
    .uses_dynamic_stack: false
    .vgpr_count:     76
    .vgpr_spill_count: 0
    .wavefront_size: 64
  - .agpr_count:     0
    .args:
      - .offset:         0
        .size:           4
        .value_kind:     by_value
      - .offset:         4
        .size:           4
        .value_kind:     by_value
      - .offset:         8
        .size:           16
        .value_kind:     by_value
      - .actual_access:  read_only
        .address_space:  global
        .offset:         24
        .size:           8
        .value_kind:     global_buffer
      - .actual_access:  read_only
        .address_space:  global
        .offset:         32
        .size:           8
        .value_kind:     global_buffer
      - .actual_access:  read_only
        .address_space:  global
        .offset:         40
        .size:           8
        .value_kind:     global_buffer
      - .actual_access:  read_only
        .address_space:  global
        .offset:         48
        .size:           8
        .value_kind:     global_buffer
      - .offset:         56
        .size:           16
        .value_kind:     by_value
      - .address_space:  global
        .offset:         72
        .size:           8
        .value_kind:     global_buffer
      - .offset:         80
        .size:           4
        .value_kind:     by_value
      - .offset:         84
        .size:           1
        .value_kind:     by_value
    .group_segment_fixed_size: 0
    .kernarg_segment_align: 8
    .kernarg_segment_size: 88
    .language:       OpenCL C
    .language_version:
      - 2
      - 0
    .max_flat_workgroup_size: 128
    .name:           _ZN9rocsparseL19gebsrmvn_4xn_kernelILj128ELj2ELj32E21rocsparse_complex_numIdEEEvi20rocsparse_direction_NS_24const_host_device_scalarIT2_EEPKiS8_PKS5_SA_S6_PS5_21rocsparse_index_base_b
    .private_segment_fixed_size: 0
    .sgpr_count:     22
    .sgpr_spill_count: 0
    .symbol:         _ZN9rocsparseL19gebsrmvn_4xn_kernelILj128ELj2ELj32E21rocsparse_complex_numIdEEEvi20rocsparse_direction_NS_24const_host_device_scalarIT2_EEPKiS8_PKS5_SA_S6_PS5_21rocsparse_index_base_b.kd
    .uniform_work_group_size: 1
    .uses_dynamic_stack: false
    .vgpr_count:     76
    .vgpr_spill_count: 0
    .wavefront_size: 64
  - .agpr_count:     0
    .args:
      - .offset:         0
        .size:           4
        .value_kind:     by_value
      - .offset:         4
        .size:           4
        .value_kind:     by_value
      - .offset:         8
        .size:           16
        .value_kind:     by_value
      - .actual_access:  read_only
        .address_space:  global
        .offset:         24
        .size:           8
        .value_kind:     global_buffer
      - .actual_access:  read_only
        .address_space:  global
        .offset:         32
        .size:           8
        .value_kind:     global_buffer
      - .actual_access:  read_only
        .address_space:  global
        .offset:         40
        .size:           8
        .value_kind:     global_buffer
      - .actual_access:  read_only
        .address_space:  global
        .offset:         48
        .size:           8
        .value_kind:     global_buffer
      - .offset:         56
        .size:           16
        .value_kind:     by_value
      - .address_space:  global
        .offset:         72
        .size:           8
        .value_kind:     global_buffer
      - .offset:         80
        .size:           4
        .value_kind:     by_value
      - .offset:         84
        .size:           1
        .value_kind:     by_value
    .group_segment_fixed_size: 0
    .kernarg_segment_align: 8
    .kernarg_segment_size: 88
    .language:       OpenCL C
    .language_version:
      - 2
      - 0
    .max_flat_workgroup_size: 128
    .name:           _ZN9rocsparseL19gebsrmvn_4xn_kernelILj128ELj2ELj64E21rocsparse_complex_numIdEEEvi20rocsparse_direction_NS_24const_host_device_scalarIT2_EEPKiS8_PKS5_SA_S6_PS5_21rocsparse_index_base_b
    .private_segment_fixed_size: 0
    .sgpr_count:     22
    .sgpr_spill_count: 0
    .symbol:         _ZN9rocsparseL19gebsrmvn_4xn_kernelILj128ELj2ELj64E21rocsparse_complex_numIdEEEvi20rocsparse_direction_NS_24const_host_device_scalarIT2_EEPKiS8_PKS5_SA_S6_PS5_21rocsparse_index_base_b.kd
    .uniform_work_group_size: 1
    .uses_dynamic_stack: false
    .vgpr_count:     76
    .vgpr_spill_count: 0
    .wavefront_size: 64
  - .agpr_count:     0
    .args:
      - .offset:         0
        .size:           4
        .value_kind:     by_value
      - .offset:         4
        .size:           4
        .value_kind:     by_value
      - .offset:         8
        .size:           16
        .value_kind:     by_value
      - .actual_access:  read_only
        .address_space:  global
        .offset:         24
        .size:           8
        .value_kind:     global_buffer
      - .actual_access:  read_only
        .address_space:  global
        .offset:         32
        .size:           8
        .value_kind:     global_buffer
      - .actual_access:  read_only
        .address_space:  global
        .offset:         40
        .size:           8
        .value_kind:     global_buffer
      - .actual_access:  read_only
        .address_space:  global
        .offset:         48
        .size:           8
        .value_kind:     global_buffer
      - .offset:         56
        .size:           16
        .value_kind:     by_value
      - .address_space:  global
        .offset:         72
        .size:           8
        .value_kind:     global_buffer
      - .offset:         80
        .size:           4
        .value_kind:     by_value
      - .offset:         84
        .size:           1
        .value_kind:     by_value
    .group_segment_fixed_size: 0
    .kernarg_segment_align: 8
    .kernarg_segment_size: 88
    .language:       OpenCL C
    .language_version:
      - 2
      - 0
    .max_flat_workgroup_size: 128
    .name:           _ZN9rocsparseL19gebsrmvn_4xn_kernelILj128ELj3ELj4E21rocsparse_complex_numIdEEEvi20rocsparse_direction_NS_24const_host_device_scalarIT2_EEPKiS8_PKS5_SA_S6_PS5_21rocsparse_index_base_b
    .private_segment_fixed_size: 0
    .sgpr_count:     22
    .sgpr_spill_count: 0
    .symbol:         _ZN9rocsparseL19gebsrmvn_4xn_kernelILj128ELj3ELj4E21rocsparse_complex_numIdEEEvi20rocsparse_direction_NS_24const_host_device_scalarIT2_EEPKiS8_PKS5_SA_S6_PS5_21rocsparse_index_base_b.kd
    .uniform_work_group_size: 1
    .uses_dynamic_stack: false
    .vgpr_count:     98
    .vgpr_spill_count: 0
    .wavefront_size: 64
  - .agpr_count:     0
    .args:
      - .offset:         0
        .size:           4
        .value_kind:     by_value
      - .offset:         4
        .size:           4
        .value_kind:     by_value
      - .offset:         8
        .size:           16
        .value_kind:     by_value
      - .actual_access:  read_only
        .address_space:  global
        .offset:         24
        .size:           8
        .value_kind:     global_buffer
      - .actual_access:  read_only
        .address_space:  global
        .offset:         32
        .size:           8
        .value_kind:     global_buffer
      - .actual_access:  read_only
        .address_space:  global
        .offset:         40
        .size:           8
        .value_kind:     global_buffer
      - .actual_access:  read_only
        .address_space:  global
        .offset:         48
        .size:           8
        .value_kind:     global_buffer
      - .offset:         56
        .size:           16
        .value_kind:     by_value
      - .address_space:  global
        .offset:         72
        .size:           8
        .value_kind:     global_buffer
      - .offset:         80
        .size:           4
        .value_kind:     by_value
      - .offset:         84
        .size:           1
        .value_kind:     by_value
    .group_segment_fixed_size: 0
    .kernarg_segment_align: 8
    .kernarg_segment_size: 88
    .language:       OpenCL C
    .language_version:
      - 2
      - 0
    .max_flat_workgroup_size: 128
    .name:           _ZN9rocsparseL19gebsrmvn_4xn_kernelILj128ELj3ELj8E21rocsparse_complex_numIdEEEvi20rocsparse_direction_NS_24const_host_device_scalarIT2_EEPKiS8_PKS5_SA_S6_PS5_21rocsparse_index_base_b
    .private_segment_fixed_size: 0
    .sgpr_count:     22
    .sgpr_spill_count: 0
    .symbol:         _ZN9rocsparseL19gebsrmvn_4xn_kernelILj128ELj3ELj8E21rocsparse_complex_numIdEEEvi20rocsparse_direction_NS_24const_host_device_scalarIT2_EEPKiS8_PKS5_SA_S6_PS5_21rocsparse_index_base_b.kd
    .uniform_work_group_size: 1
    .uses_dynamic_stack: false
    .vgpr_count:     98
    .vgpr_spill_count: 0
    .wavefront_size: 64
  - .agpr_count:     0
    .args:
      - .offset:         0
        .size:           4
        .value_kind:     by_value
      - .offset:         4
        .size:           4
        .value_kind:     by_value
      - .offset:         8
        .size:           16
        .value_kind:     by_value
      - .actual_access:  read_only
        .address_space:  global
        .offset:         24
        .size:           8
        .value_kind:     global_buffer
      - .actual_access:  read_only
        .address_space:  global
        .offset:         32
        .size:           8
        .value_kind:     global_buffer
      - .actual_access:  read_only
        .address_space:  global
        .offset:         40
        .size:           8
        .value_kind:     global_buffer
      - .actual_access:  read_only
        .address_space:  global
        .offset:         48
        .size:           8
        .value_kind:     global_buffer
      - .offset:         56
        .size:           16
        .value_kind:     by_value
      - .address_space:  global
        .offset:         72
        .size:           8
        .value_kind:     global_buffer
      - .offset:         80
        .size:           4
        .value_kind:     by_value
      - .offset:         84
        .size:           1
        .value_kind:     by_value
    .group_segment_fixed_size: 0
    .kernarg_segment_align: 8
    .kernarg_segment_size: 88
    .language:       OpenCL C
    .language_version:
      - 2
      - 0
    .max_flat_workgroup_size: 128
    .name:           _ZN9rocsparseL19gebsrmvn_4xn_kernelILj128ELj3ELj16E21rocsparse_complex_numIdEEEvi20rocsparse_direction_NS_24const_host_device_scalarIT2_EEPKiS8_PKS5_SA_S6_PS5_21rocsparse_index_base_b
    .private_segment_fixed_size: 0
    .sgpr_count:     22
    .sgpr_spill_count: 0
    .symbol:         _ZN9rocsparseL19gebsrmvn_4xn_kernelILj128ELj3ELj16E21rocsparse_complex_numIdEEEvi20rocsparse_direction_NS_24const_host_device_scalarIT2_EEPKiS8_PKS5_SA_S6_PS5_21rocsparse_index_base_b.kd
    .uniform_work_group_size: 1
    .uses_dynamic_stack: false
    .vgpr_count:     98
    .vgpr_spill_count: 0
    .wavefront_size: 64
  - .agpr_count:     0
    .args:
      - .offset:         0
        .size:           4
        .value_kind:     by_value
      - .offset:         4
        .size:           4
        .value_kind:     by_value
      - .offset:         8
        .size:           16
        .value_kind:     by_value
      - .actual_access:  read_only
        .address_space:  global
        .offset:         24
        .size:           8
        .value_kind:     global_buffer
      - .actual_access:  read_only
        .address_space:  global
        .offset:         32
        .size:           8
        .value_kind:     global_buffer
      - .actual_access:  read_only
        .address_space:  global
        .offset:         40
        .size:           8
        .value_kind:     global_buffer
      - .actual_access:  read_only
        .address_space:  global
        .offset:         48
        .size:           8
        .value_kind:     global_buffer
      - .offset:         56
        .size:           16
        .value_kind:     by_value
      - .address_space:  global
        .offset:         72
        .size:           8
        .value_kind:     global_buffer
      - .offset:         80
        .size:           4
        .value_kind:     by_value
      - .offset:         84
        .size:           1
        .value_kind:     by_value
    .group_segment_fixed_size: 0
    .kernarg_segment_align: 8
    .kernarg_segment_size: 88
    .language:       OpenCL C
    .language_version:
      - 2
      - 0
    .max_flat_workgroup_size: 128
    .name:           _ZN9rocsparseL19gebsrmvn_4xn_kernelILj128ELj3ELj32E21rocsparse_complex_numIdEEEvi20rocsparse_direction_NS_24const_host_device_scalarIT2_EEPKiS8_PKS5_SA_S6_PS5_21rocsparse_index_base_b
    .private_segment_fixed_size: 0
    .sgpr_count:     22
    .sgpr_spill_count: 0
    .symbol:         _ZN9rocsparseL19gebsrmvn_4xn_kernelILj128ELj3ELj32E21rocsparse_complex_numIdEEEvi20rocsparse_direction_NS_24const_host_device_scalarIT2_EEPKiS8_PKS5_SA_S6_PS5_21rocsparse_index_base_b.kd
    .uniform_work_group_size: 1
    .uses_dynamic_stack: false
    .vgpr_count:     98
    .vgpr_spill_count: 0
    .wavefront_size: 64
  - .agpr_count:     0
    .args:
      - .offset:         0
        .size:           4
        .value_kind:     by_value
      - .offset:         4
        .size:           4
        .value_kind:     by_value
      - .offset:         8
        .size:           16
        .value_kind:     by_value
      - .actual_access:  read_only
        .address_space:  global
        .offset:         24
        .size:           8
        .value_kind:     global_buffer
      - .actual_access:  read_only
        .address_space:  global
        .offset:         32
        .size:           8
        .value_kind:     global_buffer
      - .actual_access:  read_only
        .address_space:  global
        .offset:         40
        .size:           8
        .value_kind:     global_buffer
      - .actual_access:  read_only
        .address_space:  global
        .offset:         48
        .size:           8
        .value_kind:     global_buffer
      - .offset:         56
        .size:           16
        .value_kind:     by_value
      - .address_space:  global
        .offset:         72
        .size:           8
        .value_kind:     global_buffer
      - .offset:         80
        .size:           4
        .value_kind:     by_value
      - .offset:         84
        .size:           1
        .value_kind:     by_value
    .group_segment_fixed_size: 0
    .kernarg_segment_align: 8
    .kernarg_segment_size: 88
    .language:       OpenCL C
    .language_version:
      - 2
      - 0
    .max_flat_workgroup_size: 128
    .name:           _ZN9rocsparseL19gebsrmvn_4xn_kernelILj128ELj3ELj64E21rocsparse_complex_numIdEEEvi20rocsparse_direction_NS_24const_host_device_scalarIT2_EEPKiS8_PKS5_SA_S6_PS5_21rocsparse_index_base_b
    .private_segment_fixed_size: 0
    .sgpr_count:     22
    .sgpr_spill_count: 0
    .symbol:         _ZN9rocsparseL19gebsrmvn_4xn_kernelILj128ELj3ELj64E21rocsparse_complex_numIdEEEvi20rocsparse_direction_NS_24const_host_device_scalarIT2_EEPKiS8_PKS5_SA_S6_PS5_21rocsparse_index_base_b.kd
    .uniform_work_group_size: 1
    .uses_dynamic_stack: false
    .vgpr_count:     98
    .vgpr_spill_count: 0
    .wavefront_size: 64
  - .agpr_count:     0
    .args:
      - .offset:         0
        .size:           4
        .value_kind:     by_value
      - .offset:         4
        .size:           4
        .value_kind:     by_value
      - .offset:         8
        .size:           16
        .value_kind:     by_value
      - .actual_access:  read_only
        .address_space:  global
        .offset:         24
        .size:           8
        .value_kind:     global_buffer
      - .actual_access:  read_only
        .address_space:  global
        .offset:         32
        .size:           8
        .value_kind:     global_buffer
      - .actual_access:  read_only
        .address_space:  global
        .offset:         40
        .size:           8
        .value_kind:     global_buffer
      - .actual_access:  read_only
        .address_space:  global
        .offset:         48
        .size:           8
        .value_kind:     global_buffer
      - .offset:         56
        .size:           16
        .value_kind:     by_value
      - .address_space:  global
        .offset:         72
        .size:           8
        .value_kind:     global_buffer
      - .offset:         80
        .size:           4
        .value_kind:     by_value
      - .offset:         84
        .size:           1
        .value_kind:     by_value
    .group_segment_fixed_size: 0
    .kernarg_segment_align: 8
    .kernarg_segment_size: 88
    .language:       OpenCL C
    .language_version:
      - 2
      - 0
    .max_flat_workgroup_size: 128
    .name:           _ZN9rocsparseL19gebsrmvn_4xn_kernelILj128ELj5ELj4E21rocsparse_complex_numIdEEEvi20rocsparse_direction_NS_24const_host_device_scalarIT2_EEPKiS8_PKS5_SA_S6_PS5_21rocsparse_index_base_b
    .private_segment_fixed_size: 0
    .sgpr_count:     22
    .sgpr_spill_count: 0
    .symbol:         _ZN9rocsparseL19gebsrmvn_4xn_kernelILj128ELj5ELj4E21rocsparse_complex_numIdEEEvi20rocsparse_direction_NS_24const_host_device_scalarIT2_EEPKiS8_PKS5_SA_S6_PS5_21rocsparse_index_base_b.kd
    .uniform_work_group_size: 1
    .uses_dynamic_stack: false
    .vgpr_count:     92
    .vgpr_spill_count: 0
    .wavefront_size: 64
  - .agpr_count:     0
    .args:
      - .offset:         0
        .size:           4
        .value_kind:     by_value
      - .offset:         4
        .size:           4
        .value_kind:     by_value
      - .offset:         8
        .size:           16
        .value_kind:     by_value
      - .actual_access:  read_only
        .address_space:  global
        .offset:         24
        .size:           8
        .value_kind:     global_buffer
      - .actual_access:  read_only
        .address_space:  global
        .offset:         32
        .size:           8
        .value_kind:     global_buffer
      - .actual_access:  read_only
        .address_space:  global
        .offset:         40
        .size:           8
        .value_kind:     global_buffer
      - .actual_access:  read_only
        .address_space:  global
        .offset:         48
        .size:           8
        .value_kind:     global_buffer
      - .offset:         56
        .size:           16
        .value_kind:     by_value
      - .address_space:  global
        .offset:         72
        .size:           8
        .value_kind:     global_buffer
      - .offset:         80
        .size:           4
        .value_kind:     by_value
      - .offset:         84
        .size:           1
        .value_kind:     by_value
    .group_segment_fixed_size: 0
    .kernarg_segment_align: 8
    .kernarg_segment_size: 88
    .language:       OpenCL C
    .language_version:
      - 2
      - 0
    .max_flat_workgroup_size: 128
    .name:           _ZN9rocsparseL19gebsrmvn_4xn_kernelILj128ELj5ELj8E21rocsparse_complex_numIdEEEvi20rocsparse_direction_NS_24const_host_device_scalarIT2_EEPKiS8_PKS5_SA_S6_PS5_21rocsparse_index_base_b
    .private_segment_fixed_size: 0
    .sgpr_count:     22
    .sgpr_spill_count: 0
    .symbol:         _ZN9rocsparseL19gebsrmvn_4xn_kernelILj128ELj5ELj8E21rocsparse_complex_numIdEEEvi20rocsparse_direction_NS_24const_host_device_scalarIT2_EEPKiS8_PKS5_SA_S6_PS5_21rocsparse_index_base_b.kd
    .uniform_work_group_size: 1
    .uses_dynamic_stack: false
    .vgpr_count:     92
    .vgpr_spill_count: 0
    .wavefront_size: 64
  - .agpr_count:     0
    .args:
      - .offset:         0
        .size:           4
        .value_kind:     by_value
      - .offset:         4
        .size:           4
        .value_kind:     by_value
      - .offset:         8
        .size:           16
        .value_kind:     by_value
      - .actual_access:  read_only
        .address_space:  global
        .offset:         24
        .size:           8
        .value_kind:     global_buffer
      - .actual_access:  read_only
        .address_space:  global
        .offset:         32
        .size:           8
        .value_kind:     global_buffer
      - .actual_access:  read_only
        .address_space:  global
        .offset:         40
        .size:           8
        .value_kind:     global_buffer
      - .actual_access:  read_only
        .address_space:  global
        .offset:         48
        .size:           8
        .value_kind:     global_buffer
      - .offset:         56
        .size:           16
        .value_kind:     by_value
      - .address_space:  global
        .offset:         72
        .size:           8
        .value_kind:     global_buffer
      - .offset:         80
        .size:           4
        .value_kind:     by_value
      - .offset:         84
        .size:           1
        .value_kind:     by_value
    .group_segment_fixed_size: 0
    .kernarg_segment_align: 8
    .kernarg_segment_size: 88
    .language:       OpenCL C
    .language_version:
      - 2
      - 0
    .max_flat_workgroup_size: 128
    .name:           _ZN9rocsparseL19gebsrmvn_4xn_kernelILj128ELj5ELj16E21rocsparse_complex_numIdEEEvi20rocsparse_direction_NS_24const_host_device_scalarIT2_EEPKiS8_PKS5_SA_S6_PS5_21rocsparse_index_base_b
    .private_segment_fixed_size: 0
    .sgpr_count:     22
    .sgpr_spill_count: 0
    .symbol:         _ZN9rocsparseL19gebsrmvn_4xn_kernelILj128ELj5ELj16E21rocsparse_complex_numIdEEEvi20rocsparse_direction_NS_24const_host_device_scalarIT2_EEPKiS8_PKS5_SA_S6_PS5_21rocsparse_index_base_b.kd
    .uniform_work_group_size: 1
    .uses_dynamic_stack: false
    .vgpr_count:     92
    .vgpr_spill_count: 0
    .wavefront_size: 64
  - .agpr_count:     0
    .args:
      - .offset:         0
        .size:           4
        .value_kind:     by_value
      - .offset:         4
        .size:           4
        .value_kind:     by_value
      - .offset:         8
        .size:           16
        .value_kind:     by_value
      - .actual_access:  read_only
        .address_space:  global
        .offset:         24
        .size:           8
        .value_kind:     global_buffer
      - .actual_access:  read_only
        .address_space:  global
        .offset:         32
        .size:           8
        .value_kind:     global_buffer
      - .actual_access:  read_only
        .address_space:  global
        .offset:         40
        .size:           8
        .value_kind:     global_buffer
      - .actual_access:  read_only
        .address_space:  global
        .offset:         48
        .size:           8
        .value_kind:     global_buffer
      - .offset:         56
        .size:           16
        .value_kind:     by_value
      - .address_space:  global
        .offset:         72
        .size:           8
        .value_kind:     global_buffer
      - .offset:         80
        .size:           4
        .value_kind:     by_value
      - .offset:         84
        .size:           1
        .value_kind:     by_value
    .group_segment_fixed_size: 0
    .kernarg_segment_align: 8
    .kernarg_segment_size: 88
    .language:       OpenCL C
    .language_version:
      - 2
      - 0
    .max_flat_workgroup_size: 128
    .name:           _ZN9rocsparseL19gebsrmvn_4xn_kernelILj128ELj5ELj32E21rocsparse_complex_numIdEEEvi20rocsparse_direction_NS_24const_host_device_scalarIT2_EEPKiS8_PKS5_SA_S6_PS5_21rocsparse_index_base_b
    .private_segment_fixed_size: 0
    .sgpr_count:     22
    .sgpr_spill_count: 0
    .symbol:         _ZN9rocsparseL19gebsrmvn_4xn_kernelILj128ELj5ELj32E21rocsparse_complex_numIdEEEvi20rocsparse_direction_NS_24const_host_device_scalarIT2_EEPKiS8_PKS5_SA_S6_PS5_21rocsparse_index_base_b.kd
    .uniform_work_group_size: 1
    .uses_dynamic_stack: false
    .vgpr_count:     92
    .vgpr_spill_count: 0
    .wavefront_size: 64
  - .agpr_count:     0
    .args:
      - .offset:         0
        .size:           4
        .value_kind:     by_value
      - .offset:         4
        .size:           4
        .value_kind:     by_value
      - .offset:         8
        .size:           16
        .value_kind:     by_value
      - .actual_access:  read_only
        .address_space:  global
        .offset:         24
        .size:           8
        .value_kind:     global_buffer
      - .actual_access:  read_only
        .address_space:  global
        .offset:         32
        .size:           8
        .value_kind:     global_buffer
      - .actual_access:  read_only
        .address_space:  global
        .offset:         40
        .size:           8
        .value_kind:     global_buffer
      - .actual_access:  read_only
        .address_space:  global
        .offset:         48
        .size:           8
        .value_kind:     global_buffer
      - .offset:         56
        .size:           16
        .value_kind:     by_value
      - .address_space:  global
        .offset:         72
        .size:           8
        .value_kind:     global_buffer
      - .offset:         80
        .size:           4
        .value_kind:     by_value
      - .offset:         84
        .size:           1
        .value_kind:     by_value
    .group_segment_fixed_size: 0
    .kernarg_segment_align: 8
    .kernarg_segment_size: 88
    .language:       OpenCL C
    .language_version:
      - 2
      - 0
    .max_flat_workgroup_size: 128
    .name:           _ZN9rocsparseL19gebsrmvn_4xn_kernelILj128ELj5ELj64E21rocsparse_complex_numIdEEEvi20rocsparse_direction_NS_24const_host_device_scalarIT2_EEPKiS8_PKS5_SA_S6_PS5_21rocsparse_index_base_b
    .private_segment_fixed_size: 0
    .sgpr_count:     22
    .sgpr_spill_count: 0
    .symbol:         _ZN9rocsparseL19gebsrmvn_4xn_kernelILj128ELj5ELj64E21rocsparse_complex_numIdEEEvi20rocsparse_direction_NS_24const_host_device_scalarIT2_EEPKiS8_PKS5_SA_S6_PS5_21rocsparse_index_base_b.kd
    .uniform_work_group_size: 1
    .uses_dynamic_stack: false
    .vgpr_count:     92
    .vgpr_spill_count: 0
    .wavefront_size: 64
  - .agpr_count:     0
    .args:
      - .offset:         0
        .size:           4
        .value_kind:     by_value
      - .offset:         4
        .size:           4
        .value_kind:     by_value
      - .offset:         8
        .size:           16
        .value_kind:     by_value
      - .actual_access:  read_only
        .address_space:  global
        .offset:         24
        .size:           8
        .value_kind:     global_buffer
      - .actual_access:  read_only
        .address_space:  global
        .offset:         32
        .size:           8
        .value_kind:     global_buffer
      - .actual_access:  read_only
        .address_space:  global
        .offset:         40
        .size:           8
        .value_kind:     global_buffer
      - .actual_access:  read_only
        .address_space:  global
        .offset:         48
        .size:           8
        .value_kind:     global_buffer
      - .offset:         56
        .size:           16
        .value_kind:     by_value
      - .address_space:  global
        .offset:         72
        .size:           8
        .value_kind:     global_buffer
      - .offset:         80
        .size:           4
        .value_kind:     by_value
      - .offset:         84
        .size:           1
        .value_kind:     by_value
    .group_segment_fixed_size: 0
    .kernarg_segment_align: 8
    .kernarg_segment_size: 88
    .language:       OpenCL C
    .language_version:
      - 2
      - 0
    .max_flat_workgroup_size: 128
    .name:           _ZN9rocsparseL19gebsrmvn_4xn_kernelILj128ELj6ELj4E21rocsparse_complex_numIdEEEvi20rocsparse_direction_NS_24const_host_device_scalarIT2_EEPKiS8_PKS5_SA_S6_PS5_21rocsparse_index_base_b
    .private_segment_fixed_size: 0
    .sgpr_count:     22
    .sgpr_spill_count: 0
    .symbol:         _ZN9rocsparseL19gebsrmvn_4xn_kernelILj128ELj6ELj4E21rocsparse_complex_numIdEEEvi20rocsparse_direction_NS_24const_host_device_scalarIT2_EEPKiS8_PKS5_SA_S6_PS5_21rocsparse_index_base_b.kd
    .uniform_work_group_size: 1
    .uses_dynamic_stack: false
    .vgpr_count:     94
    .vgpr_spill_count: 0
    .wavefront_size: 64
  - .agpr_count:     0
    .args:
      - .offset:         0
        .size:           4
        .value_kind:     by_value
      - .offset:         4
        .size:           4
        .value_kind:     by_value
      - .offset:         8
        .size:           16
        .value_kind:     by_value
      - .actual_access:  read_only
        .address_space:  global
        .offset:         24
        .size:           8
        .value_kind:     global_buffer
      - .actual_access:  read_only
        .address_space:  global
        .offset:         32
        .size:           8
        .value_kind:     global_buffer
      - .actual_access:  read_only
        .address_space:  global
        .offset:         40
        .size:           8
        .value_kind:     global_buffer
      - .actual_access:  read_only
        .address_space:  global
        .offset:         48
        .size:           8
        .value_kind:     global_buffer
      - .offset:         56
        .size:           16
        .value_kind:     by_value
      - .address_space:  global
        .offset:         72
        .size:           8
        .value_kind:     global_buffer
      - .offset:         80
        .size:           4
        .value_kind:     by_value
      - .offset:         84
        .size:           1
        .value_kind:     by_value
    .group_segment_fixed_size: 0
    .kernarg_segment_align: 8
    .kernarg_segment_size: 88
    .language:       OpenCL C
    .language_version:
      - 2
      - 0
    .max_flat_workgroup_size: 128
    .name:           _ZN9rocsparseL19gebsrmvn_4xn_kernelILj128ELj6ELj8E21rocsparse_complex_numIdEEEvi20rocsparse_direction_NS_24const_host_device_scalarIT2_EEPKiS8_PKS5_SA_S6_PS5_21rocsparse_index_base_b
    .private_segment_fixed_size: 0
    .sgpr_count:     22
    .sgpr_spill_count: 0
    .symbol:         _ZN9rocsparseL19gebsrmvn_4xn_kernelILj128ELj6ELj8E21rocsparse_complex_numIdEEEvi20rocsparse_direction_NS_24const_host_device_scalarIT2_EEPKiS8_PKS5_SA_S6_PS5_21rocsparse_index_base_b.kd
    .uniform_work_group_size: 1
    .uses_dynamic_stack: false
    .vgpr_count:     94
    .vgpr_spill_count: 0
    .wavefront_size: 64
  - .agpr_count:     0
    .args:
      - .offset:         0
        .size:           4
        .value_kind:     by_value
      - .offset:         4
        .size:           4
        .value_kind:     by_value
      - .offset:         8
        .size:           16
        .value_kind:     by_value
      - .actual_access:  read_only
        .address_space:  global
        .offset:         24
        .size:           8
        .value_kind:     global_buffer
      - .actual_access:  read_only
        .address_space:  global
        .offset:         32
        .size:           8
        .value_kind:     global_buffer
      - .actual_access:  read_only
        .address_space:  global
        .offset:         40
        .size:           8
        .value_kind:     global_buffer
      - .actual_access:  read_only
        .address_space:  global
        .offset:         48
        .size:           8
        .value_kind:     global_buffer
      - .offset:         56
        .size:           16
        .value_kind:     by_value
      - .address_space:  global
        .offset:         72
        .size:           8
        .value_kind:     global_buffer
      - .offset:         80
        .size:           4
        .value_kind:     by_value
      - .offset:         84
        .size:           1
        .value_kind:     by_value
    .group_segment_fixed_size: 0
    .kernarg_segment_align: 8
    .kernarg_segment_size: 88
    .language:       OpenCL C
    .language_version:
      - 2
      - 0
    .max_flat_workgroup_size: 128
    .name:           _ZN9rocsparseL19gebsrmvn_4xn_kernelILj128ELj6ELj16E21rocsparse_complex_numIdEEEvi20rocsparse_direction_NS_24const_host_device_scalarIT2_EEPKiS8_PKS5_SA_S6_PS5_21rocsparse_index_base_b
    .private_segment_fixed_size: 0
    .sgpr_count:     22
    .sgpr_spill_count: 0
    .symbol:         _ZN9rocsparseL19gebsrmvn_4xn_kernelILj128ELj6ELj16E21rocsparse_complex_numIdEEEvi20rocsparse_direction_NS_24const_host_device_scalarIT2_EEPKiS8_PKS5_SA_S6_PS5_21rocsparse_index_base_b.kd
    .uniform_work_group_size: 1
    .uses_dynamic_stack: false
    .vgpr_count:     94
    .vgpr_spill_count: 0
    .wavefront_size: 64
  - .agpr_count:     0
    .args:
      - .offset:         0
        .size:           4
        .value_kind:     by_value
      - .offset:         4
        .size:           4
        .value_kind:     by_value
      - .offset:         8
        .size:           16
        .value_kind:     by_value
      - .actual_access:  read_only
        .address_space:  global
        .offset:         24
        .size:           8
        .value_kind:     global_buffer
      - .actual_access:  read_only
        .address_space:  global
        .offset:         32
        .size:           8
        .value_kind:     global_buffer
      - .actual_access:  read_only
        .address_space:  global
        .offset:         40
        .size:           8
        .value_kind:     global_buffer
      - .actual_access:  read_only
        .address_space:  global
        .offset:         48
        .size:           8
        .value_kind:     global_buffer
      - .offset:         56
        .size:           16
        .value_kind:     by_value
      - .address_space:  global
        .offset:         72
        .size:           8
        .value_kind:     global_buffer
      - .offset:         80
        .size:           4
        .value_kind:     by_value
      - .offset:         84
        .size:           1
        .value_kind:     by_value
    .group_segment_fixed_size: 0
    .kernarg_segment_align: 8
    .kernarg_segment_size: 88
    .language:       OpenCL C
    .language_version:
      - 2
      - 0
    .max_flat_workgroup_size: 128
    .name:           _ZN9rocsparseL19gebsrmvn_4xn_kernelILj128ELj6ELj32E21rocsparse_complex_numIdEEEvi20rocsparse_direction_NS_24const_host_device_scalarIT2_EEPKiS8_PKS5_SA_S6_PS5_21rocsparse_index_base_b
    .private_segment_fixed_size: 0
    .sgpr_count:     22
    .sgpr_spill_count: 0
    .symbol:         _ZN9rocsparseL19gebsrmvn_4xn_kernelILj128ELj6ELj32E21rocsparse_complex_numIdEEEvi20rocsparse_direction_NS_24const_host_device_scalarIT2_EEPKiS8_PKS5_SA_S6_PS5_21rocsparse_index_base_b.kd
    .uniform_work_group_size: 1
    .uses_dynamic_stack: false
    .vgpr_count:     94
    .vgpr_spill_count: 0
    .wavefront_size: 64
  - .agpr_count:     0
    .args:
      - .offset:         0
        .size:           4
        .value_kind:     by_value
      - .offset:         4
        .size:           4
        .value_kind:     by_value
      - .offset:         8
        .size:           16
        .value_kind:     by_value
      - .actual_access:  read_only
        .address_space:  global
        .offset:         24
        .size:           8
        .value_kind:     global_buffer
      - .actual_access:  read_only
        .address_space:  global
        .offset:         32
        .size:           8
        .value_kind:     global_buffer
      - .actual_access:  read_only
        .address_space:  global
        .offset:         40
        .size:           8
        .value_kind:     global_buffer
      - .actual_access:  read_only
        .address_space:  global
        .offset:         48
        .size:           8
        .value_kind:     global_buffer
      - .offset:         56
        .size:           16
        .value_kind:     by_value
      - .address_space:  global
        .offset:         72
        .size:           8
        .value_kind:     global_buffer
      - .offset:         80
        .size:           4
        .value_kind:     by_value
      - .offset:         84
        .size:           1
        .value_kind:     by_value
    .group_segment_fixed_size: 0
    .kernarg_segment_align: 8
    .kernarg_segment_size: 88
    .language:       OpenCL C
    .language_version:
      - 2
      - 0
    .max_flat_workgroup_size: 128
    .name:           _ZN9rocsparseL19gebsrmvn_4xn_kernelILj128ELj6ELj64E21rocsparse_complex_numIdEEEvi20rocsparse_direction_NS_24const_host_device_scalarIT2_EEPKiS8_PKS5_SA_S6_PS5_21rocsparse_index_base_b
    .private_segment_fixed_size: 0
    .sgpr_count:     22
    .sgpr_spill_count: 0
    .symbol:         _ZN9rocsparseL19gebsrmvn_4xn_kernelILj128ELj6ELj64E21rocsparse_complex_numIdEEEvi20rocsparse_direction_NS_24const_host_device_scalarIT2_EEPKiS8_PKS5_SA_S6_PS5_21rocsparse_index_base_b.kd
    .uniform_work_group_size: 1
    .uses_dynamic_stack: false
    .vgpr_count:     94
    .vgpr_spill_count: 0
    .wavefront_size: 64
  - .agpr_count:     0
    .args:
      - .offset:         0
        .size:           4
        .value_kind:     by_value
      - .offset:         4
        .size:           4
        .value_kind:     by_value
      - .offset:         8
        .size:           16
        .value_kind:     by_value
      - .actual_access:  read_only
        .address_space:  global
        .offset:         24
        .size:           8
        .value_kind:     global_buffer
      - .actual_access:  read_only
        .address_space:  global
        .offset:         32
        .size:           8
        .value_kind:     global_buffer
      - .actual_access:  read_only
        .address_space:  global
        .offset:         40
        .size:           8
        .value_kind:     global_buffer
      - .actual_access:  read_only
        .address_space:  global
        .offset:         48
        .size:           8
        .value_kind:     global_buffer
      - .offset:         56
        .size:           16
        .value_kind:     by_value
      - .address_space:  global
        .offset:         72
        .size:           8
        .value_kind:     global_buffer
      - .offset:         80
        .size:           4
        .value_kind:     by_value
      - .offset:         84
        .size:           1
        .value_kind:     by_value
    .group_segment_fixed_size: 0
    .kernarg_segment_align: 8
    .kernarg_segment_size: 88
    .language:       OpenCL C
    .language_version:
      - 2
      - 0
    .max_flat_workgroup_size: 128
    .name:           _ZN9rocsparseL19gebsrmvn_4xn_kernelILj128ELj7ELj4E21rocsparse_complex_numIdEEEvi20rocsparse_direction_NS_24const_host_device_scalarIT2_EEPKiS8_PKS5_SA_S6_PS5_21rocsparse_index_base_b
    .private_segment_fixed_size: 0
    .sgpr_count:     22
    .sgpr_spill_count: 0
    .symbol:         _ZN9rocsparseL19gebsrmvn_4xn_kernelILj128ELj7ELj4E21rocsparse_complex_numIdEEEvi20rocsparse_direction_NS_24const_host_device_scalarIT2_EEPKiS8_PKS5_SA_S6_PS5_21rocsparse_index_base_b.kd
    .uniform_work_group_size: 1
    .uses_dynamic_stack: false
    .vgpr_count:     92
    .vgpr_spill_count: 0
    .wavefront_size: 64
  - .agpr_count:     0
    .args:
      - .offset:         0
        .size:           4
        .value_kind:     by_value
      - .offset:         4
        .size:           4
        .value_kind:     by_value
      - .offset:         8
        .size:           16
        .value_kind:     by_value
      - .actual_access:  read_only
        .address_space:  global
        .offset:         24
        .size:           8
        .value_kind:     global_buffer
      - .actual_access:  read_only
        .address_space:  global
        .offset:         32
        .size:           8
        .value_kind:     global_buffer
      - .actual_access:  read_only
        .address_space:  global
        .offset:         40
        .size:           8
        .value_kind:     global_buffer
      - .actual_access:  read_only
        .address_space:  global
        .offset:         48
        .size:           8
        .value_kind:     global_buffer
      - .offset:         56
        .size:           16
        .value_kind:     by_value
      - .address_space:  global
        .offset:         72
        .size:           8
        .value_kind:     global_buffer
      - .offset:         80
        .size:           4
        .value_kind:     by_value
      - .offset:         84
        .size:           1
        .value_kind:     by_value
    .group_segment_fixed_size: 0
    .kernarg_segment_align: 8
    .kernarg_segment_size: 88
    .language:       OpenCL C
    .language_version:
      - 2
      - 0
    .max_flat_workgroup_size: 128
    .name:           _ZN9rocsparseL19gebsrmvn_4xn_kernelILj128ELj7ELj8E21rocsparse_complex_numIdEEEvi20rocsparse_direction_NS_24const_host_device_scalarIT2_EEPKiS8_PKS5_SA_S6_PS5_21rocsparse_index_base_b
    .private_segment_fixed_size: 0
    .sgpr_count:     22
    .sgpr_spill_count: 0
    .symbol:         _ZN9rocsparseL19gebsrmvn_4xn_kernelILj128ELj7ELj8E21rocsparse_complex_numIdEEEvi20rocsparse_direction_NS_24const_host_device_scalarIT2_EEPKiS8_PKS5_SA_S6_PS5_21rocsparse_index_base_b.kd
    .uniform_work_group_size: 1
    .uses_dynamic_stack: false
    .vgpr_count:     92
    .vgpr_spill_count: 0
    .wavefront_size: 64
  - .agpr_count:     0
    .args:
      - .offset:         0
        .size:           4
        .value_kind:     by_value
      - .offset:         4
        .size:           4
        .value_kind:     by_value
      - .offset:         8
        .size:           16
        .value_kind:     by_value
      - .actual_access:  read_only
        .address_space:  global
        .offset:         24
        .size:           8
        .value_kind:     global_buffer
      - .actual_access:  read_only
        .address_space:  global
        .offset:         32
        .size:           8
        .value_kind:     global_buffer
      - .actual_access:  read_only
        .address_space:  global
        .offset:         40
        .size:           8
        .value_kind:     global_buffer
      - .actual_access:  read_only
        .address_space:  global
        .offset:         48
        .size:           8
        .value_kind:     global_buffer
      - .offset:         56
        .size:           16
        .value_kind:     by_value
      - .address_space:  global
        .offset:         72
        .size:           8
        .value_kind:     global_buffer
      - .offset:         80
        .size:           4
        .value_kind:     by_value
      - .offset:         84
        .size:           1
        .value_kind:     by_value
    .group_segment_fixed_size: 0
    .kernarg_segment_align: 8
    .kernarg_segment_size: 88
    .language:       OpenCL C
    .language_version:
      - 2
      - 0
    .max_flat_workgroup_size: 128
    .name:           _ZN9rocsparseL19gebsrmvn_4xn_kernelILj128ELj7ELj16E21rocsparse_complex_numIdEEEvi20rocsparse_direction_NS_24const_host_device_scalarIT2_EEPKiS8_PKS5_SA_S6_PS5_21rocsparse_index_base_b
    .private_segment_fixed_size: 0
    .sgpr_count:     22
    .sgpr_spill_count: 0
    .symbol:         _ZN9rocsparseL19gebsrmvn_4xn_kernelILj128ELj7ELj16E21rocsparse_complex_numIdEEEvi20rocsparse_direction_NS_24const_host_device_scalarIT2_EEPKiS8_PKS5_SA_S6_PS5_21rocsparse_index_base_b.kd
    .uniform_work_group_size: 1
    .uses_dynamic_stack: false
    .vgpr_count:     92
    .vgpr_spill_count: 0
    .wavefront_size: 64
  - .agpr_count:     0
    .args:
      - .offset:         0
        .size:           4
        .value_kind:     by_value
      - .offset:         4
        .size:           4
        .value_kind:     by_value
      - .offset:         8
        .size:           16
        .value_kind:     by_value
      - .actual_access:  read_only
        .address_space:  global
        .offset:         24
        .size:           8
        .value_kind:     global_buffer
      - .actual_access:  read_only
        .address_space:  global
        .offset:         32
        .size:           8
        .value_kind:     global_buffer
      - .actual_access:  read_only
        .address_space:  global
        .offset:         40
        .size:           8
        .value_kind:     global_buffer
      - .actual_access:  read_only
        .address_space:  global
        .offset:         48
        .size:           8
        .value_kind:     global_buffer
      - .offset:         56
        .size:           16
        .value_kind:     by_value
      - .address_space:  global
        .offset:         72
        .size:           8
        .value_kind:     global_buffer
      - .offset:         80
        .size:           4
        .value_kind:     by_value
      - .offset:         84
        .size:           1
        .value_kind:     by_value
    .group_segment_fixed_size: 0
    .kernarg_segment_align: 8
    .kernarg_segment_size: 88
    .language:       OpenCL C
    .language_version:
      - 2
      - 0
    .max_flat_workgroup_size: 128
    .name:           _ZN9rocsparseL19gebsrmvn_4xn_kernelILj128ELj7ELj32E21rocsparse_complex_numIdEEEvi20rocsparse_direction_NS_24const_host_device_scalarIT2_EEPKiS8_PKS5_SA_S6_PS5_21rocsparse_index_base_b
    .private_segment_fixed_size: 0
    .sgpr_count:     22
    .sgpr_spill_count: 0
    .symbol:         _ZN9rocsparseL19gebsrmvn_4xn_kernelILj128ELj7ELj32E21rocsparse_complex_numIdEEEvi20rocsparse_direction_NS_24const_host_device_scalarIT2_EEPKiS8_PKS5_SA_S6_PS5_21rocsparse_index_base_b.kd
    .uniform_work_group_size: 1
    .uses_dynamic_stack: false
    .vgpr_count:     92
    .vgpr_spill_count: 0
    .wavefront_size: 64
  - .agpr_count:     0
    .args:
      - .offset:         0
        .size:           4
        .value_kind:     by_value
      - .offset:         4
        .size:           4
        .value_kind:     by_value
      - .offset:         8
        .size:           16
        .value_kind:     by_value
      - .actual_access:  read_only
        .address_space:  global
        .offset:         24
        .size:           8
        .value_kind:     global_buffer
      - .actual_access:  read_only
        .address_space:  global
        .offset:         32
        .size:           8
        .value_kind:     global_buffer
      - .actual_access:  read_only
        .address_space:  global
        .offset:         40
        .size:           8
        .value_kind:     global_buffer
      - .actual_access:  read_only
        .address_space:  global
        .offset:         48
        .size:           8
        .value_kind:     global_buffer
      - .offset:         56
        .size:           16
        .value_kind:     by_value
      - .address_space:  global
        .offset:         72
        .size:           8
        .value_kind:     global_buffer
      - .offset:         80
        .size:           4
        .value_kind:     by_value
      - .offset:         84
        .size:           1
        .value_kind:     by_value
    .group_segment_fixed_size: 0
    .kernarg_segment_align: 8
    .kernarg_segment_size: 88
    .language:       OpenCL C
    .language_version:
      - 2
      - 0
    .max_flat_workgroup_size: 128
    .name:           _ZN9rocsparseL19gebsrmvn_4xn_kernelILj128ELj7ELj64E21rocsparse_complex_numIdEEEvi20rocsparse_direction_NS_24const_host_device_scalarIT2_EEPKiS8_PKS5_SA_S6_PS5_21rocsparse_index_base_b
    .private_segment_fixed_size: 0
    .sgpr_count:     22
    .sgpr_spill_count: 0
    .symbol:         _ZN9rocsparseL19gebsrmvn_4xn_kernelILj128ELj7ELj64E21rocsparse_complex_numIdEEEvi20rocsparse_direction_NS_24const_host_device_scalarIT2_EEPKiS8_PKS5_SA_S6_PS5_21rocsparse_index_base_b.kd
    .uniform_work_group_size: 1
    .uses_dynamic_stack: false
    .vgpr_count:     92
    .vgpr_spill_count: 0
    .wavefront_size: 64
  - .agpr_count:     0
    .args:
      - .offset:         0
        .size:           4
        .value_kind:     by_value
      - .offset:         4
        .size:           4
        .value_kind:     by_value
      - .offset:         8
        .size:           16
        .value_kind:     by_value
      - .actual_access:  read_only
        .address_space:  global
        .offset:         24
        .size:           8
        .value_kind:     global_buffer
      - .actual_access:  read_only
        .address_space:  global
        .offset:         32
        .size:           8
        .value_kind:     global_buffer
      - .actual_access:  read_only
        .address_space:  global
        .offset:         40
        .size:           8
        .value_kind:     global_buffer
      - .actual_access:  read_only
        .address_space:  global
        .offset:         48
        .size:           8
        .value_kind:     global_buffer
      - .offset:         56
        .size:           16
        .value_kind:     by_value
      - .address_space:  global
        .offset:         72
        .size:           8
        .value_kind:     global_buffer
      - .offset:         80
        .size:           4
        .value_kind:     by_value
      - .offset:         84
        .size:           1
        .value_kind:     by_value
    .group_segment_fixed_size: 0
    .kernarg_segment_align: 8
    .kernarg_segment_size: 88
    .language:       OpenCL C
    .language_version:
      - 2
      - 0
    .max_flat_workgroup_size: 128
    .name:           _ZN9rocsparseL19gebsrmvn_4xn_kernelILj128ELj8ELj4E21rocsparse_complex_numIdEEEvi20rocsparse_direction_NS_24const_host_device_scalarIT2_EEPKiS8_PKS5_SA_S6_PS5_21rocsparse_index_base_b
    .private_segment_fixed_size: 0
    .sgpr_count:     22
    .sgpr_spill_count: 0
    .symbol:         _ZN9rocsparseL19gebsrmvn_4xn_kernelILj128ELj8ELj4E21rocsparse_complex_numIdEEEvi20rocsparse_direction_NS_24const_host_device_scalarIT2_EEPKiS8_PKS5_SA_S6_PS5_21rocsparse_index_base_b.kd
    .uniform_work_group_size: 1
    .uses_dynamic_stack: false
    .vgpr_count:     110
    .vgpr_spill_count: 0
    .wavefront_size: 64
  - .agpr_count:     0
    .args:
      - .offset:         0
        .size:           4
        .value_kind:     by_value
      - .offset:         4
        .size:           4
        .value_kind:     by_value
      - .offset:         8
        .size:           16
        .value_kind:     by_value
      - .actual_access:  read_only
        .address_space:  global
        .offset:         24
        .size:           8
        .value_kind:     global_buffer
      - .actual_access:  read_only
        .address_space:  global
        .offset:         32
        .size:           8
        .value_kind:     global_buffer
      - .actual_access:  read_only
        .address_space:  global
        .offset:         40
        .size:           8
        .value_kind:     global_buffer
      - .actual_access:  read_only
        .address_space:  global
        .offset:         48
        .size:           8
        .value_kind:     global_buffer
      - .offset:         56
        .size:           16
        .value_kind:     by_value
      - .address_space:  global
        .offset:         72
        .size:           8
        .value_kind:     global_buffer
      - .offset:         80
        .size:           4
        .value_kind:     by_value
      - .offset:         84
        .size:           1
        .value_kind:     by_value
    .group_segment_fixed_size: 0
    .kernarg_segment_align: 8
    .kernarg_segment_size: 88
    .language:       OpenCL C
    .language_version:
      - 2
      - 0
    .max_flat_workgroup_size: 128
    .name:           _ZN9rocsparseL19gebsrmvn_4xn_kernelILj128ELj8ELj8E21rocsparse_complex_numIdEEEvi20rocsparse_direction_NS_24const_host_device_scalarIT2_EEPKiS8_PKS5_SA_S6_PS5_21rocsparse_index_base_b
    .private_segment_fixed_size: 0
    .sgpr_count:     22
    .sgpr_spill_count: 0
    .symbol:         _ZN9rocsparseL19gebsrmvn_4xn_kernelILj128ELj8ELj8E21rocsparse_complex_numIdEEEvi20rocsparse_direction_NS_24const_host_device_scalarIT2_EEPKiS8_PKS5_SA_S6_PS5_21rocsparse_index_base_b.kd
    .uniform_work_group_size: 1
    .uses_dynamic_stack: false
    .vgpr_count:     110
    .vgpr_spill_count: 0
    .wavefront_size: 64
  - .agpr_count:     0
    .args:
      - .offset:         0
        .size:           4
        .value_kind:     by_value
      - .offset:         4
        .size:           4
        .value_kind:     by_value
      - .offset:         8
        .size:           16
        .value_kind:     by_value
      - .actual_access:  read_only
        .address_space:  global
        .offset:         24
        .size:           8
        .value_kind:     global_buffer
      - .actual_access:  read_only
        .address_space:  global
        .offset:         32
        .size:           8
        .value_kind:     global_buffer
      - .actual_access:  read_only
        .address_space:  global
        .offset:         40
        .size:           8
        .value_kind:     global_buffer
      - .actual_access:  read_only
        .address_space:  global
        .offset:         48
        .size:           8
        .value_kind:     global_buffer
      - .offset:         56
        .size:           16
        .value_kind:     by_value
      - .address_space:  global
        .offset:         72
        .size:           8
        .value_kind:     global_buffer
      - .offset:         80
        .size:           4
        .value_kind:     by_value
      - .offset:         84
        .size:           1
        .value_kind:     by_value
    .group_segment_fixed_size: 0
    .kernarg_segment_align: 8
    .kernarg_segment_size: 88
    .language:       OpenCL C
    .language_version:
      - 2
      - 0
    .max_flat_workgroup_size: 128
    .name:           _ZN9rocsparseL19gebsrmvn_4xn_kernelILj128ELj8ELj16E21rocsparse_complex_numIdEEEvi20rocsparse_direction_NS_24const_host_device_scalarIT2_EEPKiS8_PKS5_SA_S6_PS5_21rocsparse_index_base_b
    .private_segment_fixed_size: 0
    .sgpr_count:     22
    .sgpr_spill_count: 0
    .symbol:         _ZN9rocsparseL19gebsrmvn_4xn_kernelILj128ELj8ELj16E21rocsparse_complex_numIdEEEvi20rocsparse_direction_NS_24const_host_device_scalarIT2_EEPKiS8_PKS5_SA_S6_PS5_21rocsparse_index_base_b.kd
    .uniform_work_group_size: 1
    .uses_dynamic_stack: false
    .vgpr_count:     110
    .vgpr_spill_count: 0
    .wavefront_size: 64
  - .agpr_count:     0
    .args:
      - .offset:         0
        .size:           4
        .value_kind:     by_value
      - .offset:         4
        .size:           4
        .value_kind:     by_value
      - .offset:         8
        .size:           16
        .value_kind:     by_value
      - .actual_access:  read_only
        .address_space:  global
        .offset:         24
        .size:           8
        .value_kind:     global_buffer
      - .actual_access:  read_only
        .address_space:  global
        .offset:         32
        .size:           8
        .value_kind:     global_buffer
      - .actual_access:  read_only
        .address_space:  global
        .offset:         40
        .size:           8
        .value_kind:     global_buffer
      - .actual_access:  read_only
        .address_space:  global
        .offset:         48
        .size:           8
        .value_kind:     global_buffer
      - .offset:         56
        .size:           16
        .value_kind:     by_value
      - .address_space:  global
        .offset:         72
        .size:           8
        .value_kind:     global_buffer
      - .offset:         80
        .size:           4
        .value_kind:     by_value
      - .offset:         84
        .size:           1
        .value_kind:     by_value
    .group_segment_fixed_size: 0
    .kernarg_segment_align: 8
    .kernarg_segment_size: 88
    .language:       OpenCL C
    .language_version:
      - 2
      - 0
    .max_flat_workgroup_size: 128
    .name:           _ZN9rocsparseL19gebsrmvn_4xn_kernelILj128ELj8ELj32E21rocsparse_complex_numIdEEEvi20rocsparse_direction_NS_24const_host_device_scalarIT2_EEPKiS8_PKS5_SA_S6_PS5_21rocsparse_index_base_b
    .private_segment_fixed_size: 0
    .sgpr_count:     22
    .sgpr_spill_count: 0
    .symbol:         _ZN9rocsparseL19gebsrmvn_4xn_kernelILj128ELj8ELj32E21rocsparse_complex_numIdEEEvi20rocsparse_direction_NS_24const_host_device_scalarIT2_EEPKiS8_PKS5_SA_S6_PS5_21rocsparse_index_base_b.kd
    .uniform_work_group_size: 1
    .uses_dynamic_stack: false
    .vgpr_count:     110
    .vgpr_spill_count: 0
    .wavefront_size: 64
  - .agpr_count:     0
    .args:
      - .offset:         0
        .size:           4
        .value_kind:     by_value
      - .offset:         4
        .size:           4
        .value_kind:     by_value
      - .offset:         8
        .size:           16
        .value_kind:     by_value
      - .actual_access:  read_only
        .address_space:  global
        .offset:         24
        .size:           8
        .value_kind:     global_buffer
      - .actual_access:  read_only
        .address_space:  global
        .offset:         32
        .size:           8
        .value_kind:     global_buffer
      - .actual_access:  read_only
        .address_space:  global
        .offset:         40
        .size:           8
        .value_kind:     global_buffer
      - .actual_access:  read_only
        .address_space:  global
        .offset:         48
        .size:           8
        .value_kind:     global_buffer
      - .offset:         56
        .size:           16
        .value_kind:     by_value
      - .address_space:  global
        .offset:         72
        .size:           8
        .value_kind:     global_buffer
      - .offset:         80
        .size:           4
        .value_kind:     by_value
      - .offset:         84
        .size:           1
        .value_kind:     by_value
    .group_segment_fixed_size: 0
    .kernarg_segment_align: 8
    .kernarg_segment_size: 88
    .language:       OpenCL C
    .language_version:
      - 2
      - 0
    .max_flat_workgroup_size: 128
    .name:           _ZN9rocsparseL19gebsrmvn_4xn_kernelILj128ELj8ELj64E21rocsparse_complex_numIdEEEvi20rocsparse_direction_NS_24const_host_device_scalarIT2_EEPKiS8_PKS5_SA_S6_PS5_21rocsparse_index_base_b
    .private_segment_fixed_size: 0
    .sgpr_count:     22
    .sgpr_spill_count: 0
    .symbol:         _ZN9rocsparseL19gebsrmvn_4xn_kernelILj128ELj8ELj64E21rocsparse_complex_numIdEEEvi20rocsparse_direction_NS_24const_host_device_scalarIT2_EEPKiS8_PKS5_SA_S6_PS5_21rocsparse_index_base_b.kd
    .uniform_work_group_size: 1
    .uses_dynamic_stack: false
    .vgpr_count:     110
    .vgpr_spill_count: 0
    .wavefront_size: 64
  - .agpr_count:     0
    .args:
      - .offset:         0
        .size:           4
        .value_kind:     by_value
      - .offset:         4
        .size:           4
        .value_kind:     by_value
      - .offset:         8
        .size:           16
        .value_kind:     by_value
      - .actual_access:  read_only
        .address_space:  global
        .offset:         24
        .size:           8
        .value_kind:     global_buffer
      - .actual_access:  read_only
        .address_space:  global
        .offset:         32
        .size:           8
        .value_kind:     global_buffer
      - .actual_access:  read_only
        .address_space:  global
        .offset:         40
        .size:           8
        .value_kind:     global_buffer
      - .offset:         48
        .size:           4
        .value_kind:     by_value
      - .offset:         52
        .size:           4
        .value_kind:     by_value
      - .actual_access:  read_only
        .address_space:  global
        .offset:         56
        .size:           8
        .value_kind:     global_buffer
      - .offset:         64
        .size:           16
        .value_kind:     by_value
      - .address_space:  global
        .offset:         80
        .size:           8
        .value_kind:     global_buffer
      - .offset:         88
        .size:           4
        .value_kind:     by_value
      - .offset:         92
        .size:           1
        .value_kind:     by_value
    .group_segment_fixed_size: 0
    .kernarg_segment_align: 8
    .kernarg_segment_size: 96
    .language:       OpenCL C
    .language_version:
      - 2
      - 0
    .max_flat_workgroup_size: 64
    .name:           _ZN9rocsparseL23gebsrmvn_general_kernelILj64ELj16E21rocsparse_complex_numIdEEEvi20rocsparse_direction_NS_24const_host_device_scalarIT1_EEPKiS8_PKS5_iiSA_S6_PS5_21rocsparse_index_base_b
    .private_segment_fixed_size: 0
    .sgpr_count:     44
    .sgpr_spill_count: 0
    .symbol:         _ZN9rocsparseL23gebsrmvn_general_kernelILj64ELj16E21rocsparse_complex_numIdEEEvi20rocsparse_direction_NS_24const_host_device_scalarIT1_EEPKiS8_PKS5_iiSA_S6_PS5_21rocsparse_index_base_b.kd
    .uniform_work_group_size: 1
    .uses_dynamic_stack: false
    .vgpr_count:     28
    .vgpr_spill_count: 0
    .wavefront_size: 64
  - .agpr_count:     0
    .args:
      - .offset:         0
        .size:           4
        .value_kind:     by_value
      - .offset:         4
        .size:           4
        .value_kind:     by_value
      - .offset:         8
        .size:           16
        .value_kind:     by_value
      - .actual_access:  read_only
        .address_space:  global
        .offset:         24
        .size:           8
        .value_kind:     global_buffer
      - .actual_access:  read_only
        .address_space:  global
        .offset:         32
        .size:           8
        .value_kind:     global_buffer
      - .actual_access:  read_only
        .address_space:  global
        .offset:         40
        .size:           8
        .value_kind:     global_buffer
      - .offset:         48
        .size:           4
        .value_kind:     by_value
      - .offset:         52
        .size:           4
        .value_kind:     by_value
      - .actual_access:  read_only
        .address_space:  global
        .offset:         56
        .size:           8
        .value_kind:     global_buffer
      - .offset:         64
        .size:           16
        .value_kind:     by_value
      - .address_space:  global
        .offset:         80
        .size:           8
        .value_kind:     global_buffer
      - .offset:         88
        .size:           4
        .value_kind:     by_value
      - .offset:         92
        .size:           1
        .value_kind:     by_value
    .group_segment_fixed_size: 0
    .kernarg_segment_align: 8
    .kernarg_segment_size: 96
    .language:       OpenCL C
    .language_version:
      - 2
      - 0
    .max_flat_workgroup_size: 128
    .name:           _ZN9rocsparseL23gebsrmvn_general_kernelILj128ELj32E21rocsparse_complex_numIdEEEvi20rocsparse_direction_NS_24const_host_device_scalarIT1_EEPKiS8_PKS5_iiSA_S6_PS5_21rocsparse_index_base_b
    .private_segment_fixed_size: 0
    .sgpr_count:     44
    .sgpr_spill_count: 0
    .symbol:         _ZN9rocsparseL23gebsrmvn_general_kernelILj128ELj32E21rocsparse_complex_numIdEEEvi20rocsparse_direction_NS_24const_host_device_scalarIT1_EEPKiS8_PKS5_iiSA_S6_PS5_21rocsparse_index_base_b.kd
    .uniform_work_group_size: 1
    .uses_dynamic_stack: false
    .vgpr_count:     28
    .vgpr_spill_count: 0
    .wavefront_size: 64
amdhsa.target:   amdgcn-amd-amdhsa--gfx950
amdhsa.version:
  - 1
  - 2
...

	.end_amdgpu_metadata
